;; amdgpu-corpus repo=ROCm/AMDMIGraphX kind=compiled arch=gfx906 opt=O3
	.text
	.amdgcn_target "amdgcn-amd-amdhsa--gfx906"
	.amdhsa_code_object_version 6
	.p2align	2                               ; -- Begin function _ZNK8migraphx13basic_printerIZNS_4coutEvEUlT_E_ElsEPKc
	.type	_ZNK8migraphx13basic_printerIZNS_4coutEvEUlT_E_ElsEPKc,@function
_ZNK8migraphx13basic_printerIZNS_4coutEvEUlT_E_ElsEPKc: ; @_ZNK8migraphx13basic_printerIZNS_4coutEvEUlT_E_ElsEPKc
; %bb.0:
	s_waitcnt vmcnt(0) expcnt(0) lgkmcnt(0)
	s_load_dwordx2 s[6:7], s[8:9], 0x50
	v_mbcnt_lo_u32_b32 v2, -1, 0
	v_mbcnt_hi_u32_b32 v35, -1, v2
	v_readfirstlane_b32 s4, v35
	v_mov_b32_e32 v7, 0
	v_mov_b32_e32 v8, 0
	v_cmp_eq_u32_e64 s[4:5], s4, v35
	s_and_saveexec_b64 s[8:9], s[4:5]
	s_cbranch_execz .LBB0_6
; %bb.1:
	v_mov_b32_e32 v2, 0
	s_waitcnt lgkmcnt(0)
	global_load_dwordx2 v[5:6], v2, s[6:7] offset:24 glc
	s_waitcnt vmcnt(0)
	buffer_wbinvl1_vol
	global_load_dwordx2 v[3:4], v2, s[6:7] offset:40
	global_load_dwordx2 v[7:8], v2, s[6:7]
	s_waitcnt vmcnt(1)
	v_and_b32_e32 v3, v3, v5
	v_and_b32_e32 v4, v4, v6
	v_mul_lo_u32 v4, v4, 24
	v_mul_hi_u32 v9, v3, 24
	v_mul_lo_u32 v3, v3, 24
	v_add_u32_e32 v4, v9, v4
	s_waitcnt vmcnt(0)
	v_add_co_u32_e32 v3, vcc, v7, v3
	v_addc_co_u32_e32 v4, vcc, v8, v4, vcc
	global_load_dwordx2 v[3:4], v[3:4], off glc
	s_waitcnt vmcnt(0)
	global_atomic_cmpswap_x2 v[7:8], v2, v[3:6], s[6:7] offset:24 glc
	s_waitcnt vmcnt(0)
	buffer_wbinvl1_vol
	v_cmp_ne_u64_e32 vcc, v[7:8], v[5:6]
	s_and_saveexec_b64 s[10:11], vcc
	s_cbranch_execz .LBB0_5
; %bb.2:
	s_mov_b64 s[12:13], 0
.LBB0_3:                                ; =>This Inner Loop Header: Depth=1
	s_sleep 1
	global_load_dwordx2 v[3:4], v2, s[6:7] offset:40
	global_load_dwordx2 v[9:10], v2, s[6:7]
	v_mov_b32_e32 v5, v7
	v_mov_b32_e32 v6, v8
	s_waitcnt vmcnt(1)
	v_and_b32_e32 v3, v3, v5
	s_waitcnt vmcnt(0)
	v_mad_u64_u32 v[7:8], s[14:15], v3, 24, v[9:10]
	v_and_b32_e32 v4, v4, v6
	v_mov_b32_e32 v3, v8
	v_mad_u64_u32 v[3:4], s[14:15], v4, 24, v[3:4]
	v_mov_b32_e32 v8, v3
	global_load_dwordx2 v[3:4], v[7:8], off glc
	s_waitcnt vmcnt(0)
	global_atomic_cmpswap_x2 v[7:8], v2, v[3:6], s[6:7] offset:24 glc
	s_waitcnt vmcnt(0)
	buffer_wbinvl1_vol
	v_cmp_eq_u64_e32 vcc, v[7:8], v[5:6]
	s_or_b64 s[12:13], vcc, s[12:13]
	s_andn2_b64 exec, exec, s[12:13]
	s_cbranch_execnz .LBB0_3
; %bb.4:
	s_or_b64 exec, exec, s[12:13]
.LBB0_5:
	s_or_b64 exec, exec, s[10:11]
.LBB0_6:
	s_or_b64 exec, exec, s[8:9]
	v_mov_b32_e32 v6, 0
	s_waitcnt lgkmcnt(0)
	global_load_dwordx2 v[9:10], v6, s[6:7] offset:40
	global_load_dwordx4 v[2:5], v6, s[6:7]
	v_readfirstlane_b32 s8, v7
	v_readfirstlane_b32 s9, v8
	s_mov_b64 s[10:11], exec
	s_waitcnt vmcnt(1)
	v_readfirstlane_b32 s12, v9
	v_readfirstlane_b32 s13, v10
	s_and_b64 s[12:13], s[8:9], s[12:13]
	s_mul_i32 s14, s13, 24
	s_mul_hi_u32 s15, s12, 24
	s_mul_i32 s16, s12, 24
	s_add_i32 s14, s15, s14
	v_mov_b32_e32 v7, s14
	s_waitcnt vmcnt(0)
	v_add_co_u32_e32 v9, vcc, s16, v2
	v_addc_co_u32_e32 v10, vcc, v3, v7, vcc
	s_and_saveexec_b64 s[14:15], s[4:5]
	s_cbranch_execz .LBB0_8
; %bb.7:
	v_mov_b32_e32 v12, s11
	v_mov_b32_e32 v11, s10
	;; [unrolled: 1-line block ×4, first 2 shown]
	global_store_dwordx4 v[9:10], v[11:14], off offset:8
.LBB0_8:
	s_or_b64 exec, exec, s[14:15]
	s_lshl_b64 s[10:11], s[12:13], 12
	v_mov_b32_e32 v7, s11
	v_add_co_u32_e32 v4, vcc, s10, v4
	v_addc_co_u32_e32 v13, vcc, v5, v7, vcc
	s_mov_b32 s12, 0
	v_lshlrev_b32_e32 v34, 6, v35
	v_mov_b32_e32 v5, 33
	v_mov_b32_e32 v7, v6
	;; [unrolled: 1-line block ×3, first 2 shown]
	v_readfirstlane_b32 s10, v4
	v_readfirstlane_b32 s11, v13
	v_add_co_u32_e32 v11, vcc, v4, v34
	s_mov_b32 s13, s12
	s_mov_b32 s14, s12
	s_mov_b32 s15, s12
	s_nop 0
	global_store_dwordx4 v34, v[5:8], s[10:11]
	v_mov_b32_e32 v4, s12
	v_addc_co_u32_e32 v12, vcc, 0, v13, vcc
	v_mov_b32_e32 v5, s13
	v_mov_b32_e32 v6, s14
	;; [unrolled: 1-line block ×3, first 2 shown]
	global_store_dwordx4 v34, v[4:7], s[10:11] offset:16
	global_store_dwordx4 v34, v[4:7], s[10:11] offset:32
	;; [unrolled: 1-line block ×3, first 2 shown]
	s_and_saveexec_b64 s[10:11], s[4:5]
	s_cbranch_execz .LBB0_16
; %bb.9:
	v_mov_b32_e32 v8, 0
	global_load_dwordx2 v[15:16], v8, s[6:7] offset:32 glc
	global_load_dwordx2 v[4:5], v8, s[6:7] offset:40
	v_mov_b32_e32 v13, s8
	v_mov_b32_e32 v14, s9
	s_waitcnt vmcnt(0)
	v_and_b32_e32 v4, s8, v4
	v_and_b32_e32 v5, s9, v5
	v_mul_lo_u32 v5, v5, 24
	v_mul_hi_u32 v6, v4, 24
	v_mul_lo_u32 v4, v4, 24
	v_add_u32_e32 v5, v6, v5
	v_add_co_u32_e32 v6, vcc, v2, v4
	v_addc_co_u32_e32 v7, vcc, v3, v5, vcc
	global_store_dwordx2 v[6:7], v[15:16], off
	s_waitcnt vmcnt(0)
	global_atomic_cmpswap_x2 v[4:5], v8, v[13:16], s[6:7] offset:32 glc
	s_waitcnt vmcnt(0)
	v_cmp_ne_u64_e32 vcc, v[4:5], v[15:16]
	s_and_saveexec_b64 s[12:13], vcc
	s_cbranch_execz .LBB0_12
; %bb.10:
	s_mov_b64 s[14:15], 0
.LBB0_11:                               ; =>This Inner Loop Header: Depth=1
	s_sleep 1
	global_store_dwordx2 v[6:7], v[4:5], off
	v_mov_b32_e32 v2, s8
	v_mov_b32_e32 v3, s9
	s_waitcnt vmcnt(0)
	global_atomic_cmpswap_x2 v[2:3], v8, v[2:5], s[6:7] offset:32 glc
	s_waitcnt vmcnt(0)
	v_cmp_eq_u64_e32 vcc, v[2:3], v[4:5]
	v_mov_b32_e32 v5, v3
	s_or_b64 s[14:15], vcc, s[14:15]
	v_mov_b32_e32 v4, v2
	s_andn2_b64 exec, exec, s[14:15]
	s_cbranch_execnz .LBB0_11
.LBB0_12:
	s_or_b64 exec, exec, s[12:13]
	v_mov_b32_e32 v5, 0
	global_load_dwordx2 v[2:3], v5, s[6:7] offset:16
	s_mov_b64 s[12:13], exec
	v_mbcnt_lo_u32_b32 v4, s12, 0
	v_mbcnt_hi_u32_b32 v4, s13, v4
	v_cmp_eq_u32_e32 vcc, 0, v4
	s_and_saveexec_b64 s[14:15], vcc
	s_cbranch_execz .LBB0_14
; %bb.13:
	s_bcnt1_i32_b64 s12, s[12:13]
	v_mov_b32_e32 v4, s12
	s_waitcnt vmcnt(0)
	global_atomic_add_x2 v[2:3], v[4:5], off offset:8
.LBB0_14:
	s_or_b64 exec, exec, s[14:15]
	s_waitcnt vmcnt(0)
	global_load_dwordx2 v[4:5], v[2:3], off offset:16
	s_waitcnt vmcnt(0)
	v_cmp_eq_u64_e32 vcc, 0, v[4:5]
	s_cbranch_vccnz .LBB0_16
; %bb.15:
	global_load_dword v2, v[2:3], off offset:24
	v_mov_b32_e32 v3, 0
	s_waitcnt vmcnt(0)
	global_store_dwordx2 v[4:5], v[2:3], off
	v_and_b32_e32 v2, 0xffffff, v2
	v_readfirstlane_b32 m0, v2
	s_sendmsg sendmsg(MSG_INTERRUPT)
.LBB0_16:
	s_or_b64 exec, exec, s[10:11]
	s_branch .LBB0_20
.LBB0_17:                               ;   in Loop: Header=BB0_20 Depth=1
	s_or_b64 exec, exec, s[10:11]
	v_readfirstlane_b32 s10, v2
	s_cmp_eq_u32 s10, 0
	s_cbranch_scc1 .LBB0_19
; %bb.18:                               ;   in Loop: Header=BB0_20 Depth=1
	s_sleep 1
	s_cbranch_execnz .LBB0_20
	s_branch .LBB0_22
.LBB0_19:
	s_branch .LBB0_22
.LBB0_20:                               ; =>This Inner Loop Header: Depth=1
	v_mov_b32_e32 v2, 1
	s_and_saveexec_b64 s[10:11], s[4:5]
	s_cbranch_execz .LBB0_17
; %bb.21:                               ;   in Loop: Header=BB0_20 Depth=1
	global_load_dword v2, v[9:10], off offset:20 glc
	s_waitcnt vmcnt(0)
	buffer_wbinvl1_vol
	v_and_b32_e32 v2, 1, v2
	s_branch .LBB0_17
.LBB0_22:
	global_load_dwordx2 v[6:7], v[11:12], off
	s_and_saveexec_b64 s[10:11], s[4:5]
	s_cbranch_execz .LBB0_25
; %bb.23:
	v_mov_b32_e32 v10, 0
	global_load_dwordx2 v[4:5], v10, s[6:7] offset:40
	global_load_dwordx2 v[11:12], v10, s[6:7] offset:24 glc
	global_load_dwordx2 v[8:9], v10, s[6:7]
	v_mov_b32_e32 v3, s9
	s_mov_b64 s[4:5], 0
	s_waitcnt vmcnt(2)
	v_add_co_u32_e32 v13, vcc, 1, v4
	v_addc_co_u32_e32 v14, vcc, 0, v5, vcc
	v_add_co_u32_e32 v2, vcc, s8, v13
	v_addc_co_u32_e32 v3, vcc, v14, v3, vcc
	v_cmp_eq_u64_e32 vcc, 0, v[2:3]
	v_cndmask_b32_e32 v3, v3, v14, vcc
	v_cndmask_b32_e32 v2, v2, v13, vcc
	v_and_b32_e32 v5, v3, v5
	v_and_b32_e32 v4, v2, v4
	v_mul_lo_u32 v5, v5, 24
	v_mul_hi_u32 v13, v4, 24
	v_mul_lo_u32 v14, v4, 24
	s_waitcnt vmcnt(1)
	v_mov_b32_e32 v4, v11
	v_add_u32_e32 v5, v13, v5
	s_waitcnt vmcnt(0)
	v_add_co_u32_e32 v8, vcc, v8, v14
	v_addc_co_u32_e32 v9, vcc, v9, v5, vcc
	global_store_dwordx2 v[8:9], v[11:12], off
	v_mov_b32_e32 v5, v12
	s_waitcnt vmcnt(0)
	global_atomic_cmpswap_x2 v[4:5], v10, v[2:5], s[6:7] offset:24 glc
	s_waitcnt vmcnt(0)
	v_cmp_ne_u64_e32 vcc, v[4:5], v[11:12]
	s_and_b64 exec, exec, vcc
	s_cbranch_execz .LBB0_25
.LBB0_24:                               ; =>This Inner Loop Header: Depth=1
	s_sleep 1
	global_store_dwordx2 v[8:9], v[4:5], off
	s_waitcnt vmcnt(0)
	global_atomic_cmpswap_x2 v[11:12], v10, v[2:5], s[6:7] offset:24 glc
	s_waitcnt vmcnt(0)
	v_cmp_eq_u64_e32 vcc, v[11:12], v[4:5]
	v_mov_b32_e32 v4, v11
	s_or_b64 s[4:5], vcc, s[4:5]
	v_mov_b32_e32 v5, v12
	s_andn2_b64 exec, exec, s[4:5]
	s_cbranch_execnz .LBB0_24
.LBB0_25:
	s_or_b64 exec, exec, s[10:11]
	s_getpc_b64 s[8:9]
	s_add_u32 s8, s8, .str.5@rel32@lo+4
	s_addc_u32 s9, s9, .str.5@rel32@hi+12
	s_cmp_lg_u64 s[8:9], 0
	s_cbranch_scc0 .LBB0_110
; %bb.26:
	s_waitcnt vmcnt(0)
	v_and_b32_e32 v31, 2, v6
	v_mov_b32_e32 v28, 0
	v_and_b32_e32 v2, -3, v6
	v_mov_b32_e32 v3, v7
	s_mov_b64 s[10:11], 3
	v_mov_b32_e32 v10, 2
	v_mov_b32_e32 v11, 1
	s_branch .LBB0_28
.LBB0_27:                               ;   in Loop: Header=BB0_28 Depth=1
	s_or_b64 exec, exec, s[16:17]
	s_sub_u32 s10, s10, s12
	s_subb_u32 s11, s11, s13
	s_add_u32 s8, s8, s12
	s_addc_u32 s9, s9, s13
	s_cmp_lg_u64 s[10:11], 0
	s_cbranch_scc0 .LBB0_109
.LBB0_28:                               ; =>This Loop Header: Depth=1
                                        ;     Child Loop BB0_31 Depth 2
                                        ;     Child Loop BB0_38 Depth 2
	;; [unrolled: 1-line block ×11, first 2 shown]
	v_cmp_lt_u64_e64 s[4:5], s[10:11], 56
	v_cmp_gt_u64_e64 s[14:15], s[10:11], 7
	s_and_b64 s[4:5], s[4:5], exec
	s_cselect_b32 s13, s11, 0
	s_cselect_b32 s12, s10, 56
	s_and_b64 vcc, exec, s[14:15]
	s_cbranch_vccnz .LBB0_33
; %bb.29:                               ;   in Loop: Header=BB0_28 Depth=1
	s_waitcnt vmcnt(0)
	v_mov_b32_e32 v4, 0
	s_cmp_eq_u64 s[10:11], 0
	v_mov_b32_e32 v5, 0
	s_mov_b64 s[4:5], 0
	s_cbranch_scc1 .LBB0_32
; %bb.30:                               ;   in Loop: Header=BB0_28 Depth=1
	v_mov_b32_e32 v4, 0
	s_lshl_b64 s[14:15], s[12:13], 3
	s_mov_b64 s[16:17], 0
	v_mov_b32_e32 v5, 0
	s_mov_b64 s[18:19], s[8:9]
.LBB0_31:                               ;   Parent Loop BB0_28 Depth=1
                                        ; =>  This Inner Loop Header: Depth=2
	global_load_ubyte v8, v28, s[18:19]
	s_waitcnt vmcnt(0)
	v_and_b32_e32 v27, 0xffff, v8
	v_lshlrev_b64 v[8:9], s16, v[27:28]
	s_add_u32 s16, s16, 8
	s_addc_u32 s17, s17, 0
	s_add_u32 s18, s18, 1
	s_addc_u32 s19, s19, 0
	v_or_b32_e32 v4, v8, v4
	s_cmp_lg_u32 s14, s16
	v_or_b32_e32 v5, v9, v5
	s_cbranch_scc1 .LBB0_31
.LBB0_32:                               ;   in Loop: Header=BB0_28 Depth=1
	s_mov_b32 s18, 0
	s_andn2_b64 vcc, exec, s[4:5]
	s_mov_b64 s[4:5], s[8:9]
	s_cbranch_vccz .LBB0_34
	s_branch .LBB0_35
.LBB0_33:                               ;   in Loop: Header=BB0_28 Depth=1
                                        ; implicit-def: $vgpr4_vgpr5
                                        ; implicit-def: $sgpr18
	s_mov_b64 s[4:5], s[8:9]
.LBB0_34:                               ;   in Loop: Header=BB0_28 Depth=1
	global_load_dwordx2 v[4:5], v28, s[8:9]
	s_add_i32 s18, s12, -8
	s_add_u32 s4, s8, 8
	s_addc_u32 s5, s9, 0
.LBB0_35:                               ;   in Loop: Header=BB0_28 Depth=1
	s_cmp_gt_u32 s18, 7
	s_cbranch_scc1 .LBB0_39
; %bb.36:                               ;   in Loop: Header=BB0_28 Depth=1
	s_cmp_eq_u32 s18, 0
	s_cbranch_scc1 .LBB0_40
; %bb.37:                               ;   in Loop: Header=BB0_28 Depth=1
	v_mov_b32_e32 v12, 0
	s_mov_b64 s[14:15], 0
	v_mov_b32_e32 v13, 0
	s_mov_b64 s[16:17], 0
.LBB0_38:                               ;   Parent Loop BB0_28 Depth=1
                                        ; =>  This Inner Loop Header: Depth=2
	s_add_u32 s20, s4, s16
	s_addc_u32 s21, s5, s17
	global_load_ubyte v8, v28, s[20:21]
	s_add_u32 s16, s16, 1
	s_addc_u32 s17, s17, 0
	s_waitcnt vmcnt(0)
	v_and_b32_e32 v27, 0xffff, v8
	v_lshlrev_b64 v[8:9], s14, v[27:28]
	s_add_u32 s14, s14, 8
	s_addc_u32 s15, s15, 0
	v_or_b32_e32 v12, v8, v12
	s_cmp_lg_u32 s18, s16
	v_or_b32_e32 v13, v9, v13
	s_cbranch_scc1 .LBB0_38
	s_branch .LBB0_41
.LBB0_39:                               ;   in Loop: Header=BB0_28 Depth=1
                                        ; implicit-def: $vgpr12_vgpr13
                                        ; implicit-def: $sgpr19
	s_branch .LBB0_42
.LBB0_40:                               ;   in Loop: Header=BB0_28 Depth=1
	v_mov_b32_e32 v12, 0
	v_mov_b32_e32 v13, 0
.LBB0_41:                               ;   in Loop: Header=BB0_28 Depth=1
	s_mov_b32 s19, 0
	s_cbranch_execnz .LBB0_43
.LBB0_42:                               ;   in Loop: Header=BB0_28 Depth=1
	global_load_dwordx2 v[12:13], v28, s[4:5]
	s_add_i32 s19, s18, -8
	s_add_u32 s4, s4, 8
	s_addc_u32 s5, s5, 0
.LBB0_43:                               ;   in Loop: Header=BB0_28 Depth=1
	s_cmp_gt_u32 s19, 7
	s_cbranch_scc1 .LBB0_47
; %bb.44:                               ;   in Loop: Header=BB0_28 Depth=1
	s_cmp_eq_u32 s19, 0
	s_cbranch_scc1 .LBB0_48
; %bb.45:                               ;   in Loop: Header=BB0_28 Depth=1
	v_mov_b32_e32 v14, 0
	s_mov_b64 s[14:15], 0
	v_mov_b32_e32 v15, 0
	s_mov_b64 s[16:17], 0
.LBB0_46:                               ;   Parent Loop BB0_28 Depth=1
                                        ; =>  This Inner Loop Header: Depth=2
	s_add_u32 s20, s4, s16
	s_addc_u32 s21, s5, s17
	global_load_ubyte v8, v28, s[20:21]
	s_add_u32 s16, s16, 1
	s_addc_u32 s17, s17, 0
	s_waitcnt vmcnt(0)
	v_and_b32_e32 v27, 0xffff, v8
	v_lshlrev_b64 v[8:9], s14, v[27:28]
	s_add_u32 s14, s14, 8
	s_addc_u32 s15, s15, 0
	v_or_b32_e32 v14, v8, v14
	s_cmp_lg_u32 s19, s16
	v_or_b32_e32 v15, v9, v15
	s_cbranch_scc1 .LBB0_46
	s_branch .LBB0_49
.LBB0_47:                               ;   in Loop: Header=BB0_28 Depth=1
                                        ; implicit-def: $sgpr18
	s_branch .LBB0_50
.LBB0_48:                               ;   in Loop: Header=BB0_28 Depth=1
	v_mov_b32_e32 v14, 0
	v_mov_b32_e32 v15, 0
.LBB0_49:                               ;   in Loop: Header=BB0_28 Depth=1
	s_mov_b32 s18, 0
	s_cbranch_execnz .LBB0_51
.LBB0_50:                               ;   in Loop: Header=BB0_28 Depth=1
	global_load_dwordx2 v[14:15], v28, s[4:5]
	s_add_i32 s18, s19, -8
	s_add_u32 s4, s4, 8
	s_addc_u32 s5, s5, 0
.LBB0_51:                               ;   in Loop: Header=BB0_28 Depth=1
	s_cmp_gt_u32 s18, 7
	s_cbranch_scc1 .LBB0_55
; %bb.52:                               ;   in Loop: Header=BB0_28 Depth=1
	s_cmp_eq_u32 s18, 0
	s_cbranch_scc1 .LBB0_56
; %bb.53:                               ;   in Loop: Header=BB0_28 Depth=1
	v_mov_b32_e32 v16, 0
	s_mov_b64 s[14:15], 0
	v_mov_b32_e32 v17, 0
	s_mov_b64 s[16:17], 0
.LBB0_54:                               ;   Parent Loop BB0_28 Depth=1
                                        ; =>  This Inner Loop Header: Depth=2
	s_add_u32 s20, s4, s16
	s_addc_u32 s21, s5, s17
	global_load_ubyte v8, v28, s[20:21]
	s_add_u32 s16, s16, 1
	s_addc_u32 s17, s17, 0
	s_waitcnt vmcnt(0)
	v_and_b32_e32 v27, 0xffff, v8
	v_lshlrev_b64 v[8:9], s14, v[27:28]
	s_add_u32 s14, s14, 8
	s_addc_u32 s15, s15, 0
	v_or_b32_e32 v16, v8, v16
	s_cmp_lg_u32 s18, s16
	v_or_b32_e32 v17, v9, v17
	s_cbranch_scc1 .LBB0_54
	s_branch .LBB0_57
.LBB0_55:                               ;   in Loop: Header=BB0_28 Depth=1
                                        ; implicit-def: $vgpr16_vgpr17
                                        ; implicit-def: $sgpr19
	s_branch .LBB0_58
.LBB0_56:                               ;   in Loop: Header=BB0_28 Depth=1
	v_mov_b32_e32 v16, 0
	v_mov_b32_e32 v17, 0
.LBB0_57:                               ;   in Loop: Header=BB0_28 Depth=1
	s_mov_b32 s19, 0
	s_cbranch_execnz .LBB0_59
.LBB0_58:                               ;   in Loop: Header=BB0_28 Depth=1
	global_load_dwordx2 v[16:17], v28, s[4:5]
	s_add_i32 s19, s18, -8
	s_add_u32 s4, s4, 8
	s_addc_u32 s5, s5, 0
.LBB0_59:                               ;   in Loop: Header=BB0_28 Depth=1
	s_cmp_gt_u32 s19, 7
	s_cbranch_scc1 .LBB0_63
; %bb.60:                               ;   in Loop: Header=BB0_28 Depth=1
	s_cmp_eq_u32 s19, 0
	s_cbranch_scc1 .LBB0_64
; %bb.61:                               ;   in Loop: Header=BB0_28 Depth=1
	v_mov_b32_e32 v18, 0
	s_mov_b64 s[14:15], 0
	v_mov_b32_e32 v19, 0
	s_mov_b64 s[16:17], 0
.LBB0_62:                               ;   Parent Loop BB0_28 Depth=1
                                        ; =>  This Inner Loop Header: Depth=2
	s_add_u32 s20, s4, s16
	s_addc_u32 s21, s5, s17
	global_load_ubyte v8, v28, s[20:21]
	s_add_u32 s16, s16, 1
	s_addc_u32 s17, s17, 0
	s_waitcnt vmcnt(0)
	v_and_b32_e32 v27, 0xffff, v8
	v_lshlrev_b64 v[8:9], s14, v[27:28]
	s_add_u32 s14, s14, 8
	s_addc_u32 s15, s15, 0
	v_or_b32_e32 v18, v8, v18
	s_cmp_lg_u32 s19, s16
	v_or_b32_e32 v19, v9, v19
	s_cbranch_scc1 .LBB0_62
	s_branch .LBB0_65
.LBB0_63:                               ;   in Loop: Header=BB0_28 Depth=1
                                        ; implicit-def: $sgpr18
	s_branch .LBB0_66
.LBB0_64:                               ;   in Loop: Header=BB0_28 Depth=1
	v_mov_b32_e32 v18, 0
	v_mov_b32_e32 v19, 0
.LBB0_65:                               ;   in Loop: Header=BB0_28 Depth=1
	s_mov_b32 s18, 0
	s_cbranch_execnz .LBB0_67
.LBB0_66:                               ;   in Loop: Header=BB0_28 Depth=1
	global_load_dwordx2 v[18:19], v28, s[4:5]
	s_add_i32 s18, s19, -8
	s_add_u32 s4, s4, 8
	s_addc_u32 s5, s5, 0
.LBB0_67:                               ;   in Loop: Header=BB0_28 Depth=1
	s_cmp_gt_u32 s18, 7
	s_cbranch_scc1 .LBB0_71
; %bb.68:                               ;   in Loop: Header=BB0_28 Depth=1
	s_cmp_eq_u32 s18, 0
	s_cbranch_scc1 .LBB0_72
; %bb.69:                               ;   in Loop: Header=BB0_28 Depth=1
	v_mov_b32_e32 v20, 0
	s_mov_b64 s[14:15], 0
	v_mov_b32_e32 v21, 0
	s_mov_b64 s[16:17], 0
.LBB0_70:                               ;   Parent Loop BB0_28 Depth=1
                                        ; =>  This Inner Loop Header: Depth=2
	s_add_u32 s20, s4, s16
	s_addc_u32 s21, s5, s17
	global_load_ubyte v8, v28, s[20:21]
	s_add_u32 s16, s16, 1
	s_addc_u32 s17, s17, 0
	s_waitcnt vmcnt(0)
	v_and_b32_e32 v27, 0xffff, v8
	v_lshlrev_b64 v[8:9], s14, v[27:28]
	s_add_u32 s14, s14, 8
	s_addc_u32 s15, s15, 0
	v_or_b32_e32 v20, v8, v20
	s_cmp_lg_u32 s18, s16
	v_or_b32_e32 v21, v9, v21
	s_cbranch_scc1 .LBB0_70
	s_branch .LBB0_73
.LBB0_71:                               ;   in Loop: Header=BB0_28 Depth=1
                                        ; implicit-def: $vgpr20_vgpr21
                                        ; implicit-def: $sgpr19
	s_branch .LBB0_74
.LBB0_72:                               ;   in Loop: Header=BB0_28 Depth=1
	v_mov_b32_e32 v20, 0
	v_mov_b32_e32 v21, 0
.LBB0_73:                               ;   in Loop: Header=BB0_28 Depth=1
	s_mov_b32 s19, 0
	s_cbranch_execnz .LBB0_75
.LBB0_74:                               ;   in Loop: Header=BB0_28 Depth=1
	global_load_dwordx2 v[20:21], v28, s[4:5]
	s_add_i32 s19, s18, -8
	s_add_u32 s4, s4, 8
	s_addc_u32 s5, s5, 0
.LBB0_75:                               ;   in Loop: Header=BB0_28 Depth=1
	s_cmp_gt_u32 s19, 7
	s_cbranch_scc1 .LBB0_79
; %bb.76:                               ;   in Loop: Header=BB0_28 Depth=1
	s_cmp_eq_u32 s19, 0
	s_cbranch_scc1 .LBB0_80
; %bb.77:                               ;   in Loop: Header=BB0_28 Depth=1
	v_mov_b32_e32 v22, 0
	s_mov_b64 s[14:15], 0
	v_mov_b32_e32 v23, 0
	s_mov_b64 s[16:17], s[4:5]
.LBB0_78:                               ;   Parent Loop BB0_28 Depth=1
                                        ; =>  This Inner Loop Header: Depth=2
	global_load_ubyte v8, v28, s[16:17]
	s_add_i32 s19, s19, -1
	s_waitcnt vmcnt(0)
	v_and_b32_e32 v27, 0xffff, v8
	v_lshlrev_b64 v[8:9], s14, v[27:28]
	s_add_u32 s14, s14, 8
	s_addc_u32 s15, s15, 0
	s_add_u32 s16, s16, 1
	s_addc_u32 s17, s17, 0
	v_or_b32_e32 v22, v8, v22
	s_cmp_lg_u32 s19, 0
	v_or_b32_e32 v23, v9, v23
	s_cbranch_scc1 .LBB0_78
	s_branch .LBB0_81
.LBB0_79:                               ;   in Loop: Header=BB0_28 Depth=1
	s_branch .LBB0_82
.LBB0_80:                               ;   in Loop: Header=BB0_28 Depth=1
	v_mov_b32_e32 v22, 0
	v_mov_b32_e32 v23, 0
.LBB0_81:                               ;   in Loop: Header=BB0_28 Depth=1
	s_cbranch_execnz .LBB0_83
.LBB0_82:                               ;   in Loop: Header=BB0_28 Depth=1
	global_load_dwordx2 v[22:23], v28, s[4:5]
.LBB0_83:                               ;   in Loop: Header=BB0_28 Depth=1
	v_readfirstlane_b32 s4, v35
	v_mov_b32_e32 v8, 0
	v_mov_b32_e32 v9, 0
	v_cmp_eq_u32_e64 s[4:5], s4, v35
	s_and_saveexec_b64 s[14:15], s[4:5]
	s_cbranch_execz .LBB0_89
; %bb.84:                               ;   in Loop: Header=BB0_28 Depth=1
	global_load_dwordx2 v[26:27], v28, s[6:7] offset:24 glc
	s_waitcnt vmcnt(0)
	buffer_wbinvl1_vol
	global_load_dwordx2 v[8:9], v28, s[6:7] offset:40
	global_load_dwordx2 v[24:25], v28, s[6:7]
	s_waitcnt vmcnt(1)
	v_and_b32_e32 v8, v8, v26
	v_and_b32_e32 v9, v9, v27
	v_mul_lo_u32 v9, v9, 24
	v_mul_hi_u32 v29, v8, 24
	v_mul_lo_u32 v8, v8, 24
	v_add_u32_e32 v9, v29, v9
	s_waitcnt vmcnt(0)
	v_add_co_u32_e32 v8, vcc, v24, v8
	v_addc_co_u32_e32 v9, vcc, v25, v9, vcc
	global_load_dwordx2 v[24:25], v[8:9], off glc
	s_waitcnt vmcnt(0)
	global_atomic_cmpswap_x2 v[8:9], v28, v[24:27], s[6:7] offset:24 glc
	s_waitcnt vmcnt(0)
	buffer_wbinvl1_vol
	v_cmp_ne_u64_e32 vcc, v[8:9], v[26:27]
	s_and_saveexec_b64 s[16:17], vcc
	s_cbranch_execz .LBB0_88
; %bb.85:                               ;   in Loop: Header=BB0_28 Depth=1
	s_mov_b64 s[18:19], 0
.LBB0_86:                               ;   Parent Loop BB0_28 Depth=1
                                        ; =>  This Inner Loop Header: Depth=2
	s_sleep 1
	global_load_dwordx2 v[24:25], v28, s[6:7] offset:40
	global_load_dwordx2 v[29:30], v28, s[6:7]
	v_mov_b32_e32 v27, v9
	v_mov_b32_e32 v26, v8
	s_waitcnt vmcnt(1)
	v_and_b32_e32 v8, v24, v26
	s_waitcnt vmcnt(0)
	v_mad_u64_u32 v[8:9], s[20:21], v8, 24, v[29:30]
	v_and_b32_e32 v24, v25, v27
	v_mad_u64_u32 v[24:25], s[20:21], v24, 24, v[9:10]
	v_mov_b32_e32 v9, v24
	global_load_dwordx2 v[24:25], v[8:9], off glc
	s_waitcnt vmcnt(0)
	global_atomic_cmpswap_x2 v[8:9], v28, v[24:27], s[6:7] offset:24 glc
	s_waitcnt vmcnt(0)
	buffer_wbinvl1_vol
	v_cmp_eq_u64_e32 vcc, v[8:9], v[26:27]
	s_or_b64 s[18:19], vcc, s[18:19]
	s_andn2_b64 exec, exec, s[18:19]
	s_cbranch_execnz .LBB0_86
; %bb.87:                               ;   in Loop: Header=BB0_28 Depth=1
	s_or_b64 exec, exec, s[18:19]
.LBB0_88:                               ;   in Loop: Header=BB0_28 Depth=1
	s_or_b64 exec, exec, s[16:17]
.LBB0_89:                               ;   in Loop: Header=BB0_28 Depth=1
	s_or_b64 exec, exec, s[14:15]
	global_load_dwordx2 v[29:30], v28, s[6:7] offset:40
	global_load_dwordx4 v[24:27], v28, s[6:7]
	v_readfirstlane_b32 s14, v8
	v_readfirstlane_b32 s15, v9
	s_mov_b64 s[16:17], exec
	s_waitcnt vmcnt(1)
	v_readfirstlane_b32 s18, v29
	v_readfirstlane_b32 s19, v30
	s_and_b64 s[18:19], s[14:15], s[18:19]
	s_mul_i32 s20, s19, 24
	s_mul_hi_u32 s21, s18, 24
	s_mul_i32 s22, s18, 24
	s_add_i32 s20, s21, s20
	v_mov_b32_e32 v8, s20
	s_waitcnt vmcnt(0)
	v_add_co_u32_e32 v29, vcc, s22, v24
	v_addc_co_u32_e32 v30, vcc, v25, v8, vcc
	s_and_saveexec_b64 s[20:21], s[4:5]
	s_cbranch_execz .LBB0_91
; %bb.90:                               ;   in Loop: Header=BB0_28 Depth=1
	v_mov_b32_e32 v8, s16
	v_mov_b32_e32 v9, s17
	global_store_dwordx4 v[29:30], v[8:11], off offset:8
.LBB0_91:                               ;   in Loop: Header=BB0_28 Depth=1
	s_or_b64 exec, exec, s[20:21]
	s_lshl_b64 s[16:17], s[18:19], 12
	v_mov_b32_e32 v8, s17
	v_add_co_u32_e32 v26, vcc, s16, v26
	v_addc_co_u32_e32 v32, vcc, v27, v8, vcc
	v_cmp_gt_u64_e64 vcc, s[10:11], 56
	v_or_b32_e32 v9, v2, v31
	s_lshl_b32 s16, s12, 2
	v_cndmask_b32_e32 v2, v9, v2, vcc
	s_add_i32 s16, s16, 28
	v_or_b32_e32 v8, 0, v3
	s_and_b32 s16, s16, 0x1e0
	v_and_b32_e32 v2, 0xffffff1f, v2
	v_cndmask_b32_e32 v3, v8, v3, vcc
	v_or_b32_e32 v2, s16, v2
	v_readfirstlane_b32 s16, v26
	v_readfirstlane_b32 s17, v32
	s_nop 4
	global_store_dwordx4 v34, v[2:5], s[16:17]
	global_store_dwordx4 v34, v[12:15], s[16:17] offset:16
	global_store_dwordx4 v34, v[16:19], s[16:17] offset:32
	;; [unrolled: 1-line block ×3, first 2 shown]
	s_and_saveexec_b64 s[16:17], s[4:5]
	s_cbranch_execz .LBB0_99
; %bb.92:                               ;   in Loop: Header=BB0_28 Depth=1
	global_load_dwordx2 v[14:15], v28, s[6:7] offset:32 glc
	global_load_dwordx2 v[2:3], v28, s[6:7] offset:40
	v_mov_b32_e32 v12, s14
	v_mov_b32_e32 v13, s15
	s_waitcnt vmcnt(0)
	v_readfirstlane_b32 s18, v2
	v_readfirstlane_b32 s19, v3
	s_and_b64 s[18:19], s[18:19], s[14:15]
	s_mul_i32 s19, s19, 24
	s_mul_hi_u32 s20, s18, 24
	s_mul_i32 s18, s18, 24
	s_add_i32 s19, s20, s19
	v_mov_b32_e32 v2, s19
	v_add_co_u32_e32 v8, vcc, s18, v24
	v_addc_co_u32_e32 v9, vcc, v25, v2, vcc
	global_store_dwordx2 v[8:9], v[14:15], off
	s_waitcnt vmcnt(0)
	global_atomic_cmpswap_x2 v[4:5], v28, v[12:15], s[6:7] offset:32 glc
	s_waitcnt vmcnt(0)
	v_cmp_ne_u64_e32 vcc, v[4:5], v[14:15]
	s_and_saveexec_b64 s[18:19], vcc
	s_cbranch_execz .LBB0_95
; %bb.93:                               ;   in Loop: Header=BB0_28 Depth=1
	s_mov_b64 s[20:21], 0
.LBB0_94:                               ;   Parent Loop BB0_28 Depth=1
                                        ; =>  This Inner Loop Header: Depth=2
	s_sleep 1
	global_store_dwordx2 v[8:9], v[4:5], off
	v_mov_b32_e32 v2, s14
	v_mov_b32_e32 v3, s15
	s_waitcnt vmcnt(0)
	global_atomic_cmpswap_x2 v[2:3], v28, v[2:5], s[6:7] offset:32 glc
	s_waitcnt vmcnt(0)
	v_cmp_eq_u64_e32 vcc, v[2:3], v[4:5]
	v_mov_b32_e32 v5, v3
	s_or_b64 s[20:21], vcc, s[20:21]
	v_mov_b32_e32 v4, v2
	s_andn2_b64 exec, exec, s[20:21]
	s_cbranch_execnz .LBB0_94
.LBB0_95:                               ;   in Loop: Header=BB0_28 Depth=1
	s_or_b64 exec, exec, s[18:19]
	global_load_dwordx2 v[2:3], v28, s[6:7] offset:16
	s_mov_b64 s[20:21], exec
	v_mbcnt_lo_u32_b32 v4, s20, 0
	v_mbcnt_hi_u32_b32 v4, s21, v4
	v_cmp_eq_u32_e32 vcc, 0, v4
	s_and_saveexec_b64 s[18:19], vcc
	s_cbranch_execz .LBB0_97
; %bb.96:                               ;   in Loop: Header=BB0_28 Depth=1
	s_bcnt1_i32_b64 s20, s[20:21]
	v_mov_b32_e32 v27, s20
	s_waitcnt vmcnt(0)
	global_atomic_add_x2 v[2:3], v[27:28], off offset:8
.LBB0_97:                               ;   in Loop: Header=BB0_28 Depth=1
	s_or_b64 exec, exec, s[18:19]
	s_waitcnt vmcnt(0)
	global_load_dwordx2 v[4:5], v[2:3], off offset:16
	s_waitcnt vmcnt(0)
	v_cmp_eq_u64_e32 vcc, 0, v[4:5]
	s_cbranch_vccnz .LBB0_99
; %bb.98:                               ;   in Loop: Header=BB0_28 Depth=1
	global_load_dword v27, v[2:3], off offset:24
	s_waitcnt vmcnt(0)
	v_and_b32_e32 v2, 0xffffff, v27
	v_readfirstlane_b32 m0, v2
	global_store_dwordx2 v[4:5], v[27:28], off
	s_sendmsg sendmsg(MSG_INTERRUPT)
.LBB0_99:                               ;   in Loop: Header=BB0_28 Depth=1
	s_or_b64 exec, exec, s[16:17]
	v_add_co_u32_e32 v2, vcc, v26, v34
	v_addc_co_u32_e32 v3, vcc, 0, v32, vcc
	s_branch .LBB0_103
.LBB0_100:                              ;   in Loop: Header=BB0_103 Depth=2
	s_or_b64 exec, exec, s[16:17]
	v_readfirstlane_b32 s16, v4
	s_cmp_eq_u32 s16, 0
	s_cbranch_scc1 .LBB0_102
; %bb.101:                              ;   in Loop: Header=BB0_103 Depth=2
	s_sleep 1
	s_cbranch_execnz .LBB0_103
	s_branch .LBB0_105
.LBB0_102:                              ;   in Loop: Header=BB0_28 Depth=1
	s_branch .LBB0_105
.LBB0_103:                              ;   Parent Loop BB0_28 Depth=1
                                        ; =>  This Inner Loop Header: Depth=2
	v_mov_b32_e32 v4, 1
	s_and_saveexec_b64 s[16:17], s[4:5]
	s_cbranch_execz .LBB0_100
; %bb.104:                              ;   in Loop: Header=BB0_103 Depth=2
	global_load_dword v4, v[29:30], off offset:20 glc
	s_waitcnt vmcnt(0)
	buffer_wbinvl1_vol
	v_and_b32_e32 v4, 1, v4
	s_branch .LBB0_100
.LBB0_105:                              ;   in Loop: Header=BB0_28 Depth=1
	global_load_dwordx4 v[2:5], v[2:3], off
	s_and_saveexec_b64 s[16:17], s[4:5]
	s_cbranch_execz .LBB0_27
; %bb.106:                              ;   in Loop: Header=BB0_28 Depth=1
	global_load_dwordx2 v[4:5], v28, s[6:7] offset:40
	global_load_dwordx2 v[8:9], v28, s[6:7] offset:24 glc
	global_load_dwordx2 v[15:16], v28, s[6:7]
	v_mov_b32_e32 v13, s15
	s_waitcnt vmcnt(2)
	v_add_co_u32_e32 v14, vcc, 1, v4
	v_addc_co_u32_e32 v17, vcc, 0, v5, vcc
	v_add_co_u32_e32 v12, vcc, s14, v14
	v_addc_co_u32_e32 v13, vcc, v17, v13, vcc
	v_cmp_eq_u64_e32 vcc, 0, v[12:13]
	v_cndmask_b32_e32 v13, v13, v17, vcc
	v_cndmask_b32_e32 v12, v12, v14, vcc
	v_and_b32_e32 v5, v13, v5
	v_and_b32_e32 v4, v12, v4
	v_mul_lo_u32 v5, v5, 24
	v_mul_hi_u32 v17, v4, 24
	v_mul_lo_u32 v4, v4, 24
	s_waitcnt vmcnt(1)
	v_mov_b32_e32 v14, v8
	v_add_u32_e32 v5, v17, v5
	s_waitcnt vmcnt(0)
	v_add_co_u32_e32 v4, vcc, v15, v4
	v_addc_co_u32_e32 v5, vcc, v16, v5, vcc
	global_store_dwordx2 v[4:5], v[8:9], off
	v_mov_b32_e32 v15, v9
	s_waitcnt vmcnt(0)
	global_atomic_cmpswap_x2 v[14:15], v28, v[12:15], s[6:7] offset:24 glc
	s_waitcnt vmcnt(0)
	v_cmp_ne_u64_e32 vcc, v[14:15], v[8:9]
	s_and_b64 exec, exec, vcc
	s_cbranch_execz .LBB0_27
; %bb.107:                              ;   in Loop: Header=BB0_28 Depth=1
	s_mov_b64 s[4:5], 0
.LBB0_108:                              ;   Parent Loop BB0_28 Depth=1
                                        ; =>  This Inner Loop Header: Depth=2
	s_sleep 1
	global_store_dwordx2 v[4:5], v[14:15], off
	s_waitcnt vmcnt(0)
	global_atomic_cmpswap_x2 v[8:9], v28, v[12:15], s[6:7] offset:24 glc
	s_waitcnt vmcnt(0)
	v_cmp_eq_u64_e32 vcc, v[8:9], v[14:15]
	v_mov_b32_e32 v15, v9
	s_or_b64 s[4:5], vcc, s[4:5]
	v_mov_b32_e32 v14, v8
	s_andn2_b64 exec, exec, s[4:5]
	s_cbranch_execnz .LBB0_108
	s_branch .LBB0_27
.LBB0_109:
	s_branch .LBB0_137
.LBB0_110:
                                        ; implicit-def: $vgpr2_vgpr3
	s_cbranch_execz .LBB0_137
; %bb.111:
	v_readfirstlane_b32 s4, v35
	v_mov_b32_e32 v9, 0
	v_mov_b32_e32 v10, 0
	v_cmp_eq_u32_e64 s[4:5], s4, v35
	s_and_saveexec_b64 s[8:9], s[4:5]
	s_cbranch_execz .LBB0_117
; %bb.112:
	s_waitcnt vmcnt(0)
	v_mov_b32_e32 v2, 0
	global_load_dwordx2 v[11:12], v2, s[6:7] offset:24 glc
	s_waitcnt vmcnt(0)
	buffer_wbinvl1_vol
	global_load_dwordx2 v[3:4], v2, s[6:7] offset:40
	global_load_dwordx2 v[8:9], v2, s[6:7]
	s_waitcnt vmcnt(1)
	v_and_b32_e32 v3, v3, v11
	v_and_b32_e32 v4, v4, v12
	v_mul_lo_u32 v4, v4, 24
	v_mul_hi_u32 v5, v3, 24
	v_mul_lo_u32 v3, v3, 24
	v_add_u32_e32 v4, v5, v4
	s_waitcnt vmcnt(0)
	v_add_co_u32_e32 v3, vcc, v8, v3
	v_addc_co_u32_e32 v4, vcc, v9, v4, vcc
	global_load_dwordx2 v[9:10], v[3:4], off glc
	s_waitcnt vmcnt(0)
	global_atomic_cmpswap_x2 v[9:10], v2, v[9:12], s[6:7] offset:24 glc
	s_waitcnt vmcnt(0)
	buffer_wbinvl1_vol
	v_cmp_ne_u64_e32 vcc, v[9:10], v[11:12]
	s_and_saveexec_b64 s[10:11], vcc
	s_cbranch_execz .LBB0_116
; %bb.113:
	s_mov_b64 s[12:13], 0
.LBB0_114:                              ; =>This Inner Loop Header: Depth=1
	s_sleep 1
	global_load_dwordx2 v[3:4], v2, s[6:7] offset:40
	global_load_dwordx2 v[13:14], v2, s[6:7]
	v_mov_b32_e32 v12, v10
	v_mov_b32_e32 v11, v9
	s_waitcnt vmcnt(1)
	v_and_b32_e32 v3, v3, v11
	s_waitcnt vmcnt(0)
	v_mad_u64_u32 v[8:9], s[14:15], v3, 24, v[13:14]
	v_and_b32_e32 v4, v4, v12
	v_mov_b32_e32 v3, v9
	v_mad_u64_u32 v[3:4], s[14:15], v4, 24, v[3:4]
	v_mov_b32_e32 v9, v3
	global_load_dwordx2 v[9:10], v[8:9], off glc
	s_waitcnt vmcnt(0)
	global_atomic_cmpswap_x2 v[9:10], v2, v[9:12], s[6:7] offset:24 glc
	s_waitcnt vmcnt(0)
	buffer_wbinvl1_vol
	v_cmp_eq_u64_e32 vcc, v[9:10], v[11:12]
	s_or_b64 s[12:13], vcc, s[12:13]
	s_andn2_b64 exec, exec, s[12:13]
	s_cbranch_execnz .LBB0_114
; %bb.115:
	s_or_b64 exec, exec, s[12:13]
.LBB0_116:
	s_or_b64 exec, exec, s[10:11]
.LBB0_117:
	s_or_b64 exec, exec, s[8:9]
	v_mov_b32_e32 v8, 0
	global_load_dwordx2 v[11:12], v8, s[6:7] offset:40
	global_load_dwordx4 v[2:5], v8, s[6:7]
	v_readfirstlane_b32 s8, v9
	v_readfirstlane_b32 s9, v10
	s_mov_b64 s[10:11], exec
	s_waitcnt vmcnt(1)
	v_readfirstlane_b32 s12, v11
	v_readfirstlane_b32 s13, v12
	s_and_b64 s[12:13], s[8:9], s[12:13]
	s_mul_i32 s14, s13, 24
	s_mul_hi_u32 s15, s12, 24
	s_mul_i32 s16, s12, 24
	s_add_i32 s14, s15, s14
	v_mov_b32_e32 v9, s14
	s_waitcnt vmcnt(0)
	v_add_co_u32_e32 v10, vcc, s16, v2
	v_addc_co_u32_e32 v11, vcc, v3, v9, vcc
	s_and_saveexec_b64 s[14:15], s[4:5]
	s_cbranch_execz .LBB0_119
; %bb.118:
	v_mov_b32_e32 v13, s11
	v_mov_b32_e32 v12, s10
	;; [unrolled: 1-line block ×4, first 2 shown]
	global_store_dwordx4 v[10:11], v[12:15], off offset:8
.LBB0_119:
	s_or_b64 exec, exec, s[14:15]
	s_lshl_b64 s[10:11], s[12:13], 12
	v_mov_b32_e32 v9, s11
	v_add_co_u32_e32 v4, vcc, s10, v4
	v_addc_co_u32_e32 v5, vcc, v5, v9, vcc
	s_movk_i32 s10, 0xff1f
	v_and_or_b32 v6, v6, s10, 32
	v_add_co_u32_e32 v12, vcc, v4, v34
	s_mov_b32 s12, 0
	v_mov_b32_e32 v9, v8
	v_readfirstlane_b32 s10, v4
	v_readfirstlane_b32 s11, v5
	v_addc_co_u32_e32 v13, vcc, 0, v5, vcc
	s_mov_b32 s13, s12
	s_mov_b32 s14, s12
	;; [unrolled: 1-line block ×3, first 2 shown]
	s_nop 0
	global_store_dwordx4 v34, v[6:9], s[10:11]
	v_mov_b32_e32 v4, s12
	v_mov_b32_e32 v5, s13
	v_mov_b32_e32 v6, s14
	v_mov_b32_e32 v7, s15
	global_store_dwordx4 v34, v[4:7], s[10:11] offset:16
	global_store_dwordx4 v34, v[4:7], s[10:11] offset:32
	;; [unrolled: 1-line block ×3, first 2 shown]
	s_and_saveexec_b64 s[10:11], s[4:5]
	s_cbranch_execz .LBB0_127
; %bb.120:
	v_mov_b32_e32 v8, 0
	global_load_dwordx2 v[16:17], v8, s[6:7] offset:32 glc
	global_load_dwordx2 v[4:5], v8, s[6:7] offset:40
	v_mov_b32_e32 v14, s8
	v_mov_b32_e32 v15, s9
	s_waitcnt vmcnt(0)
	v_readfirstlane_b32 s12, v4
	v_readfirstlane_b32 s13, v5
	s_and_b64 s[12:13], s[12:13], s[8:9]
	s_mul_i32 s13, s13, 24
	s_mul_hi_u32 s14, s12, 24
	s_mul_i32 s12, s12, 24
	s_add_i32 s13, s14, s13
	v_mov_b32_e32 v4, s13
	v_add_co_u32_e32 v6, vcc, s12, v2
	v_addc_co_u32_e32 v7, vcc, v3, v4, vcc
	global_store_dwordx2 v[6:7], v[16:17], off
	s_waitcnt vmcnt(0)
	global_atomic_cmpswap_x2 v[4:5], v8, v[14:17], s[6:7] offset:32 glc
	s_waitcnt vmcnt(0)
	v_cmp_ne_u64_e32 vcc, v[4:5], v[16:17]
	s_and_saveexec_b64 s[12:13], vcc
	s_cbranch_execz .LBB0_123
; %bb.121:
	s_mov_b64 s[14:15], 0
.LBB0_122:                              ; =>This Inner Loop Header: Depth=1
	s_sleep 1
	global_store_dwordx2 v[6:7], v[4:5], off
	v_mov_b32_e32 v2, s8
	v_mov_b32_e32 v3, s9
	s_waitcnt vmcnt(0)
	global_atomic_cmpswap_x2 v[2:3], v8, v[2:5], s[6:7] offset:32 glc
	s_waitcnt vmcnt(0)
	v_cmp_eq_u64_e32 vcc, v[2:3], v[4:5]
	v_mov_b32_e32 v5, v3
	s_or_b64 s[14:15], vcc, s[14:15]
	v_mov_b32_e32 v4, v2
	s_andn2_b64 exec, exec, s[14:15]
	s_cbranch_execnz .LBB0_122
.LBB0_123:
	s_or_b64 exec, exec, s[12:13]
	v_mov_b32_e32 v5, 0
	global_load_dwordx2 v[2:3], v5, s[6:7] offset:16
	s_mov_b64 s[12:13], exec
	v_mbcnt_lo_u32_b32 v4, s12, 0
	v_mbcnt_hi_u32_b32 v4, s13, v4
	v_cmp_eq_u32_e32 vcc, 0, v4
	s_and_saveexec_b64 s[14:15], vcc
	s_cbranch_execz .LBB0_125
; %bb.124:
	s_bcnt1_i32_b64 s12, s[12:13]
	v_mov_b32_e32 v4, s12
	s_waitcnt vmcnt(0)
	global_atomic_add_x2 v[2:3], v[4:5], off offset:8
.LBB0_125:
	s_or_b64 exec, exec, s[14:15]
	s_waitcnt vmcnt(0)
	global_load_dwordx2 v[4:5], v[2:3], off offset:16
	s_waitcnt vmcnt(0)
	v_cmp_eq_u64_e32 vcc, 0, v[4:5]
	s_cbranch_vccnz .LBB0_127
; %bb.126:
	global_load_dword v2, v[2:3], off offset:24
	v_mov_b32_e32 v3, 0
	s_waitcnt vmcnt(0)
	global_store_dwordx2 v[4:5], v[2:3], off
	v_and_b32_e32 v2, 0xffffff, v2
	v_readfirstlane_b32 m0, v2
	s_sendmsg sendmsg(MSG_INTERRUPT)
.LBB0_127:
	s_or_b64 exec, exec, s[10:11]
	s_branch .LBB0_131
.LBB0_128:                              ;   in Loop: Header=BB0_131 Depth=1
	s_or_b64 exec, exec, s[10:11]
	v_readfirstlane_b32 s10, v2
	s_cmp_eq_u32 s10, 0
	s_cbranch_scc1 .LBB0_130
; %bb.129:                              ;   in Loop: Header=BB0_131 Depth=1
	s_sleep 1
	s_cbranch_execnz .LBB0_131
	s_branch .LBB0_133
.LBB0_130:
	s_branch .LBB0_133
.LBB0_131:                              ; =>This Inner Loop Header: Depth=1
	v_mov_b32_e32 v2, 1
	s_and_saveexec_b64 s[10:11], s[4:5]
	s_cbranch_execz .LBB0_128
; %bb.132:                              ;   in Loop: Header=BB0_131 Depth=1
	global_load_dword v2, v[10:11], off offset:20 glc
	s_waitcnt vmcnt(0)
	buffer_wbinvl1_vol
	v_and_b32_e32 v2, 1, v2
	s_branch .LBB0_128
.LBB0_133:
	global_load_dwordx2 v[2:3], v[12:13], off
	s_and_saveexec_b64 s[10:11], s[4:5]
	s_cbranch_execz .LBB0_136
; %bb.134:
	v_mov_b32_e32 v10, 0
	global_load_dwordx2 v[6:7], v10, s[6:7] offset:40
	global_load_dwordx2 v[11:12], v10, s[6:7] offset:24 glc
	global_load_dwordx2 v[8:9], v10, s[6:7]
	v_mov_b32_e32 v5, s9
	s_mov_b64 s[4:5], 0
	s_waitcnt vmcnt(2)
	v_add_co_u32_e32 v13, vcc, 1, v6
	v_addc_co_u32_e32 v14, vcc, 0, v7, vcc
	v_add_co_u32_e32 v4, vcc, s8, v13
	v_addc_co_u32_e32 v5, vcc, v14, v5, vcc
	v_cmp_eq_u64_e32 vcc, 0, v[4:5]
	v_cndmask_b32_e32 v5, v5, v14, vcc
	v_cndmask_b32_e32 v4, v4, v13, vcc
	v_and_b32_e32 v7, v5, v7
	v_and_b32_e32 v6, v4, v6
	v_mul_lo_u32 v7, v7, 24
	v_mul_hi_u32 v13, v6, 24
	v_mul_lo_u32 v14, v6, 24
	s_waitcnt vmcnt(1)
	v_mov_b32_e32 v6, v11
	v_add_u32_e32 v7, v13, v7
	s_waitcnt vmcnt(0)
	v_add_co_u32_e32 v8, vcc, v8, v14
	v_addc_co_u32_e32 v9, vcc, v9, v7, vcc
	global_store_dwordx2 v[8:9], v[11:12], off
	v_mov_b32_e32 v7, v12
	s_waitcnt vmcnt(0)
	global_atomic_cmpswap_x2 v[6:7], v10, v[4:7], s[6:7] offset:24 glc
	s_waitcnt vmcnt(0)
	v_cmp_ne_u64_e32 vcc, v[6:7], v[11:12]
	s_and_b64 exec, exec, vcc
	s_cbranch_execz .LBB0_136
.LBB0_135:                              ; =>This Inner Loop Header: Depth=1
	s_sleep 1
	global_store_dwordx2 v[8:9], v[6:7], off
	s_waitcnt vmcnt(0)
	global_atomic_cmpswap_x2 v[11:12], v10, v[4:7], s[6:7] offset:24 glc
	s_waitcnt vmcnt(0)
	v_cmp_eq_u64_e32 vcc, v[11:12], v[6:7]
	v_mov_b32_e32 v6, v11
	s_or_b64 s[4:5], vcc, s[4:5]
	v_mov_b32_e32 v7, v12
	s_andn2_b64 exec, exec, s[4:5]
	s_cbranch_execnz .LBB0_135
.LBB0_136:
	s_or_b64 exec, exec, s[10:11]
.LBB0_137:
	v_cmp_ne_u64_e32 vcc, 0, v[0:1]
	v_mov_b32_e32 v26, 0
	v_mov_b32_e32 v27, 0
	s_mov_b64 s[10:11], 0
	s_and_saveexec_b64 s[8:9], vcc
	s_cbranch_execnz .LBB0_162
; %bb.138:
	s_or_b64 exec, exec, s[8:9]
	s_and_saveexec_b64 s[4:5], vcc
	s_xor_b64 s[8:9], exec, s[4:5]
	s_cbranch_execnz .LBB0_165
.LBB0_139:
	s_andn2_saveexec_b64 s[8:9], s[8:9]
	s_cbranch_execz .LBB0_254
.LBB0_140:
	v_readfirstlane_b32 s4, v35
	v_mov_b32_e32 v0, 0
	v_mov_b32_e32 v1, 0
	v_cmp_eq_u32_e64 s[4:5], s4, v35
	s_and_saveexec_b64 s[10:11], s[4:5]
	s_cbranch_execz .LBB0_146
; %bb.141:
	s_waitcnt vmcnt(0)
	v_mov_b32_e32 v4, 0
	global_load_dwordx2 v[7:8], v4, s[6:7] offset:24 glc
	s_waitcnt vmcnt(0)
	buffer_wbinvl1_vol
	global_load_dwordx2 v[0:1], v4, s[6:7] offset:40
	global_load_dwordx2 v[5:6], v4, s[6:7]
	s_waitcnt vmcnt(1)
	v_and_b32_e32 v0, v0, v7
	v_and_b32_e32 v1, v1, v8
	v_mul_lo_u32 v1, v1, 24
	v_mul_hi_u32 v9, v0, 24
	v_mul_lo_u32 v0, v0, 24
	v_add_u32_e32 v1, v9, v1
	s_waitcnt vmcnt(0)
	v_add_co_u32_e32 v0, vcc, v5, v0
	v_addc_co_u32_e32 v1, vcc, v6, v1, vcc
	global_load_dwordx2 v[5:6], v[0:1], off glc
	s_waitcnt vmcnt(0)
	global_atomic_cmpswap_x2 v[0:1], v4, v[5:8], s[6:7] offset:24 glc
	s_waitcnt vmcnt(0)
	buffer_wbinvl1_vol
	v_cmp_ne_u64_e32 vcc, v[0:1], v[7:8]
	s_and_saveexec_b64 s[12:13], vcc
	s_cbranch_execz .LBB0_145
; %bb.142:
	s_mov_b64 s[14:15], 0
.LBB0_143:                              ; =>This Inner Loop Header: Depth=1
	s_sleep 1
	global_load_dwordx2 v[5:6], v4, s[6:7] offset:40
	global_load_dwordx2 v[9:10], v4, s[6:7]
	v_mov_b32_e32 v8, v1
	v_mov_b32_e32 v7, v0
	s_waitcnt vmcnt(1)
	v_and_b32_e32 v0, v5, v7
	s_waitcnt vmcnt(0)
	v_mad_u64_u32 v[0:1], s[16:17], v0, 24, v[9:10]
	v_and_b32_e32 v5, v6, v8
	v_mad_u64_u32 v[5:6], s[16:17], v5, 24, v[1:2]
	v_mov_b32_e32 v1, v5
	global_load_dwordx2 v[5:6], v[0:1], off glc
	s_waitcnt vmcnt(0)
	global_atomic_cmpswap_x2 v[0:1], v4, v[5:8], s[6:7] offset:24 glc
	s_waitcnt vmcnt(0)
	buffer_wbinvl1_vol
	v_cmp_eq_u64_e32 vcc, v[0:1], v[7:8]
	s_or_b64 s[14:15], vcc, s[14:15]
	s_andn2_b64 exec, exec, s[14:15]
	s_cbranch_execnz .LBB0_143
; %bb.144:
	s_or_b64 exec, exec, s[14:15]
.LBB0_145:
	s_or_b64 exec, exec, s[12:13]
.LBB0_146:
	s_or_b64 exec, exec, s[10:11]
	s_waitcnt vmcnt(0)
	v_mov_b32_e32 v4, 0
	global_load_dwordx2 v[10:11], v4, s[6:7] offset:40
	global_load_dwordx4 v[6:9], v4, s[6:7]
	v_readfirstlane_b32 s10, v0
	v_readfirstlane_b32 s11, v1
	s_mov_b64 s[12:13], exec
	s_waitcnt vmcnt(1)
	v_readfirstlane_b32 s14, v10
	v_readfirstlane_b32 s15, v11
	s_and_b64 s[14:15], s[10:11], s[14:15]
	s_mul_i32 s16, s15, 24
	s_mul_hi_u32 s17, s14, 24
	s_mul_i32 s18, s14, 24
	s_add_i32 s16, s17, s16
	v_mov_b32_e32 v0, s16
	s_waitcnt vmcnt(0)
	v_add_co_u32_e32 v10, vcc, s18, v6
	v_addc_co_u32_e32 v11, vcc, v7, v0, vcc
	s_and_saveexec_b64 s[16:17], s[4:5]
	s_cbranch_execz .LBB0_148
; %bb.147:
	v_mov_b32_e32 v12, s12
	v_mov_b32_e32 v13, s13
	;; [unrolled: 1-line block ×4, first 2 shown]
	global_store_dwordx4 v[10:11], v[12:15], off offset:8
.LBB0_148:
	s_or_b64 exec, exec, s[16:17]
	s_lshl_b64 s[12:13], s[14:15], 12
	v_mov_b32_e32 v0, s13
	v_add_co_u32_e32 v1, vcc, s12, v8
	v_addc_co_u32_e32 v0, vcc, v9, v0, vcc
	s_movk_i32 s12, 0xff1d
	v_and_or_b32 v2, v2, s12, 34
	s_mov_b32 s12, 0
	v_mov_b32_e32 v5, v4
	v_readfirstlane_b32 s16, v1
	v_readfirstlane_b32 s17, v0
	s_mov_b32 s13, s12
	s_mov_b32 s14, s12
	;; [unrolled: 1-line block ×3, first 2 shown]
	s_nop 1
	global_store_dwordx4 v34, v[2:5], s[16:17]
	v_mov_b32_e32 v0, s12
	v_mov_b32_e32 v1, s13
	;; [unrolled: 1-line block ×4, first 2 shown]
	global_store_dwordx4 v34, v[0:3], s[16:17] offset:16
	global_store_dwordx4 v34, v[0:3], s[16:17] offset:32
	;; [unrolled: 1-line block ×3, first 2 shown]
	s_and_saveexec_b64 s[12:13], s[4:5]
	s_cbranch_execz .LBB0_156
; %bb.149:
	v_mov_b32_e32 v8, 0
	global_load_dwordx2 v[14:15], v8, s[6:7] offset:32 glc
	global_load_dwordx2 v[0:1], v8, s[6:7] offset:40
	v_mov_b32_e32 v12, s10
	v_mov_b32_e32 v13, s11
	s_waitcnt vmcnt(0)
	v_readfirstlane_b32 s14, v0
	v_readfirstlane_b32 s15, v1
	s_and_b64 s[14:15], s[14:15], s[10:11]
	s_mul_i32 s15, s15, 24
	s_mul_hi_u32 s16, s14, 24
	s_mul_i32 s14, s14, 24
	s_add_i32 s15, s16, s15
	v_mov_b32_e32 v0, s15
	v_add_co_u32_e32 v4, vcc, s14, v6
	v_addc_co_u32_e32 v5, vcc, v7, v0, vcc
	global_store_dwordx2 v[4:5], v[14:15], off
	s_waitcnt vmcnt(0)
	global_atomic_cmpswap_x2 v[2:3], v8, v[12:15], s[6:7] offset:32 glc
	s_waitcnt vmcnt(0)
	v_cmp_ne_u64_e32 vcc, v[2:3], v[14:15]
	s_and_saveexec_b64 s[14:15], vcc
	s_cbranch_execz .LBB0_152
; %bb.150:
	s_mov_b64 s[16:17], 0
.LBB0_151:                              ; =>This Inner Loop Header: Depth=1
	s_sleep 1
	global_store_dwordx2 v[4:5], v[2:3], off
	v_mov_b32_e32 v0, s10
	v_mov_b32_e32 v1, s11
	s_waitcnt vmcnt(0)
	global_atomic_cmpswap_x2 v[0:1], v8, v[0:3], s[6:7] offset:32 glc
	s_waitcnt vmcnt(0)
	v_cmp_eq_u64_e32 vcc, v[0:1], v[2:3]
	v_mov_b32_e32 v3, v1
	s_or_b64 s[16:17], vcc, s[16:17]
	v_mov_b32_e32 v2, v0
	s_andn2_b64 exec, exec, s[16:17]
	s_cbranch_execnz .LBB0_151
.LBB0_152:
	s_or_b64 exec, exec, s[14:15]
	v_mov_b32_e32 v3, 0
	global_load_dwordx2 v[0:1], v3, s[6:7] offset:16
	s_mov_b64 s[14:15], exec
	v_mbcnt_lo_u32_b32 v2, s14, 0
	v_mbcnt_hi_u32_b32 v2, s15, v2
	v_cmp_eq_u32_e32 vcc, 0, v2
	s_and_saveexec_b64 s[16:17], vcc
	s_cbranch_execz .LBB0_154
; %bb.153:
	s_bcnt1_i32_b64 s14, s[14:15]
	v_mov_b32_e32 v2, s14
	s_waitcnt vmcnt(0)
	global_atomic_add_x2 v[0:1], v[2:3], off offset:8
.LBB0_154:
	s_or_b64 exec, exec, s[16:17]
	s_waitcnt vmcnt(0)
	global_load_dwordx2 v[2:3], v[0:1], off offset:16
	s_waitcnt vmcnt(0)
	v_cmp_eq_u64_e32 vcc, 0, v[2:3]
	s_cbranch_vccnz .LBB0_156
; %bb.155:
	global_load_dword v0, v[0:1], off offset:24
	v_mov_b32_e32 v1, 0
	s_waitcnt vmcnt(0)
	global_store_dwordx2 v[2:3], v[0:1], off
	v_and_b32_e32 v0, 0xffffff, v0
	v_readfirstlane_b32 m0, v0
	s_sendmsg sendmsg(MSG_INTERRUPT)
.LBB0_156:
	s_or_b64 exec, exec, s[12:13]
	s_branch .LBB0_160
.LBB0_157:                              ;   in Loop: Header=BB0_160 Depth=1
	s_or_b64 exec, exec, s[12:13]
	v_readfirstlane_b32 s12, v0
	s_cmp_eq_u32 s12, 0
	s_cbranch_scc1 .LBB0_159
; %bb.158:                              ;   in Loop: Header=BB0_160 Depth=1
	s_sleep 1
	s_cbranch_execnz .LBB0_160
	s_branch .LBB0_249
.LBB0_159:
	s_branch .LBB0_249
.LBB0_160:                              ; =>This Inner Loop Header: Depth=1
	v_mov_b32_e32 v0, 1
	s_and_saveexec_b64 s[12:13], s[4:5]
	s_cbranch_execz .LBB0_157
; %bb.161:                              ;   in Loop: Header=BB0_160 Depth=1
	global_load_dword v0, v[10:11], off offset:20 glc
	s_waitcnt vmcnt(0)
	buffer_wbinvl1_vol
	v_and_b32_e32 v0, 1, v0
	s_branch .LBB0_157
.LBB0_162:
	s_waitcnt vmcnt(0)
	v_add_co_u32_e64 v4, s[4:5], -1, v0
	v_addc_co_u32_e64 v5, s[4:5], -1, v1, s[4:5]
.LBB0_163:                              ; =>This Inner Loop Header: Depth=1
	flat_load_ubyte v8, v[4:5] offset:1
	v_add_co_u32_e64 v6, s[4:5], 1, v4
	v_addc_co_u32_e64 v7, s[4:5], 0, v5, s[4:5]
	v_mov_b32_e32 v4, v6
	v_mov_b32_e32 v5, v7
	s_waitcnt vmcnt(0) lgkmcnt(0)
	v_cmp_eq_u16_e64 s[4:5], 0, v8
	s_or_b64 s[10:11], s[4:5], s[10:11]
	s_andn2_b64 exec, exec, s[10:11]
	s_cbranch_execnz .LBB0_163
; %bb.164:
	s_or_b64 exec, exec, s[10:11]
	v_sub_co_u32_e64 v4, s[4:5], v6, v0
	v_subb_co_u32_e64 v5, s[4:5], v7, v1, s[4:5]
	v_add_co_u32_e64 v26, s[4:5], 1, v4
	v_addc_co_u32_e64 v27, s[4:5], 0, v5, s[4:5]
	s_or_b64 exec, exec, s[8:9]
	s_and_saveexec_b64 s[4:5], vcc
	s_xor_b64 s[8:9], exec, s[4:5]
	s_cbranch_execz .LBB0_139
.LBB0_165:
	s_waitcnt vmcnt(0)
	v_and_b32_e32 v2, -3, v2
	s_mov_b64 s[10:11], 0
	s_mov_b32 s20, 0
	v_mov_b32_e32 v29, 0
	s_movk_i32 s21, 0xff1f
	v_mov_b32_e32 v8, 2
	v_mov_b32_e32 v9, 1
	s_branch .LBB0_167
.LBB0_166:                              ;   in Loop: Header=BB0_167 Depth=1
	s_or_b64 exec, exec, s[14:15]
	v_sub_co_u32_e32 v26, vcc, v26, v30
	v_subb_co_u32_e32 v27, vcc, v27, v31, vcc
	v_cmp_eq_u64_e32 vcc, 0, v[26:27]
	s_or_b64 s[10:11], vcc, s[10:11]
	v_add_co_u32_e32 v0, vcc, v0, v30
	v_addc_co_u32_e32 v1, vcc, v1, v31, vcc
	s_andn2_b64 exec, exec, s[10:11]
	s_cbranch_execz .LBB0_253
.LBB0_167:                              ; =>This Loop Header: Depth=1
                                        ;     Child Loop BB0_170 Depth 2
                                        ;     Child Loop BB0_178 Depth 2
	;; [unrolled: 1-line block ×11, first 2 shown]
	v_cmp_gt_u64_e32 vcc, 56, v[26:27]
	v_cmp_gt_u64_e64 s[4:5], 8, v[26:27]
	v_cndmask_b32_e32 v31, 0, v27, vcc
	v_cndmask_b32_e32 v30, 56, v26, vcc
                                        ; implicit-def: $sgpr12
	s_and_saveexec_b64 s[14:15], s[4:5]
	s_xor_b64 s[4:5], exec, s[14:15]
	s_cbranch_execz .LBB0_173
; %bb.168:                              ;   in Loop: Header=BB0_167 Depth=1
	v_cmp_ne_u64_e32 vcc, 0, v[26:27]
	s_waitcnt vmcnt(0)
	v_mov_b32_e32 v4, 0
	v_mov_b32_e32 v5, 0
	s_mov_b64 s[14:15], 0
	s_and_saveexec_b64 s[12:13], vcc
	s_cbranch_execz .LBB0_172
; %bb.169:                              ;   in Loop: Header=BB0_167 Depth=1
	v_lshlrev_b64 v[6:7], 3, v[30:31]
	v_mov_b32_e32 v4, 0
	v_mov_b32_e32 v11, v1
	;; [unrolled: 1-line block ×4, first 2 shown]
	s_mov_b64 s[16:17], 0
.LBB0_170:                              ;   Parent Loop BB0_167 Depth=1
                                        ; =>  This Inner Loop Header: Depth=2
	flat_load_ubyte v7, v[10:11]
	v_mov_b32_e32 v13, s20
	v_add_co_u32_e32 v10, vcc, 1, v10
	v_addc_co_u32_e32 v11, vcc, 0, v11, vcc
	s_waitcnt vmcnt(0) lgkmcnt(0)
	v_and_b32_e32 v12, 0xffff, v7
	v_lshlrev_b64 v[12:13], s16, v[12:13]
	s_add_u32 s16, s16, 8
	s_addc_u32 s17, s17, 0
	v_cmp_eq_u32_e32 vcc, s16, v6
	v_or_b32_e32 v5, v13, v5
	s_or_b64 s[14:15], vcc, s[14:15]
	v_or_b32_e32 v4, v12, v4
	s_andn2_b64 exec, exec, s[14:15]
	s_cbranch_execnz .LBB0_170
; %bb.171:                              ;   in Loop: Header=BB0_167 Depth=1
	s_or_b64 exec, exec, s[14:15]
.LBB0_172:                              ;   in Loop: Header=BB0_167 Depth=1
	s_or_b64 exec, exec, s[12:13]
	s_mov_b32 s12, 0
.LBB0_173:                              ;   in Loop: Header=BB0_167 Depth=1
	s_or_saveexec_b64 s[4:5], s[4:5]
	v_mov_b32_e32 v7, v1
	v_mov_b32_e32 v12, s12
	;; [unrolled: 1-line block ×3, first 2 shown]
	s_xor_b64 exec, exec, s[4:5]
	s_cbranch_execz .LBB0_175
; %bb.174:                              ;   in Loop: Header=BB0_167 Depth=1
	s_waitcnt vmcnt(0)
	flat_load_dwordx2 v[4:5], v[0:1]
	v_add_u32_e32 v12, -8, v30
	s_waitcnt vmcnt(0) lgkmcnt(0)
	v_and_b32_e32 v6, 0xff, v5
	v_and_b32_e32 v7, 0xff00, v5
	;; [unrolled: 1-line block ×4, first 2 shown]
	v_or_b32_e32 v6, v6, v7
	v_or3_b32 v5, v6, v10, v5
	v_add_co_u32_e32 v6, vcc, 8, v0
	v_or3_b32 v4, v4, 0, 0
	v_addc_co_u32_e32 v7, vcc, 0, v1, vcc
.LBB0_175:                              ;   in Loop: Header=BB0_167 Depth=1
	s_or_b64 exec, exec, s[4:5]
	v_cmp_gt_u32_e32 vcc, 8, v12
                                        ; implicit-def: $vgpr10_vgpr11
                                        ; implicit-def: $sgpr12
	s_and_saveexec_b64 s[4:5], vcc
	s_xor_b64 s[4:5], exec, s[4:5]
	s_cbranch_execz .LBB0_181
; %bb.176:                              ;   in Loop: Header=BB0_167 Depth=1
	v_mov_b32_e32 v10, 0
	v_mov_b32_e32 v11, 0
	v_cmp_ne_u32_e32 vcc, 0, v12
	s_and_saveexec_b64 s[12:13], vcc
	s_cbranch_execz .LBB0_180
; %bb.177:                              ;   in Loop: Header=BB0_167 Depth=1
	v_mov_b32_e32 v10, 0
	s_mov_b64 s[14:15], 0
	v_mov_b32_e32 v11, 0
	s_mov_b64 s[16:17], 0
	s_mov_b64 s[18:19], 0
.LBB0_178:                              ;   Parent Loop BB0_167 Depth=1
                                        ; =>  This Inner Loop Header: Depth=2
	v_mov_b32_e32 v14, s19
	v_add_co_u32_e32 v13, vcc, s18, v6
	v_addc_co_u32_e32 v14, vcc, v7, v14, vcc
	flat_load_ubyte v13, v[13:14]
	s_add_u32 s18, s18, 1
	v_mov_b32_e32 v14, s20
	s_addc_u32 s19, s19, 0
	v_cmp_eq_u32_e32 vcc, s18, v12
	s_waitcnt vmcnt(0) lgkmcnt(0)
	v_and_b32_e32 v13, 0xffff, v13
	v_lshlrev_b64 v[13:14], s16, v[13:14]
	s_add_u32 s16, s16, 8
	s_addc_u32 s17, s17, 0
	v_or_b32_e32 v11, v14, v11
	s_or_b64 s[14:15], vcc, s[14:15]
	v_or_b32_e32 v10, v13, v10
	s_andn2_b64 exec, exec, s[14:15]
	s_cbranch_execnz .LBB0_178
; %bb.179:                              ;   in Loop: Header=BB0_167 Depth=1
	s_or_b64 exec, exec, s[14:15]
.LBB0_180:                              ;   in Loop: Header=BB0_167 Depth=1
	s_or_b64 exec, exec, s[12:13]
	s_mov_b32 s12, 0
                                        ; implicit-def: $vgpr12
.LBB0_181:                              ;   in Loop: Header=BB0_167 Depth=1
	s_or_saveexec_b64 s[4:5], s[4:5]
	v_mov_b32_e32 v14, s12
	s_xor_b64 exec, exec, s[4:5]
	s_cbranch_execz .LBB0_183
; %bb.182:                              ;   in Loop: Header=BB0_167 Depth=1
	flat_load_dwordx2 v[10:11], v[6:7]
	v_add_u32_e32 v14, -8, v12
	v_add_co_u32_e32 v6, vcc, 8, v6
	v_addc_co_u32_e32 v7, vcc, 0, v7, vcc
	s_waitcnt vmcnt(0) lgkmcnt(0)
	v_and_b32_e32 v12, 0xff, v11
	v_and_b32_e32 v13, 0xff00, v11
	;; [unrolled: 1-line block ×4, first 2 shown]
	v_or_b32_e32 v12, v12, v13
	v_or3_b32 v10, v10, 0, 0
	v_or3_b32 v11, v12, v15, v11
.LBB0_183:                              ;   in Loop: Header=BB0_167 Depth=1
	s_or_b64 exec, exec, s[4:5]
	v_cmp_gt_u32_e32 vcc, 8, v14
                                        ; implicit-def: $sgpr12
	s_and_saveexec_b64 s[4:5], vcc
	s_xor_b64 s[4:5], exec, s[4:5]
	s_cbranch_execz .LBB0_189
; %bb.184:                              ;   in Loop: Header=BB0_167 Depth=1
	v_mov_b32_e32 v12, 0
	v_mov_b32_e32 v13, 0
	v_cmp_ne_u32_e32 vcc, 0, v14
	s_and_saveexec_b64 s[12:13], vcc
	s_cbranch_execz .LBB0_188
; %bb.185:                              ;   in Loop: Header=BB0_167 Depth=1
	v_mov_b32_e32 v12, 0
	s_mov_b64 s[14:15], 0
	v_mov_b32_e32 v13, 0
	s_mov_b64 s[16:17], 0
	s_mov_b64 s[18:19], 0
.LBB0_186:                              ;   Parent Loop BB0_167 Depth=1
                                        ; =>  This Inner Loop Header: Depth=2
	v_mov_b32_e32 v16, s19
	v_add_co_u32_e32 v15, vcc, s18, v6
	v_addc_co_u32_e32 v16, vcc, v7, v16, vcc
	flat_load_ubyte v15, v[15:16]
	s_add_u32 s18, s18, 1
	v_mov_b32_e32 v16, s20
	s_addc_u32 s19, s19, 0
	v_cmp_eq_u32_e32 vcc, s18, v14
	s_waitcnt vmcnt(0) lgkmcnt(0)
	v_and_b32_e32 v15, 0xffff, v15
	v_lshlrev_b64 v[15:16], s16, v[15:16]
	s_add_u32 s16, s16, 8
	s_addc_u32 s17, s17, 0
	v_or_b32_e32 v13, v16, v13
	s_or_b64 s[14:15], vcc, s[14:15]
	v_or_b32_e32 v12, v15, v12
	s_andn2_b64 exec, exec, s[14:15]
	s_cbranch_execnz .LBB0_186
; %bb.187:                              ;   in Loop: Header=BB0_167 Depth=1
	s_or_b64 exec, exec, s[14:15]
.LBB0_188:                              ;   in Loop: Header=BB0_167 Depth=1
	s_or_b64 exec, exec, s[12:13]
	s_mov_b32 s12, 0
                                        ; implicit-def: $vgpr14
.LBB0_189:                              ;   in Loop: Header=BB0_167 Depth=1
	s_or_saveexec_b64 s[4:5], s[4:5]
	v_mov_b32_e32 v16, s12
	s_xor_b64 exec, exec, s[4:5]
	s_cbranch_execz .LBB0_191
; %bb.190:                              ;   in Loop: Header=BB0_167 Depth=1
	flat_load_dwordx2 v[12:13], v[6:7]
	v_add_u32_e32 v16, -8, v14
	v_add_co_u32_e32 v6, vcc, 8, v6
	v_addc_co_u32_e32 v7, vcc, 0, v7, vcc
	s_waitcnt vmcnt(0) lgkmcnt(0)
	v_and_b32_e32 v14, 0xff, v13
	v_and_b32_e32 v15, 0xff00, v13
	;; [unrolled: 1-line block ×4, first 2 shown]
	v_or_b32_e32 v14, v14, v15
	v_or3_b32 v12, v12, 0, 0
	v_or3_b32 v13, v14, v17, v13
.LBB0_191:                              ;   in Loop: Header=BB0_167 Depth=1
	s_or_b64 exec, exec, s[4:5]
	v_cmp_gt_u32_e32 vcc, 8, v16
                                        ; implicit-def: $vgpr14_vgpr15
                                        ; implicit-def: $sgpr12
	s_and_saveexec_b64 s[4:5], vcc
	s_xor_b64 s[4:5], exec, s[4:5]
	s_cbranch_execz .LBB0_197
; %bb.192:                              ;   in Loop: Header=BB0_167 Depth=1
	v_mov_b32_e32 v14, 0
	v_mov_b32_e32 v15, 0
	v_cmp_ne_u32_e32 vcc, 0, v16
	s_and_saveexec_b64 s[12:13], vcc
	s_cbranch_execz .LBB0_196
; %bb.193:                              ;   in Loop: Header=BB0_167 Depth=1
	v_mov_b32_e32 v14, 0
	s_mov_b64 s[14:15], 0
	v_mov_b32_e32 v15, 0
	s_mov_b64 s[16:17], 0
	s_mov_b64 s[18:19], 0
.LBB0_194:                              ;   Parent Loop BB0_167 Depth=1
                                        ; =>  This Inner Loop Header: Depth=2
	v_mov_b32_e32 v18, s19
	v_add_co_u32_e32 v17, vcc, s18, v6
	v_addc_co_u32_e32 v18, vcc, v7, v18, vcc
	flat_load_ubyte v17, v[17:18]
	s_add_u32 s18, s18, 1
	v_mov_b32_e32 v18, s20
	s_addc_u32 s19, s19, 0
	v_cmp_eq_u32_e32 vcc, s18, v16
	s_waitcnt vmcnt(0) lgkmcnt(0)
	v_and_b32_e32 v17, 0xffff, v17
	v_lshlrev_b64 v[17:18], s16, v[17:18]
	s_add_u32 s16, s16, 8
	s_addc_u32 s17, s17, 0
	v_or_b32_e32 v15, v18, v15
	s_or_b64 s[14:15], vcc, s[14:15]
	v_or_b32_e32 v14, v17, v14
	s_andn2_b64 exec, exec, s[14:15]
	s_cbranch_execnz .LBB0_194
; %bb.195:                              ;   in Loop: Header=BB0_167 Depth=1
	s_or_b64 exec, exec, s[14:15]
.LBB0_196:                              ;   in Loop: Header=BB0_167 Depth=1
	s_or_b64 exec, exec, s[12:13]
	s_mov_b32 s12, 0
                                        ; implicit-def: $vgpr16
.LBB0_197:                              ;   in Loop: Header=BB0_167 Depth=1
	s_or_saveexec_b64 s[4:5], s[4:5]
	v_mov_b32_e32 v18, s12
	s_xor_b64 exec, exec, s[4:5]
	s_cbranch_execz .LBB0_199
; %bb.198:                              ;   in Loop: Header=BB0_167 Depth=1
	flat_load_dwordx2 v[14:15], v[6:7]
	v_add_u32_e32 v18, -8, v16
	v_add_co_u32_e32 v6, vcc, 8, v6
	v_addc_co_u32_e32 v7, vcc, 0, v7, vcc
	s_waitcnt vmcnt(0) lgkmcnt(0)
	v_and_b32_e32 v16, 0xff, v15
	v_and_b32_e32 v17, 0xff00, v15
	;; [unrolled: 1-line block ×4, first 2 shown]
	v_or_b32_e32 v16, v16, v17
	v_or3_b32 v14, v14, 0, 0
	v_or3_b32 v15, v16, v19, v15
.LBB0_199:                              ;   in Loop: Header=BB0_167 Depth=1
	s_or_b64 exec, exec, s[4:5]
	v_cmp_gt_u32_e32 vcc, 8, v18
                                        ; implicit-def: $sgpr12
	s_and_saveexec_b64 s[4:5], vcc
	s_xor_b64 s[4:5], exec, s[4:5]
	s_cbranch_execz .LBB0_205
; %bb.200:                              ;   in Loop: Header=BB0_167 Depth=1
	v_mov_b32_e32 v16, 0
	v_mov_b32_e32 v17, 0
	v_cmp_ne_u32_e32 vcc, 0, v18
	s_and_saveexec_b64 s[12:13], vcc
	s_cbranch_execz .LBB0_204
; %bb.201:                              ;   in Loop: Header=BB0_167 Depth=1
	v_mov_b32_e32 v16, 0
	s_mov_b64 s[14:15], 0
	v_mov_b32_e32 v17, 0
	s_mov_b64 s[16:17], 0
	s_mov_b64 s[18:19], 0
.LBB0_202:                              ;   Parent Loop BB0_167 Depth=1
                                        ; =>  This Inner Loop Header: Depth=2
	v_mov_b32_e32 v20, s19
	v_add_co_u32_e32 v19, vcc, s18, v6
	v_addc_co_u32_e32 v20, vcc, v7, v20, vcc
	flat_load_ubyte v19, v[19:20]
	s_add_u32 s18, s18, 1
	v_mov_b32_e32 v20, s20
	s_addc_u32 s19, s19, 0
	v_cmp_eq_u32_e32 vcc, s18, v18
	s_waitcnt vmcnt(0) lgkmcnt(0)
	v_and_b32_e32 v19, 0xffff, v19
	v_lshlrev_b64 v[19:20], s16, v[19:20]
	s_add_u32 s16, s16, 8
	s_addc_u32 s17, s17, 0
	v_or_b32_e32 v17, v20, v17
	s_or_b64 s[14:15], vcc, s[14:15]
	v_or_b32_e32 v16, v19, v16
	s_andn2_b64 exec, exec, s[14:15]
	s_cbranch_execnz .LBB0_202
; %bb.203:                              ;   in Loop: Header=BB0_167 Depth=1
	s_or_b64 exec, exec, s[14:15]
.LBB0_204:                              ;   in Loop: Header=BB0_167 Depth=1
	s_or_b64 exec, exec, s[12:13]
	s_mov_b32 s12, 0
                                        ; implicit-def: $vgpr18
.LBB0_205:                              ;   in Loop: Header=BB0_167 Depth=1
	s_or_saveexec_b64 s[4:5], s[4:5]
	v_mov_b32_e32 v20, s12
	s_xor_b64 exec, exec, s[4:5]
	s_cbranch_execz .LBB0_207
; %bb.206:                              ;   in Loop: Header=BB0_167 Depth=1
	flat_load_dwordx2 v[16:17], v[6:7]
	v_add_u32_e32 v20, -8, v18
	v_add_co_u32_e32 v6, vcc, 8, v6
	v_addc_co_u32_e32 v7, vcc, 0, v7, vcc
	s_waitcnt vmcnt(0) lgkmcnt(0)
	v_and_b32_e32 v18, 0xff, v17
	v_and_b32_e32 v19, 0xff00, v17
	;; [unrolled: 1-line block ×4, first 2 shown]
	v_or_b32_e32 v18, v18, v19
	v_or3_b32 v16, v16, 0, 0
	v_or3_b32 v17, v18, v21, v17
.LBB0_207:                              ;   in Loop: Header=BB0_167 Depth=1
	s_or_b64 exec, exec, s[4:5]
	v_cmp_gt_u32_e32 vcc, 8, v20
                                        ; implicit-def: $vgpr18_vgpr19
                                        ; implicit-def: $sgpr12
	s_and_saveexec_b64 s[4:5], vcc
	s_xor_b64 s[4:5], exec, s[4:5]
	s_cbranch_execz .LBB0_213
; %bb.208:                              ;   in Loop: Header=BB0_167 Depth=1
	v_mov_b32_e32 v18, 0
	v_mov_b32_e32 v19, 0
	v_cmp_ne_u32_e32 vcc, 0, v20
	s_and_saveexec_b64 s[12:13], vcc
	s_cbranch_execz .LBB0_212
; %bb.209:                              ;   in Loop: Header=BB0_167 Depth=1
	v_mov_b32_e32 v18, 0
	s_mov_b64 s[14:15], 0
	v_mov_b32_e32 v19, 0
	s_mov_b64 s[16:17], 0
	s_mov_b64 s[18:19], 0
.LBB0_210:                              ;   Parent Loop BB0_167 Depth=1
                                        ; =>  This Inner Loop Header: Depth=2
	v_mov_b32_e32 v22, s19
	v_add_co_u32_e32 v21, vcc, s18, v6
	v_addc_co_u32_e32 v22, vcc, v7, v22, vcc
	flat_load_ubyte v21, v[21:22]
	s_add_u32 s18, s18, 1
	v_mov_b32_e32 v22, s20
	s_addc_u32 s19, s19, 0
	v_cmp_eq_u32_e32 vcc, s18, v20
	s_waitcnt vmcnt(0) lgkmcnt(0)
	v_and_b32_e32 v21, 0xffff, v21
	v_lshlrev_b64 v[21:22], s16, v[21:22]
	s_add_u32 s16, s16, 8
	s_addc_u32 s17, s17, 0
	v_or_b32_e32 v19, v22, v19
	s_or_b64 s[14:15], vcc, s[14:15]
	v_or_b32_e32 v18, v21, v18
	s_andn2_b64 exec, exec, s[14:15]
	s_cbranch_execnz .LBB0_210
; %bb.211:                              ;   in Loop: Header=BB0_167 Depth=1
	s_or_b64 exec, exec, s[14:15]
.LBB0_212:                              ;   in Loop: Header=BB0_167 Depth=1
	s_or_b64 exec, exec, s[12:13]
	s_mov_b32 s12, 0
                                        ; implicit-def: $vgpr20
.LBB0_213:                              ;   in Loop: Header=BB0_167 Depth=1
	s_or_saveexec_b64 s[4:5], s[4:5]
	v_mov_b32_e32 v22, s12
	s_xor_b64 exec, exec, s[4:5]
	s_cbranch_execz .LBB0_215
; %bb.214:                              ;   in Loop: Header=BB0_167 Depth=1
	flat_load_dwordx2 v[18:19], v[6:7]
	v_add_u32_e32 v22, -8, v20
	v_add_co_u32_e32 v6, vcc, 8, v6
	v_addc_co_u32_e32 v7, vcc, 0, v7, vcc
	s_waitcnt vmcnt(0) lgkmcnt(0)
	v_and_b32_e32 v20, 0xff, v19
	v_and_b32_e32 v21, 0xff00, v19
	v_and_b32_e32 v23, 0xff0000, v19
	v_and_b32_e32 v19, 0xff000000, v19
	v_or_b32_e32 v20, v20, v21
	v_or3_b32 v18, v18, 0, 0
	v_or3_b32 v19, v20, v23, v19
.LBB0_215:                              ;   in Loop: Header=BB0_167 Depth=1
	s_or_b64 exec, exec, s[4:5]
	v_cmp_gt_u32_e32 vcc, 8, v22
	s_and_saveexec_b64 s[4:5], vcc
	s_xor_b64 s[4:5], exec, s[4:5]
	s_cbranch_execz .LBB0_221
; %bb.216:                              ;   in Loop: Header=BB0_167 Depth=1
	v_mov_b32_e32 v20, 0
	v_mov_b32_e32 v21, 0
	v_cmp_ne_u32_e32 vcc, 0, v22
	s_and_saveexec_b64 s[12:13], vcc
	s_cbranch_execz .LBB0_220
; %bb.217:                              ;   in Loop: Header=BB0_167 Depth=1
	v_mov_b32_e32 v20, 0
	s_mov_b64 s[14:15], 0
	v_mov_b32_e32 v21, 0
	s_mov_b64 s[16:17], 0
.LBB0_218:                              ;   Parent Loop BB0_167 Depth=1
                                        ; =>  This Inner Loop Header: Depth=2
	flat_load_ubyte v23, v[6:7]
	v_mov_b32_e32 v24, s20
	v_add_co_u32_e32 v6, vcc, 1, v6
	v_add_u32_e32 v22, -1, v22
	v_addc_co_u32_e32 v7, vcc, 0, v7, vcc
	v_cmp_eq_u32_e32 vcc, 0, v22
	s_waitcnt vmcnt(0) lgkmcnt(0)
	v_and_b32_e32 v23, 0xffff, v23
	v_lshlrev_b64 v[23:24], s16, v[23:24]
	s_add_u32 s16, s16, 8
	s_addc_u32 s17, s17, 0
	v_or_b32_e32 v21, v24, v21
	s_or_b64 s[14:15], vcc, s[14:15]
	v_or_b32_e32 v20, v23, v20
	s_andn2_b64 exec, exec, s[14:15]
	s_cbranch_execnz .LBB0_218
; %bb.219:                              ;   in Loop: Header=BB0_167 Depth=1
	s_or_b64 exec, exec, s[14:15]
.LBB0_220:                              ;   in Loop: Header=BB0_167 Depth=1
	s_or_b64 exec, exec, s[12:13]
                                        ; implicit-def: $vgpr6_vgpr7
.LBB0_221:                              ;   in Loop: Header=BB0_167 Depth=1
	s_andn2_saveexec_b64 s[4:5], s[4:5]
	s_cbranch_execz .LBB0_223
; %bb.222:                              ;   in Loop: Header=BB0_167 Depth=1
	flat_load_dwordx2 v[6:7], v[6:7]
	s_waitcnt vmcnt(0) lgkmcnt(0)
	v_and_b32_e32 v20, 0xff, v7
	v_and_b32_e32 v21, 0xff00, v7
	;; [unrolled: 1-line block ×4, first 2 shown]
	v_or_b32_e32 v20, v20, v21
	v_or3_b32 v21, v20, v22, v7
	v_or3_b32 v20, v6, 0, 0
.LBB0_223:                              ;   in Loop: Header=BB0_167 Depth=1
	s_or_b64 exec, exec, s[4:5]
	v_readfirstlane_b32 s4, v35
	v_mov_b32_e32 v6, 0
	v_mov_b32_e32 v7, 0
	v_cmp_eq_u32_e64 s[4:5], s4, v35
	s_and_saveexec_b64 s[12:13], s[4:5]
	s_cbranch_execz .LBB0_229
; %bb.224:                              ;   in Loop: Header=BB0_167 Depth=1
	global_load_dwordx2 v[24:25], v29, s[6:7] offset:24 glc
	s_waitcnt vmcnt(0)
	buffer_wbinvl1_vol
	global_load_dwordx2 v[6:7], v29, s[6:7] offset:40
	global_load_dwordx2 v[22:23], v29, s[6:7]
	s_waitcnt vmcnt(1)
	v_and_b32_e32 v6, v6, v24
	v_and_b32_e32 v7, v7, v25
	v_mul_lo_u32 v7, v7, 24
	v_mul_hi_u32 v28, v6, 24
	v_mul_lo_u32 v6, v6, 24
	v_add_u32_e32 v7, v28, v7
	s_waitcnt vmcnt(0)
	v_add_co_u32_e32 v6, vcc, v22, v6
	v_addc_co_u32_e32 v7, vcc, v23, v7, vcc
	global_load_dwordx2 v[22:23], v[6:7], off glc
	s_waitcnt vmcnt(0)
	global_atomic_cmpswap_x2 v[6:7], v29, v[22:25], s[6:7] offset:24 glc
	s_waitcnt vmcnt(0)
	buffer_wbinvl1_vol
	v_cmp_ne_u64_e32 vcc, v[6:7], v[24:25]
	s_and_saveexec_b64 s[14:15], vcc
	s_cbranch_execz .LBB0_228
; %bb.225:                              ;   in Loop: Header=BB0_167 Depth=1
	s_mov_b64 s[16:17], 0
.LBB0_226:                              ;   Parent Loop BB0_167 Depth=1
                                        ; =>  This Inner Loop Header: Depth=2
	s_sleep 1
	global_load_dwordx2 v[22:23], v29, s[6:7] offset:40
	global_load_dwordx2 v[32:33], v29, s[6:7]
	v_mov_b32_e32 v25, v7
	v_mov_b32_e32 v24, v6
	s_waitcnt vmcnt(1)
	v_and_b32_e32 v6, v22, v24
	s_waitcnt vmcnt(0)
	v_mad_u64_u32 v[6:7], s[18:19], v6, 24, v[32:33]
	v_and_b32_e32 v22, v23, v25
	v_mad_u64_u32 v[22:23], s[18:19], v22, 24, v[7:8]
	v_mov_b32_e32 v7, v22
	global_load_dwordx2 v[22:23], v[6:7], off glc
	s_waitcnt vmcnt(0)
	global_atomic_cmpswap_x2 v[6:7], v29, v[22:25], s[6:7] offset:24 glc
	s_waitcnt vmcnt(0)
	buffer_wbinvl1_vol
	v_cmp_eq_u64_e32 vcc, v[6:7], v[24:25]
	s_or_b64 s[16:17], vcc, s[16:17]
	s_andn2_b64 exec, exec, s[16:17]
	s_cbranch_execnz .LBB0_226
; %bb.227:                              ;   in Loop: Header=BB0_167 Depth=1
	s_or_b64 exec, exec, s[16:17]
.LBB0_228:                              ;   in Loop: Header=BB0_167 Depth=1
	s_or_b64 exec, exec, s[14:15]
.LBB0_229:                              ;   in Loop: Header=BB0_167 Depth=1
	s_or_b64 exec, exec, s[12:13]
	global_load_dwordx2 v[32:33], v29, s[6:7] offset:40
	global_load_dwordx4 v[22:25], v29, s[6:7]
	v_readfirstlane_b32 s12, v6
	v_readfirstlane_b32 s13, v7
	s_mov_b64 s[14:15], exec
	s_waitcnt vmcnt(1)
	v_readfirstlane_b32 s16, v32
	v_readfirstlane_b32 s17, v33
	s_and_b64 s[16:17], s[12:13], s[16:17]
	s_mul_i32 s18, s17, 24
	s_mul_hi_u32 s19, s16, 24
	s_mul_i32 s22, s16, 24
	s_add_i32 s18, s19, s18
	v_mov_b32_e32 v6, s18
	s_waitcnt vmcnt(0)
	v_add_co_u32_e32 v32, vcc, s22, v22
	v_addc_co_u32_e32 v33, vcc, v23, v6, vcc
	s_and_saveexec_b64 s[18:19], s[4:5]
	s_cbranch_execz .LBB0_231
; %bb.230:                              ;   in Loop: Header=BB0_167 Depth=1
	v_mov_b32_e32 v6, s14
	v_mov_b32_e32 v7, s15
	global_store_dwordx4 v[32:33], v[6:9], off offset:8
.LBB0_231:                              ;   in Loop: Header=BB0_167 Depth=1
	s_or_b64 exec, exec, s[18:19]
	s_lshl_b64 s[14:15], s[16:17], 12
	v_mov_b32_e32 v6, s15
	v_add_co_u32_e32 v24, vcc, s14, v24
	v_addc_co_u32_e32 v25, vcc, v25, v6, vcc
	v_cmp_lt_u64_e32 vcc, 56, v[26:27]
	v_or_b32_e32 v6, 2, v2
	v_cndmask_b32_e32 v2, v6, v2, vcc
	v_lshl_add_u32 v6, v30, 2, 28
	v_and_b32_e32 v6, 0x1e0, v6
	v_and_or_b32 v2, v2, s21, v6
	v_readfirstlane_b32 s14, v24
	v_readfirstlane_b32 s15, v25
	s_nop 4
	global_store_dwordx4 v34, v[2:5], s[14:15]
	global_store_dwordx4 v34, v[10:13], s[14:15] offset:16
	global_store_dwordx4 v34, v[14:17], s[14:15] offset:32
	;; [unrolled: 1-line block ×3, first 2 shown]
	s_and_saveexec_b64 s[14:15], s[4:5]
	s_cbranch_execz .LBB0_239
; %bb.232:                              ;   in Loop: Header=BB0_167 Depth=1
	global_load_dwordx2 v[12:13], v29, s[6:7] offset:32 glc
	global_load_dwordx2 v[2:3], v29, s[6:7] offset:40
	v_mov_b32_e32 v10, s12
	v_mov_b32_e32 v11, s13
	s_waitcnt vmcnt(0)
	v_readfirstlane_b32 s16, v2
	v_readfirstlane_b32 s17, v3
	s_and_b64 s[16:17], s[16:17], s[12:13]
	s_mul_i32 s17, s17, 24
	s_mul_hi_u32 s18, s16, 24
	s_mul_i32 s16, s16, 24
	s_add_i32 s17, s18, s17
	v_mov_b32_e32 v2, s17
	v_add_co_u32_e32 v6, vcc, s16, v22
	v_addc_co_u32_e32 v7, vcc, v23, v2, vcc
	global_store_dwordx2 v[6:7], v[12:13], off
	s_waitcnt vmcnt(0)
	global_atomic_cmpswap_x2 v[4:5], v29, v[10:13], s[6:7] offset:32 glc
	s_waitcnt vmcnt(0)
	v_cmp_ne_u64_e32 vcc, v[4:5], v[12:13]
	s_and_saveexec_b64 s[16:17], vcc
	s_cbranch_execz .LBB0_235
; %bb.233:                              ;   in Loop: Header=BB0_167 Depth=1
	s_mov_b64 s[18:19], 0
.LBB0_234:                              ;   Parent Loop BB0_167 Depth=1
                                        ; =>  This Inner Loop Header: Depth=2
	s_sleep 1
	global_store_dwordx2 v[6:7], v[4:5], off
	v_mov_b32_e32 v2, s12
	v_mov_b32_e32 v3, s13
	s_waitcnt vmcnt(0)
	global_atomic_cmpswap_x2 v[2:3], v29, v[2:5], s[6:7] offset:32 glc
	s_waitcnt vmcnt(0)
	v_cmp_eq_u64_e32 vcc, v[2:3], v[4:5]
	v_mov_b32_e32 v5, v3
	s_or_b64 s[18:19], vcc, s[18:19]
	v_mov_b32_e32 v4, v2
	s_andn2_b64 exec, exec, s[18:19]
	s_cbranch_execnz .LBB0_234
.LBB0_235:                              ;   in Loop: Header=BB0_167 Depth=1
	s_or_b64 exec, exec, s[16:17]
	global_load_dwordx2 v[2:3], v29, s[6:7] offset:16
	s_mov_b64 s[18:19], exec
	v_mbcnt_lo_u32_b32 v4, s18, 0
	v_mbcnt_hi_u32_b32 v4, s19, v4
	v_cmp_eq_u32_e32 vcc, 0, v4
	s_and_saveexec_b64 s[16:17], vcc
	s_cbranch_execz .LBB0_237
; %bb.236:                              ;   in Loop: Header=BB0_167 Depth=1
	s_bcnt1_i32_b64 s18, s[18:19]
	v_mov_b32_e32 v28, s18
	s_waitcnt vmcnt(0)
	global_atomic_add_x2 v[2:3], v[28:29], off offset:8
.LBB0_237:                              ;   in Loop: Header=BB0_167 Depth=1
	s_or_b64 exec, exec, s[16:17]
	s_waitcnt vmcnt(0)
	global_load_dwordx2 v[4:5], v[2:3], off offset:16
	s_waitcnt vmcnt(0)
	v_cmp_eq_u64_e32 vcc, 0, v[4:5]
	s_cbranch_vccnz .LBB0_239
; %bb.238:                              ;   in Loop: Header=BB0_167 Depth=1
	global_load_dword v28, v[2:3], off offset:24
	s_waitcnt vmcnt(0)
	v_and_b32_e32 v2, 0xffffff, v28
	v_readfirstlane_b32 m0, v2
	global_store_dwordx2 v[4:5], v[28:29], off
	s_sendmsg sendmsg(MSG_INTERRUPT)
.LBB0_239:                              ;   in Loop: Header=BB0_167 Depth=1
	s_or_b64 exec, exec, s[14:15]
	v_add_co_u32_e32 v2, vcc, v24, v34
	v_addc_co_u32_e32 v3, vcc, 0, v25, vcc
	s_branch .LBB0_243
.LBB0_240:                              ;   in Loop: Header=BB0_243 Depth=2
	s_or_b64 exec, exec, s[14:15]
	v_readfirstlane_b32 s14, v4
	s_cmp_eq_u32 s14, 0
	s_cbranch_scc1 .LBB0_242
; %bb.241:                              ;   in Loop: Header=BB0_243 Depth=2
	s_sleep 1
	s_cbranch_execnz .LBB0_243
	s_branch .LBB0_245
.LBB0_242:                              ;   in Loop: Header=BB0_167 Depth=1
	s_branch .LBB0_245
.LBB0_243:                              ;   Parent Loop BB0_167 Depth=1
                                        ; =>  This Inner Loop Header: Depth=2
	v_mov_b32_e32 v4, 1
	s_and_saveexec_b64 s[14:15], s[4:5]
	s_cbranch_execz .LBB0_240
; %bb.244:                              ;   in Loop: Header=BB0_243 Depth=2
	global_load_dword v4, v[32:33], off offset:20 glc
	s_waitcnt vmcnt(0)
	buffer_wbinvl1_vol
	v_and_b32_e32 v4, 1, v4
	s_branch .LBB0_240
.LBB0_245:                              ;   in Loop: Header=BB0_167 Depth=1
	global_load_dwordx4 v[2:5], v[2:3], off
	s_and_saveexec_b64 s[14:15], s[4:5]
	s_cbranch_execz .LBB0_166
; %bb.246:                              ;   in Loop: Header=BB0_167 Depth=1
	global_load_dwordx2 v[6:7], v29, s[6:7] offset:40
	global_load_dwordx2 v[12:13], v29, s[6:7] offset:24 glc
	global_load_dwordx2 v[10:11], v29, s[6:7]
	s_waitcnt vmcnt(3)
	v_mov_b32_e32 v5, s13
	s_waitcnt vmcnt(2)
	v_add_co_u32_e32 v14, vcc, 1, v6
	v_addc_co_u32_e32 v15, vcc, 0, v7, vcc
	v_add_co_u32_e32 v4, vcc, s12, v14
	v_addc_co_u32_e32 v5, vcc, v15, v5, vcc
	v_cmp_eq_u64_e32 vcc, 0, v[4:5]
	v_cndmask_b32_e32 v5, v5, v15, vcc
	v_cndmask_b32_e32 v4, v4, v14, vcc
	v_and_b32_e32 v7, v5, v7
	v_and_b32_e32 v6, v4, v6
	v_mul_lo_u32 v7, v7, 24
	v_mul_hi_u32 v14, v6, 24
	v_mul_lo_u32 v15, v6, 24
	s_waitcnt vmcnt(1)
	v_mov_b32_e32 v6, v12
	v_add_u32_e32 v7, v14, v7
	s_waitcnt vmcnt(0)
	v_add_co_u32_e32 v10, vcc, v10, v15
	v_addc_co_u32_e32 v11, vcc, v11, v7, vcc
	global_store_dwordx2 v[10:11], v[12:13], off
	v_mov_b32_e32 v7, v13
	s_waitcnt vmcnt(0)
	global_atomic_cmpswap_x2 v[6:7], v29, v[4:7], s[6:7] offset:24 glc
	s_waitcnt vmcnt(0)
	v_cmp_ne_u64_e32 vcc, v[6:7], v[12:13]
	s_and_b64 exec, exec, vcc
	s_cbranch_execz .LBB0_166
; %bb.247:                              ;   in Loop: Header=BB0_167 Depth=1
	s_mov_b64 s[4:5], 0
.LBB0_248:                              ;   Parent Loop BB0_167 Depth=1
                                        ; =>  This Inner Loop Header: Depth=2
	s_sleep 1
	global_store_dwordx2 v[10:11], v[6:7], off
	s_waitcnt vmcnt(0)
	global_atomic_cmpswap_x2 v[12:13], v29, v[4:7], s[6:7] offset:24 glc
	s_waitcnt vmcnt(0)
	v_cmp_eq_u64_e32 vcc, v[12:13], v[6:7]
	v_mov_b32_e32 v6, v12
	s_or_b64 s[4:5], vcc, s[4:5]
	v_mov_b32_e32 v7, v13
	s_andn2_b64 exec, exec, s[4:5]
	s_cbranch_execnz .LBB0_248
	s_branch .LBB0_166
.LBB0_249:
	s_and_saveexec_b64 s[12:13], s[4:5]
	s_cbranch_execz .LBB0_252
; %bb.250:
	v_mov_b32_e32 v6, 0
	global_load_dwordx2 v[2:3], v6, s[6:7] offset:40
	global_load_dwordx2 v[7:8], v6, s[6:7] offset:24 glc
	global_load_dwordx2 v[4:5], v6, s[6:7]
	v_mov_b32_e32 v1, s11
	s_mov_b64 s[4:5], 0
	s_waitcnt vmcnt(2)
	v_add_co_u32_e32 v9, vcc, 1, v2
	v_addc_co_u32_e32 v10, vcc, 0, v3, vcc
	v_add_co_u32_e32 v0, vcc, s10, v9
	v_addc_co_u32_e32 v1, vcc, v10, v1, vcc
	v_cmp_eq_u64_e32 vcc, 0, v[0:1]
	v_cndmask_b32_e32 v1, v1, v10, vcc
	v_cndmask_b32_e32 v0, v0, v9, vcc
	v_and_b32_e32 v3, v1, v3
	v_and_b32_e32 v2, v0, v2
	v_mul_lo_u32 v3, v3, 24
	v_mul_hi_u32 v9, v2, 24
	v_mul_lo_u32 v10, v2, 24
	s_waitcnt vmcnt(1)
	v_mov_b32_e32 v2, v7
	v_add_u32_e32 v3, v9, v3
	s_waitcnt vmcnt(0)
	v_add_co_u32_e32 v4, vcc, v4, v10
	v_addc_co_u32_e32 v5, vcc, v5, v3, vcc
	global_store_dwordx2 v[4:5], v[7:8], off
	v_mov_b32_e32 v3, v8
	s_waitcnt vmcnt(0)
	global_atomic_cmpswap_x2 v[2:3], v6, v[0:3], s[6:7] offset:24 glc
	s_waitcnt vmcnt(0)
	v_cmp_ne_u64_e32 vcc, v[2:3], v[7:8]
	s_and_b64 exec, exec, vcc
	s_cbranch_execz .LBB0_252
.LBB0_251:                              ; =>This Inner Loop Header: Depth=1
	s_sleep 1
	global_store_dwordx2 v[4:5], v[2:3], off
	s_waitcnt vmcnt(0)
	global_atomic_cmpswap_x2 v[7:8], v6, v[0:3], s[6:7] offset:24 glc
	s_waitcnt vmcnt(0)
	v_cmp_eq_u64_e32 vcc, v[7:8], v[2:3]
	v_mov_b32_e32 v2, v7
	s_or_b64 s[4:5], vcc, s[4:5]
	v_mov_b32_e32 v3, v8
	s_andn2_b64 exec, exec, s[4:5]
	s_cbranch_execnz .LBB0_251
.LBB0_252:
	s_or_b64 exec, exec, s[12:13]
	s_or_b64 exec, exec, s[8:9]
	s_waitcnt vmcnt(0) lgkmcnt(0)
	s_setpc_b64 s[30:31]
.LBB0_253:
	s_or_b64 exec, exec, s[10:11]
                                        ; implicit-def: $vgpr2_vgpr3
                                        ; implicit-def: $vgpr34
                                        ; implicit-def: $vgpr35
	s_andn2_saveexec_b64 s[8:9], s[8:9]
	s_cbranch_execnz .LBB0_140
.LBB0_254:
	s_or_b64 exec, exec, s[8:9]
	s_waitcnt vmcnt(0) lgkmcnt(0)
	s_setpc_b64 s[30:31]
.Lfunc_end0:
	.size	_ZNK8migraphx13basic_printerIZNS_4coutEvEUlT_E_ElsEPKc, .Lfunc_end0-_ZNK8migraphx13basic_printerIZNS_4coutEvEUlT_E_ElsEPKc
                                        ; -- End function
	.section	.AMDGPU.csdata,"",@progbits
; Function info:
; codeLenInByte = 8900
; NumSgprs: 36
; NumVgprs: 36
; ScratchSize: 0
; MemoryBound: 0
	.text
	.p2align	2                               ; -- Begin function _ZN8migraphx4testlsIKNS_13basic_printerIZNS_4coutEvEUlT_E_EEEERS3_S7_RKNS0_10expressionINS0_14lhs_expressionIRNS_5arrayIiLj5EEENS0_3nopEEESC_NS0_5equalEEE
	.type	_ZN8migraphx4testlsIKNS_13basic_printerIZNS_4coutEvEUlT_E_EEEERS3_S7_RKNS0_10expressionINS0_14lhs_expressionIRNS_5arrayIiLj5EEENS0_3nopEEESC_NS0_5equalEEE,@function
_ZN8migraphx4testlsIKNS_13basic_printerIZNS_4coutEvEUlT_E_EEEERS3_S7_RKNS0_10expressionINS0_14lhs_expressionIRNS_5arrayIiLj5EEENS0_3nopEEESC_NS0_5equalEEE: ; @_ZN8migraphx4testlsIKNS_13basic_printerIZNS_4coutEvEUlT_E_EEEERS3_S7_RKNS0_10expressionINS0_14lhs_expressionIRNS_5arrayIiLj5EEENS0_3nopEEESC_NS0_5equalEEE
; %bb.0:
	s_waitcnt vmcnt(0) expcnt(0) lgkmcnt(0)
	s_mov_b32 s4, s33
	s_mov_b32 s33, s32
	s_or_saveexec_b64 s[6:7], -1
	buffer_store_dword v41, off, s[0:3], s33 ; 4-byte Folded Spill
	s_mov_b64 exec, s[6:7]
	v_writelane_b32 v41, s4, 2
	v_writelane_b32 v41, s30, 0
	s_addk_i32 s32, 0x400
	v_writelane_b32 v41, s31, 1
	v_mov_b32_e32 v37, v1
	v_mov_b32_e32 v36, v0
	flat_load_dwordx2 v[38:39], v[36:37]
	s_getpc_b64 s[4:5]
	s_add_u32 s4, s4, .str.7@rel32@lo+4
	s_addc_u32 s5, s5, .str.7@rel32@hi+12
	s_mov_b32 s35, 0
	s_cmp_lg_u64 s[4:5], 0
	v_mbcnt_lo_u32_b32 v0, -1, 0
	s_mov_b64 s[24:25], s[8:9]
	s_cselect_b64 s[26:27], -1, 0
	v_mbcnt_hi_u32_b32 v55, -1, v0
	v_mov_b32_e32 v50, 0
	s_mov_b32 s36, s35
	s_mov_b32 s37, s35
	s_mov_b32 s38, s35
	s_mov_b32 s39, s35
	s_movk_i32 s23, 0xff1f
	s_movk_i32 s40, 0xff1d
	v_mov_b32_e32 v53, 2
	v_mov_b32_e32 v54, 1
	;; [unrolled: 1-line block ×3, first 2 shown]
	s_mov_b32 s34, s35
	s_branch .LBB1_2
.LBB1_1:                                ;   in Loop: Header=BB1_2 Depth=1
	s_or_b64 exec, exec, s[8:9]
	s_add_i32 s34, s34, 1
	s_cmp_lg_u32 s34, 5
	s_cbranch_scc0 .LBB1_169
.LBB1_2:                                ; =>This Loop Header: Depth=1
                                        ;     Child Loop BB1_7 Depth 2
                                        ;     Child Loop BB1_15 Depth 2
                                        ;     Child Loop BB1_24 Depth 2
                                        ;     Child Loop BB1_29 Depth 2
                                        ;     Child Loop BB1_119 Depth 2
                                        ;     Child Loop BB1_127 Depth 2
                                        ;     Child Loop BB1_136 Depth 2
                                        ;     Child Loop BB1_141 Depth 2
                                        ;     Child Loop BB1_33 Depth 2
                                        ;       Child Loop BB1_36 Depth 3
                                        ;       Child Loop BB1_43 Depth 3
	;; [unrolled: 1-line block ×11, first 2 shown]
                                        ;     Child Loop BB1_146 Depth 2
                                        ;     Child Loop BB1_154 Depth 2
	;; [unrolled: 1-line block ×4, first 2 shown]
	s_cmp_eq_u32 s34, 0
	s_cbranch_scc1 .LBB1_4
; %bb.3:                                ;   in Loop: Header=BB1_2 Depth=1
	s_getpc_b64 s[4:5]
	s_add_u32 s4, s4, .str.11@rel32@lo+4
	s_addc_u32 s5, s5, .str.11@rel32@hi+12
	s_mov_b64 s[8:9], s[24:25]
	v_mov_b32_e32 v0, s4
	v_mov_b32_e32 v1, s5
	s_getpc_b64 s[6:7]
	s_add_u32 s6, s6, _ZNK8migraphx13basic_printerIZNS_4coutEvEUlT_E_ElsEPKc@rel32@lo+4
	s_addc_u32 s7, s7, _ZNK8migraphx13basic_printerIZNS_4coutEvEUlT_E_ElsEPKc@rel32@hi+12
	s_swappc_b64 s[30:31], s[6:7]
.LBB1_4:                                ;   in Loop: Header=BB1_2 Depth=1
	s_lshl_b64 s[4:5], s[34:35], 2
	v_mov_b32_e32 v1, s5
	s_waitcnt vmcnt(0) lgkmcnt(0)
	v_add_co_u32_e32 v0, vcc, s4, v38
	v_addc_co_u32_e32 v1, vcc, v39, v1, vcc
	flat_load_dword v24, v[0:1]
	s_load_dwordx2 s[28:29], s[24:25], 0x50
	v_readfirstlane_b32 s4, v55
	v_mov_b32_e32 v4, 0
	v_mov_b32_e32 v5, 0
	v_cmp_eq_u32_e64 s[4:5], s4, v55
	s_and_saveexec_b64 s[6:7], s[4:5]
	s_cbranch_execz .LBB1_10
; %bb.5:                                ;   in Loop: Header=BB1_2 Depth=1
	s_waitcnt lgkmcnt(0)
	global_load_dwordx2 v[2:3], v50, s[28:29] offset:24 glc
	s_waitcnt vmcnt(0)
	buffer_wbinvl1_vol
	global_load_dwordx2 v[0:1], v50, s[28:29] offset:40
	global_load_dwordx2 v[4:5], v50, s[28:29]
	s_waitcnt vmcnt(1)
	v_and_b32_e32 v0, v0, v2
	v_and_b32_e32 v1, v1, v3
	v_mul_lo_u32 v1, v1, 24
	v_mul_hi_u32 v6, v0, 24
	v_mul_lo_u32 v0, v0, 24
	v_add_u32_e32 v1, v6, v1
	s_waitcnt vmcnt(0)
	v_add_co_u32_e32 v0, vcc, v4, v0
	v_addc_co_u32_e32 v1, vcc, v5, v1, vcc
	global_load_dwordx2 v[0:1], v[0:1], off glc
	s_waitcnt vmcnt(0)
	global_atomic_cmpswap_x2 v[4:5], v50, v[0:3], s[28:29] offset:24 glc
	s_waitcnt vmcnt(0)
	buffer_wbinvl1_vol
	v_cmp_ne_u64_e32 vcc, v[4:5], v[2:3]
	s_and_saveexec_b64 s[8:9], vcc
	s_cbranch_execz .LBB1_9
; %bb.6:                                ;   in Loop: Header=BB1_2 Depth=1
	s_mov_b64 s[10:11], 0
.LBB1_7:                                ;   Parent Loop BB1_2 Depth=1
                                        ; =>  This Inner Loop Header: Depth=2
	s_sleep 1
	global_load_dwordx2 v[0:1], v50, s[28:29] offset:40
	global_load_dwordx2 v[6:7], v50, s[28:29]
	v_mov_b32_e32 v2, v4
	v_mov_b32_e32 v3, v5
	s_waitcnt vmcnt(1)
	v_and_b32_e32 v0, v0, v2
	s_waitcnt vmcnt(0)
	v_mad_u64_u32 v[4:5], s[12:13], v0, 24, v[6:7]
	v_and_b32_e32 v1, v1, v3
	v_mov_b32_e32 v0, v5
	v_mad_u64_u32 v[0:1], s[12:13], v1, 24, v[0:1]
	v_mov_b32_e32 v5, v0
	global_load_dwordx2 v[0:1], v[4:5], off glc
	s_waitcnt vmcnt(0)
	global_atomic_cmpswap_x2 v[4:5], v50, v[0:3], s[28:29] offset:24 glc
	s_waitcnt vmcnt(0)
	buffer_wbinvl1_vol
	v_cmp_eq_u64_e32 vcc, v[4:5], v[2:3]
	s_or_b64 s[10:11], vcc, s[10:11]
	s_andn2_b64 exec, exec, s[10:11]
	s_cbranch_execnz .LBB1_7
; %bb.8:                                ;   in Loop: Header=BB1_2 Depth=1
	s_or_b64 exec, exec, s[10:11]
.LBB1_9:                                ;   in Loop: Header=BB1_2 Depth=1
	s_or_b64 exec, exec, s[8:9]
.LBB1_10:                               ;   in Loop: Header=BB1_2 Depth=1
	s_or_b64 exec, exec, s[6:7]
	s_waitcnt lgkmcnt(0)
	global_load_dwordx2 v[6:7], v50, s[28:29] offset:40
	global_load_dwordx4 v[0:3], v50, s[28:29]
	v_readfirstlane_b32 s6, v4
	v_readfirstlane_b32 s7, v5
	s_mov_b64 s[8:9], exec
	s_waitcnt vmcnt(0)
	v_readfirstlane_b32 s10, v6
	v_readfirstlane_b32 s11, v7
	s_and_b64 s[10:11], s[6:7], s[10:11]
	s_mul_i32 s12, s11, 24
	s_mul_hi_u32 s13, s10, 24
	s_mul_i32 s14, s10, 24
	s_add_i32 s12, s13, s12
	v_mov_b32_e32 v5, s12
	v_add_co_u32_e32 v4, vcc, s14, v0
	v_addc_co_u32_e32 v5, vcc, v1, v5, vcc
	s_and_saveexec_b64 s[12:13], s[4:5]
	s_cbranch_execz .LBB1_12
; %bb.11:                               ;   in Loop: Header=BB1_2 Depth=1
	v_mov_b32_e32 v52, s9
	v_mov_b32_e32 v51, s8
	global_store_dwordx4 v[4:5], v[51:54], off offset:8
.LBB1_12:                               ;   in Loop: Header=BB1_2 Depth=1
	s_or_b64 exec, exec, s[12:13]
	s_lshl_b64 s[8:9], s[10:11], 12
	v_mov_b32_e32 v6, s9
	v_add_co_u32_e32 v8, vcc, s8, v2
	v_addc_co_u32_e32 v9, vcc, v3, v6, vcc
	v_mov_b32_e32 v10, s36
	v_lshlrev_b32_e32 v40, 6, v55
	v_mov_b32_e32 v49, v50
	v_mov_b32_e32 v51, v50
	v_readfirstlane_b32 s8, v8
	v_readfirstlane_b32 s9, v9
	v_mov_b32_e32 v11, s37
	v_mov_b32_e32 v12, s38
	;; [unrolled: 1-line block ×3, first 2 shown]
	s_nop 1
	global_store_dwordx4 v40, v[48:51], s[8:9]
	global_store_dwordx4 v40, v[10:13], s[8:9] offset:16
	global_store_dwordx4 v40, v[10:13], s[8:9] offset:32
	;; [unrolled: 1-line block ×3, first 2 shown]
	s_and_saveexec_b64 s[8:9], s[4:5]
	s_cbranch_execz .LBB1_20
; %bb.13:                               ;   in Loop: Header=BB1_2 Depth=1
	global_load_dwordx2 v[12:13], v50, s[28:29] offset:32 glc
	global_load_dwordx2 v[2:3], v50, s[28:29] offset:40
	v_mov_b32_e32 v10, s6
	v_mov_b32_e32 v11, s7
	s_waitcnt vmcnt(0)
	v_and_b32_e32 v2, s6, v2
	v_and_b32_e32 v3, s7, v3
	v_mul_lo_u32 v3, v3, 24
	v_mul_hi_u32 v6, v2, 24
	v_mul_lo_u32 v2, v2, 24
	v_add_u32_e32 v3, v6, v3
	v_add_co_u32_e32 v6, vcc, v0, v2
	v_addc_co_u32_e32 v7, vcc, v1, v3, vcc
	global_store_dwordx2 v[6:7], v[12:13], off
	s_waitcnt vmcnt(0)
	global_atomic_cmpswap_x2 v[2:3], v50, v[10:13], s[28:29] offset:32 glc
	s_waitcnt vmcnt(0)
	v_cmp_ne_u64_e32 vcc, v[2:3], v[12:13]
	s_and_saveexec_b64 s[10:11], vcc
	s_cbranch_execz .LBB1_16
; %bb.14:                               ;   in Loop: Header=BB1_2 Depth=1
	s_mov_b64 s[12:13], 0
.LBB1_15:                               ;   Parent Loop BB1_2 Depth=1
                                        ; =>  This Inner Loop Header: Depth=2
	s_sleep 1
	global_store_dwordx2 v[6:7], v[2:3], off
	v_mov_b32_e32 v0, s6
	v_mov_b32_e32 v1, s7
	s_waitcnt vmcnt(0)
	global_atomic_cmpswap_x2 v[0:1], v50, v[0:3], s[28:29] offset:32 glc
	s_waitcnt vmcnt(0)
	v_cmp_eq_u64_e32 vcc, v[0:1], v[2:3]
	v_mov_b32_e32 v3, v1
	s_or_b64 s[12:13], vcc, s[12:13]
	v_mov_b32_e32 v2, v0
	s_andn2_b64 exec, exec, s[12:13]
	s_cbranch_execnz .LBB1_15
.LBB1_16:                               ;   in Loop: Header=BB1_2 Depth=1
	s_or_b64 exec, exec, s[10:11]
	global_load_dwordx2 v[0:1], v50, s[28:29] offset:16
	s_mov_b64 s[12:13], exec
	v_mbcnt_lo_u32_b32 v2, s12, 0
	v_mbcnt_hi_u32_b32 v2, s13, v2
	v_cmp_eq_u32_e32 vcc, 0, v2
	s_and_saveexec_b64 s[10:11], vcc
	s_cbranch_execz .LBB1_18
; %bb.17:                               ;   in Loop: Header=BB1_2 Depth=1
	s_bcnt1_i32_b64 s12, s[12:13]
	v_mov_b32_e32 v49, s12
	s_waitcnt vmcnt(0)
	global_atomic_add_x2 v[0:1], v[49:50], off offset:8
.LBB1_18:                               ;   in Loop: Header=BB1_2 Depth=1
	s_or_b64 exec, exec, s[10:11]
	s_waitcnt vmcnt(0)
	global_load_dwordx2 v[2:3], v[0:1], off offset:16
	s_waitcnt vmcnt(0)
	v_cmp_eq_u64_e32 vcc, 0, v[2:3]
	s_cbranch_vccnz .LBB1_20
; %bb.19:                               ;   in Loop: Header=BB1_2 Depth=1
	global_load_dword v49, v[0:1], off offset:24
	s_waitcnt vmcnt(0)
	v_and_b32_e32 v0, 0xffffff, v49
	v_readfirstlane_b32 m0, v0
	global_store_dwordx2 v[2:3], v[49:50], off
	s_sendmsg sendmsg(MSG_INTERRUPT)
.LBB1_20:                               ;   in Loop: Header=BB1_2 Depth=1
	s_or_b64 exec, exec, s[8:9]
	v_add_co_u32_e32 v0, vcc, v8, v40
	v_addc_co_u32_e32 v1, vcc, 0, v9, vcc
	s_branch .LBB1_24
.LBB1_21:                               ;   in Loop: Header=BB1_24 Depth=2
	s_or_b64 exec, exec, s[8:9]
	v_readfirstlane_b32 s8, v2
	s_cmp_eq_u32 s8, 0
	s_cbranch_scc1 .LBB1_23
; %bb.22:                               ;   in Loop: Header=BB1_24 Depth=2
	s_sleep 1
	s_cbranch_execnz .LBB1_24
	s_branch .LBB1_26
.LBB1_23:                               ;   in Loop: Header=BB1_2 Depth=1
	s_branch .LBB1_26
.LBB1_24:                               ;   Parent Loop BB1_2 Depth=1
                                        ; =>  This Inner Loop Header: Depth=2
	v_mov_b32_e32 v2, 1
	s_and_saveexec_b64 s[8:9], s[4:5]
	s_cbranch_execz .LBB1_21
; %bb.25:                               ;   in Loop: Header=BB1_24 Depth=2
	global_load_dword v2, v[4:5], off offset:20 glc
	s_waitcnt vmcnt(0)
	buffer_wbinvl1_vol
	v_and_b32_e32 v2, 1, v2
	s_branch .LBB1_21
.LBB1_26:                               ;   in Loop: Header=BB1_2 Depth=1
	global_load_dwordx2 v[0:1], v[0:1], off
	s_and_saveexec_b64 s[8:9], s[4:5]
	s_cbranch_execz .LBB1_30
; %bb.27:                               ;   in Loop: Header=BB1_2 Depth=1
	global_load_dwordx2 v[4:5], v50, s[28:29] offset:40
	global_load_dwordx2 v[8:9], v50, s[28:29] offset:24 glc
	global_load_dwordx2 v[6:7], v50, s[28:29]
	v_mov_b32_e32 v3, s7
	s_waitcnt vmcnt(2)
	v_add_co_u32_e32 v10, vcc, 1, v4
	v_addc_co_u32_e32 v11, vcc, 0, v5, vcc
	v_add_co_u32_e32 v2, vcc, s6, v10
	v_addc_co_u32_e32 v3, vcc, v11, v3, vcc
	v_cmp_eq_u64_e32 vcc, 0, v[2:3]
	v_cndmask_b32_e32 v3, v3, v11, vcc
	v_cndmask_b32_e32 v2, v2, v10, vcc
	v_and_b32_e32 v5, v3, v5
	v_and_b32_e32 v4, v2, v4
	v_mul_lo_u32 v5, v5, 24
	v_mul_hi_u32 v10, v4, 24
	v_mul_lo_u32 v11, v4, 24
	s_waitcnt vmcnt(1)
	v_mov_b32_e32 v4, v8
	v_add_u32_e32 v5, v10, v5
	s_waitcnt vmcnt(0)
	v_add_co_u32_e32 v6, vcc, v6, v11
	v_addc_co_u32_e32 v7, vcc, v7, v5, vcc
	global_store_dwordx2 v[6:7], v[8:9], off
	v_mov_b32_e32 v5, v9
	s_waitcnt vmcnt(0)
	global_atomic_cmpswap_x2 v[4:5], v50, v[2:5], s[28:29] offset:24 glc
	s_waitcnt vmcnt(0)
	v_cmp_ne_u64_e32 vcc, v[4:5], v[8:9]
	s_and_b64 exec, exec, vcc
	s_cbranch_execz .LBB1_30
; %bb.28:                               ;   in Loop: Header=BB1_2 Depth=1
	s_mov_b64 s[4:5], 0
.LBB1_29:                               ;   Parent Loop BB1_2 Depth=1
                                        ; =>  This Inner Loop Header: Depth=2
	s_sleep 1
	global_store_dwordx2 v[6:7], v[4:5], off
	s_waitcnt vmcnt(0)
	global_atomic_cmpswap_x2 v[8:9], v50, v[2:5], s[28:29] offset:24 glc
	s_waitcnt vmcnt(0)
	v_cmp_eq_u64_e32 vcc, v[8:9], v[4:5]
	v_mov_b32_e32 v4, v8
	s_or_b64 s[4:5], vcc, s[4:5]
	v_mov_b32_e32 v5, v9
	s_andn2_b64 exec, exec, s[4:5]
	s_cbranch_execnz .LBB1_29
.LBB1_30:                               ;   in Loop: Header=BB1_2 Depth=1
	s_or_b64 exec, exec, s[8:9]
	s_and_b64 vcc, exec, s[26:27]
	s_cbranch_vccz .LBB1_115
; %bb.31:                               ;   in Loop: Header=BB1_2 Depth=1
	s_waitcnt vmcnt(0)
	v_and_b32_e32 v25, 2, v0
	v_and_b32_e32 v2, -3, v0
	v_mov_b32_e32 v3, v1
	s_mov_b64 s[8:9], 4
	s_getpc_b64 s[6:7]
	s_add_u32 s6, s6, .str.7@rel32@lo+4
	s_addc_u32 s7, s7, .str.7@rel32@hi+12
	s_branch .LBB1_33
.LBB1_32:                               ;   in Loop: Header=BB1_33 Depth=2
	s_or_b64 exec, exec, s[14:15]
	s_sub_u32 s8, s8, s10
	s_subb_u32 s9, s9, s11
	s_add_u32 s6, s6, s10
	s_addc_u32 s7, s7, s11
	s_cmp_lg_u64 s[8:9], 0
	s_cbranch_scc0 .LBB1_114
.LBB1_33:                               ;   Parent Loop BB1_2 Depth=1
                                        ; =>  This Loop Header: Depth=2
                                        ;       Child Loop BB1_36 Depth 3
                                        ;       Child Loop BB1_43 Depth 3
	;; [unrolled: 1-line block ×11, first 2 shown]
	v_cmp_lt_u64_e64 s[4:5], s[8:9], 56
	v_cmp_gt_u64_e64 s[12:13], s[8:9], 7
	s_and_b64 s[4:5], s[4:5], exec
	s_cselect_b32 s11, s9, 0
	s_cselect_b32 s10, s8, 56
	s_and_b64 vcc, exec, s[12:13]
	s_cbranch_vccnz .LBB1_38
; %bb.34:                               ;   in Loop: Header=BB1_33 Depth=2
	s_waitcnt vmcnt(0)
	v_mov_b32_e32 v4, 0
	s_cmp_eq_u64 s[8:9], 0
	v_mov_b32_e32 v5, 0
	s_mov_b64 s[4:5], 0
	s_cbranch_scc1 .LBB1_37
; %bb.35:                               ;   in Loop: Header=BB1_33 Depth=2
	v_mov_b32_e32 v4, 0
	s_lshl_b64 s[12:13], s[10:11], 3
	s_mov_b64 s[14:15], 0
	v_mov_b32_e32 v5, 0
	s_mov_b64 s[16:17], s[6:7]
.LBB1_36:                               ;   Parent Loop BB1_2 Depth=1
                                        ;     Parent Loop BB1_33 Depth=2
                                        ; =>    This Inner Loop Header: Depth=3
	global_load_ubyte v6, v50, s[16:17]
	s_waitcnt vmcnt(0)
	v_and_b32_e32 v49, 0xffff, v6
	v_lshlrev_b64 v[6:7], s14, v[49:50]
	s_add_u32 s14, s14, 8
	s_addc_u32 s15, s15, 0
	s_add_u32 s16, s16, 1
	s_addc_u32 s17, s17, 0
	v_or_b32_e32 v4, v6, v4
	s_cmp_lg_u32 s12, s14
	v_or_b32_e32 v5, v7, v5
	s_cbranch_scc1 .LBB1_36
.LBB1_37:                               ;   in Loop: Header=BB1_33 Depth=2
	s_mov_b32 s16, 0
	s_andn2_b64 vcc, exec, s[4:5]
	s_mov_b64 s[4:5], s[6:7]
	s_cbranch_vccz .LBB1_39
	s_branch .LBB1_40
.LBB1_38:                               ;   in Loop: Header=BB1_33 Depth=2
                                        ; implicit-def: $vgpr4_vgpr5
                                        ; implicit-def: $sgpr16
	s_mov_b64 s[4:5], s[6:7]
.LBB1_39:                               ;   in Loop: Header=BB1_33 Depth=2
	global_load_dwordx2 v[4:5], v50, s[6:7]
	s_add_i32 s16, s10, -8
	s_add_u32 s4, s6, 8
	s_addc_u32 s5, s7, 0
.LBB1_40:                               ;   in Loop: Header=BB1_33 Depth=2
	s_cmp_gt_u32 s16, 7
	s_cbranch_scc1 .LBB1_44
; %bb.41:                               ;   in Loop: Header=BB1_33 Depth=2
	s_cmp_eq_u32 s16, 0
	s_cbranch_scc1 .LBB1_45
; %bb.42:                               ;   in Loop: Header=BB1_33 Depth=2
	v_mov_b32_e32 v6, 0
	s_mov_b64 s[12:13], 0
	v_mov_b32_e32 v7, 0
	s_mov_b64 s[14:15], 0
.LBB1_43:                               ;   Parent Loop BB1_2 Depth=1
                                        ;     Parent Loop BB1_33 Depth=2
                                        ; =>    This Inner Loop Header: Depth=3
	s_add_u32 s18, s4, s14
	s_addc_u32 s19, s5, s15
	global_load_ubyte v8, v50, s[18:19]
	s_add_u32 s14, s14, 1
	s_addc_u32 s15, s15, 0
	s_waitcnt vmcnt(0)
	v_and_b32_e32 v49, 0xffff, v8
	v_lshlrev_b64 v[8:9], s12, v[49:50]
	s_add_u32 s12, s12, 8
	s_addc_u32 s13, s13, 0
	v_or_b32_e32 v6, v8, v6
	s_cmp_lg_u32 s16, s14
	v_or_b32_e32 v7, v9, v7
	s_cbranch_scc1 .LBB1_43
	s_branch .LBB1_46
.LBB1_44:                               ;   in Loop: Header=BB1_33 Depth=2
                                        ; implicit-def: $vgpr6_vgpr7
                                        ; implicit-def: $sgpr17
	s_branch .LBB1_47
.LBB1_45:                               ;   in Loop: Header=BB1_33 Depth=2
	v_mov_b32_e32 v6, 0
	v_mov_b32_e32 v7, 0
.LBB1_46:                               ;   in Loop: Header=BB1_33 Depth=2
	s_mov_b32 s17, 0
	s_cbranch_execnz .LBB1_48
.LBB1_47:                               ;   in Loop: Header=BB1_33 Depth=2
	global_load_dwordx2 v[6:7], v50, s[4:5]
	s_add_i32 s17, s16, -8
	s_add_u32 s4, s4, 8
	s_addc_u32 s5, s5, 0
.LBB1_48:                               ;   in Loop: Header=BB1_33 Depth=2
	s_cmp_gt_u32 s17, 7
	s_cbranch_scc1 .LBB1_52
; %bb.49:                               ;   in Loop: Header=BB1_33 Depth=2
	s_cmp_eq_u32 s17, 0
	s_cbranch_scc1 .LBB1_53
; %bb.50:                               ;   in Loop: Header=BB1_33 Depth=2
	v_mov_b32_e32 v8, 0
	s_mov_b64 s[12:13], 0
	v_mov_b32_e32 v9, 0
	s_mov_b64 s[14:15], 0
.LBB1_51:                               ;   Parent Loop BB1_2 Depth=1
                                        ;     Parent Loop BB1_33 Depth=2
                                        ; =>    This Inner Loop Header: Depth=3
	s_add_u32 s18, s4, s14
	s_addc_u32 s19, s5, s15
	global_load_ubyte v10, v50, s[18:19]
	s_add_u32 s14, s14, 1
	s_addc_u32 s15, s15, 0
	s_waitcnt vmcnt(0)
	v_and_b32_e32 v49, 0xffff, v10
	v_lshlrev_b64 v[10:11], s12, v[49:50]
	s_add_u32 s12, s12, 8
	s_addc_u32 s13, s13, 0
	v_or_b32_e32 v8, v10, v8
	s_cmp_lg_u32 s17, s14
	v_or_b32_e32 v9, v11, v9
	s_cbranch_scc1 .LBB1_51
	s_branch .LBB1_54
.LBB1_52:                               ;   in Loop: Header=BB1_33 Depth=2
                                        ; implicit-def: $sgpr16
	s_branch .LBB1_55
.LBB1_53:                               ;   in Loop: Header=BB1_33 Depth=2
	v_mov_b32_e32 v8, 0
	v_mov_b32_e32 v9, 0
.LBB1_54:                               ;   in Loop: Header=BB1_33 Depth=2
	s_mov_b32 s16, 0
	s_cbranch_execnz .LBB1_56
.LBB1_55:                               ;   in Loop: Header=BB1_33 Depth=2
	global_load_dwordx2 v[8:9], v50, s[4:5]
	s_add_i32 s16, s17, -8
	s_add_u32 s4, s4, 8
	s_addc_u32 s5, s5, 0
.LBB1_56:                               ;   in Loop: Header=BB1_33 Depth=2
	s_cmp_gt_u32 s16, 7
	s_cbranch_scc1 .LBB1_60
; %bb.57:                               ;   in Loop: Header=BB1_33 Depth=2
	s_cmp_eq_u32 s16, 0
	s_cbranch_scc1 .LBB1_61
; %bb.58:                               ;   in Loop: Header=BB1_33 Depth=2
	v_mov_b32_e32 v10, 0
	s_mov_b64 s[12:13], 0
	v_mov_b32_e32 v11, 0
	s_mov_b64 s[14:15], 0
.LBB1_59:                               ;   Parent Loop BB1_2 Depth=1
                                        ;     Parent Loop BB1_33 Depth=2
                                        ; =>    This Inner Loop Header: Depth=3
	s_add_u32 s18, s4, s14
	s_addc_u32 s19, s5, s15
	global_load_ubyte v12, v50, s[18:19]
	s_add_u32 s14, s14, 1
	s_addc_u32 s15, s15, 0
	s_waitcnt vmcnt(0)
	v_and_b32_e32 v49, 0xffff, v12
	v_lshlrev_b64 v[12:13], s12, v[49:50]
	s_add_u32 s12, s12, 8
	s_addc_u32 s13, s13, 0
	v_or_b32_e32 v10, v12, v10
	s_cmp_lg_u32 s16, s14
	v_or_b32_e32 v11, v13, v11
	s_cbranch_scc1 .LBB1_59
	s_branch .LBB1_62
.LBB1_60:                               ;   in Loop: Header=BB1_33 Depth=2
                                        ; implicit-def: $vgpr10_vgpr11
                                        ; implicit-def: $sgpr17
	s_branch .LBB1_63
.LBB1_61:                               ;   in Loop: Header=BB1_33 Depth=2
	v_mov_b32_e32 v10, 0
	v_mov_b32_e32 v11, 0
.LBB1_62:                               ;   in Loop: Header=BB1_33 Depth=2
	s_mov_b32 s17, 0
	s_cbranch_execnz .LBB1_64
.LBB1_63:                               ;   in Loop: Header=BB1_33 Depth=2
	global_load_dwordx2 v[10:11], v50, s[4:5]
	s_add_i32 s17, s16, -8
	s_add_u32 s4, s4, 8
	s_addc_u32 s5, s5, 0
.LBB1_64:                               ;   in Loop: Header=BB1_33 Depth=2
	s_cmp_gt_u32 s17, 7
	s_cbranch_scc1 .LBB1_68
; %bb.65:                               ;   in Loop: Header=BB1_33 Depth=2
	s_cmp_eq_u32 s17, 0
	s_cbranch_scc1 .LBB1_69
; %bb.66:                               ;   in Loop: Header=BB1_33 Depth=2
	v_mov_b32_e32 v12, 0
	s_mov_b64 s[12:13], 0
	v_mov_b32_e32 v13, 0
	s_mov_b64 s[14:15], 0
.LBB1_67:                               ;   Parent Loop BB1_2 Depth=1
                                        ;     Parent Loop BB1_33 Depth=2
                                        ; =>    This Inner Loop Header: Depth=3
	s_add_u32 s18, s4, s14
	s_addc_u32 s19, s5, s15
	global_load_ubyte v14, v50, s[18:19]
	s_add_u32 s14, s14, 1
	s_addc_u32 s15, s15, 0
	s_waitcnt vmcnt(0)
	v_and_b32_e32 v49, 0xffff, v14
	v_lshlrev_b64 v[14:15], s12, v[49:50]
	s_add_u32 s12, s12, 8
	s_addc_u32 s13, s13, 0
	v_or_b32_e32 v12, v14, v12
	s_cmp_lg_u32 s17, s14
	v_or_b32_e32 v13, v15, v13
	s_cbranch_scc1 .LBB1_67
	s_branch .LBB1_70
.LBB1_68:                               ;   in Loop: Header=BB1_33 Depth=2
                                        ; implicit-def: $sgpr16
	s_branch .LBB1_71
.LBB1_69:                               ;   in Loop: Header=BB1_33 Depth=2
	v_mov_b32_e32 v12, 0
	v_mov_b32_e32 v13, 0
.LBB1_70:                               ;   in Loop: Header=BB1_33 Depth=2
	s_mov_b32 s16, 0
	s_cbranch_execnz .LBB1_72
.LBB1_71:                               ;   in Loop: Header=BB1_33 Depth=2
	global_load_dwordx2 v[12:13], v50, s[4:5]
	s_add_i32 s16, s17, -8
	s_add_u32 s4, s4, 8
	s_addc_u32 s5, s5, 0
.LBB1_72:                               ;   in Loop: Header=BB1_33 Depth=2
	s_cmp_gt_u32 s16, 7
	s_cbranch_scc1 .LBB1_76
; %bb.73:                               ;   in Loop: Header=BB1_33 Depth=2
	s_cmp_eq_u32 s16, 0
	s_cbranch_scc1 .LBB1_77
; %bb.74:                               ;   in Loop: Header=BB1_33 Depth=2
	v_mov_b32_e32 v14, 0
	s_mov_b64 s[12:13], 0
	v_mov_b32_e32 v15, 0
	s_mov_b64 s[14:15], 0
.LBB1_75:                               ;   Parent Loop BB1_2 Depth=1
                                        ;     Parent Loop BB1_33 Depth=2
                                        ; =>    This Inner Loop Header: Depth=3
	s_add_u32 s18, s4, s14
	s_addc_u32 s19, s5, s15
	global_load_ubyte v16, v50, s[18:19]
	s_add_u32 s14, s14, 1
	s_addc_u32 s15, s15, 0
	s_waitcnt vmcnt(0)
	v_and_b32_e32 v49, 0xffff, v16
	v_lshlrev_b64 v[16:17], s12, v[49:50]
	s_add_u32 s12, s12, 8
	s_addc_u32 s13, s13, 0
	v_or_b32_e32 v14, v16, v14
	s_cmp_lg_u32 s16, s14
	v_or_b32_e32 v15, v17, v15
	s_cbranch_scc1 .LBB1_75
	s_branch .LBB1_78
.LBB1_76:                               ;   in Loop: Header=BB1_33 Depth=2
                                        ; implicit-def: $vgpr14_vgpr15
                                        ; implicit-def: $sgpr17
	s_branch .LBB1_79
.LBB1_77:                               ;   in Loop: Header=BB1_33 Depth=2
	v_mov_b32_e32 v14, 0
	v_mov_b32_e32 v15, 0
.LBB1_78:                               ;   in Loop: Header=BB1_33 Depth=2
	s_mov_b32 s17, 0
	s_cbranch_execnz .LBB1_80
.LBB1_79:                               ;   in Loop: Header=BB1_33 Depth=2
	global_load_dwordx2 v[14:15], v50, s[4:5]
	s_add_i32 s17, s16, -8
	s_add_u32 s4, s4, 8
	s_addc_u32 s5, s5, 0
.LBB1_80:                               ;   in Loop: Header=BB1_33 Depth=2
	s_cmp_gt_u32 s17, 7
	s_cbranch_scc1 .LBB1_84
; %bb.81:                               ;   in Loop: Header=BB1_33 Depth=2
	s_cmp_eq_u32 s17, 0
	s_cbranch_scc1 .LBB1_85
; %bb.82:                               ;   in Loop: Header=BB1_33 Depth=2
	v_mov_b32_e32 v16, 0
	s_mov_b64 s[12:13], 0
	v_mov_b32_e32 v17, 0
	s_mov_b64 s[14:15], s[4:5]
.LBB1_83:                               ;   Parent Loop BB1_2 Depth=1
                                        ;     Parent Loop BB1_33 Depth=2
                                        ; =>    This Inner Loop Header: Depth=3
	global_load_ubyte v18, v50, s[14:15]
	s_add_i32 s17, s17, -1
	s_waitcnt vmcnt(0)
	v_and_b32_e32 v49, 0xffff, v18
	v_lshlrev_b64 v[18:19], s12, v[49:50]
	s_add_u32 s12, s12, 8
	s_addc_u32 s13, s13, 0
	s_add_u32 s14, s14, 1
	s_addc_u32 s15, s15, 0
	v_or_b32_e32 v16, v18, v16
	s_cmp_lg_u32 s17, 0
	v_or_b32_e32 v17, v19, v17
	s_cbranch_scc1 .LBB1_83
	s_branch .LBB1_86
.LBB1_84:                               ;   in Loop: Header=BB1_33 Depth=2
	s_branch .LBB1_87
.LBB1_85:                               ;   in Loop: Header=BB1_33 Depth=2
	v_mov_b32_e32 v16, 0
	v_mov_b32_e32 v17, 0
.LBB1_86:                               ;   in Loop: Header=BB1_33 Depth=2
	s_cbranch_execnz .LBB1_88
.LBB1_87:                               ;   in Loop: Header=BB1_33 Depth=2
	global_load_dwordx2 v[16:17], v50, s[4:5]
.LBB1_88:                               ;   in Loop: Header=BB1_33 Depth=2
	v_readfirstlane_b32 s4, v55
	v_mov_b32_e32 v22, 0
	v_mov_b32_e32 v23, 0
	v_cmp_eq_u32_e64 s[4:5], s4, v55
	s_and_saveexec_b64 s[12:13], s[4:5]
	s_cbranch_execz .LBB1_94
; %bb.89:                               ;   in Loop: Header=BB1_33 Depth=2
	global_load_dwordx2 v[20:21], v50, s[28:29] offset:24 glc
	s_waitcnt vmcnt(0)
	buffer_wbinvl1_vol
	global_load_dwordx2 v[18:19], v50, s[28:29] offset:40
	global_load_dwordx2 v[22:23], v50, s[28:29]
	s_waitcnt vmcnt(1)
	v_and_b32_e32 v18, v18, v20
	v_and_b32_e32 v19, v19, v21
	v_mul_lo_u32 v19, v19, 24
	v_mul_hi_u32 v26, v18, 24
	v_mul_lo_u32 v18, v18, 24
	v_add_u32_e32 v19, v26, v19
	s_waitcnt vmcnt(0)
	v_add_co_u32_e32 v18, vcc, v22, v18
	v_addc_co_u32_e32 v19, vcc, v23, v19, vcc
	global_load_dwordx2 v[18:19], v[18:19], off glc
	s_waitcnt vmcnt(0)
	global_atomic_cmpswap_x2 v[22:23], v50, v[18:21], s[28:29] offset:24 glc
	s_waitcnt vmcnt(0)
	buffer_wbinvl1_vol
	v_cmp_ne_u64_e32 vcc, v[22:23], v[20:21]
	s_and_saveexec_b64 s[14:15], vcc
	s_cbranch_execz .LBB1_93
; %bb.90:                               ;   in Loop: Header=BB1_33 Depth=2
	s_mov_b64 s[16:17], 0
.LBB1_91:                               ;   Parent Loop BB1_2 Depth=1
                                        ;     Parent Loop BB1_33 Depth=2
                                        ; =>    This Inner Loop Header: Depth=3
	s_sleep 1
	global_load_dwordx2 v[18:19], v50, s[28:29] offset:40
	global_load_dwordx2 v[26:27], v50, s[28:29]
	v_mov_b32_e32 v20, v22
	v_mov_b32_e32 v21, v23
	s_waitcnt vmcnt(1)
	v_and_b32_e32 v18, v18, v20
	s_waitcnt vmcnt(0)
	v_mad_u64_u32 v[22:23], s[18:19], v18, 24, v[26:27]
	v_and_b32_e32 v19, v19, v21
	v_mov_b32_e32 v18, v23
	v_mad_u64_u32 v[18:19], s[18:19], v19, 24, v[18:19]
	v_mov_b32_e32 v23, v18
	global_load_dwordx2 v[18:19], v[22:23], off glc
	s_waitcnt vmcnt(0)
	global_atomic_cmpswap_x2 v[22:23], v50, v[18:21], s[28:29] offset:24 glc
	s_waitcnt vmcnt(0)
	buffer_wbinvl1_vol
	v_cmp_eq_u64_e32 vcc, v[22:23], v[20:21]
	s_or_b64 s[16:17], vcc, s[16:17]
	s_andn2_b64 exec, exec, s[16:17]
	s_cbranch_execnz .LBB1_91
; %bb.92:                               ;   in Loop: Header=BB1_33 Depth=2
	s_or_b64 exec, exec, s[16:17]
.LBB1_93:                               ;   in Loop: Header=BB1_33 Depth=2
	s_or_b64 exec, exec, s[14:15]
.LBB1_94:                               ;   in Loop: Header=BB1_33 Depth=2
	s_or_b64 exec, exec, s[12:13]
	global_load_dwordx2 v[26:27], v50, s[28:29] offset:40
	global_load_dwordx4 v[18:21], v50, s[28:29]
	v_readfirstlane_b32 s12, v22
	v_readfirstlane_b32 s13, v23
	s_mov_b64 s[14:15], exec
	s_waitcnt vmcnt(1)
	v_readfirstlane_b32 s16, v26
	v_readfirstlane_b32 s17, v27
	s_and_b64 s[16:17], s[12:13], s[16:17]
	s_mul_i32 s18, s17, 24
	s_mul_hi_u32 s19, s16, 24
	s_mul_i32 s20, s16, 24
	s_add_i32 s18, s19, s18
	v_mov_b32_e32 v23, s18
	s_waitcnt vmcnt(0)
	v_add_co_u32_e32 v22, vcc, s20, v18
	v_addc_co_u32_e32 v23, vcc, v19, v23, vcc
	s_and_saveexec_b64 s[18:19], s[4:5]
	s_cbranch_execz .LBB1_96
; %bb.95:                               ;   in Loop: Header=BB1_33 Depth=2
	v_mov_b32_e32 v52, s15
	v_mov_b32_e32 v51, s14
	global_store_dwordx4 v[22:23], v[51:54], off offset:8
.LBB1_96:                               ;   in Loop: Header=BB1_33 Depth=2
	s_or_b64 exec, exec, s[18:19]
	s_lshl_b64 s[14:15], s[16:17], 12
	v_mov_b32_e32 v26, s15
	v_add_co_u32_e32 v20, vcc, s14, v20
	v_addc_co_u32_e32 v21, vcc, v21, v26, vcc
	v_cmp_gt_u64_e64 vcc, s[8:9], 56
	v_or_b32_e32 v27, v2, v25
	s_lshl_b32 s14, s10, 2
	v_cndmask_b32_e32 v2, v27, v2, vcc
	s_add_i32 s14, s14, 28
	v_or_b32_e32 v26, 0, v3
	s_and_b32 s14, s14, 0x1e0
	v_and_b32_e32 v2, 0xffffff1f, v2
	v_cndmask_b32_e32 v3, v26, v3, vcc
	v_or_b32_e32 v2, s14, v2
	v_lshlrev_b32_e32 v26, 6, v55
	v_readfirstlane_b32 s14, v20
	v_readfirstlane_b32 s15, v21
	s_nop 4
	global_store_dwordx4 v26, v[2:5], s[14:15]
	global_store_dwordx4 v26, v[6:9], s[14:15] offset:16
	global_store_dwordx4 v26, v[10:13], s[14:15] offset:32
	global_store_dwordx4 v26, v[14:17], s[14:15] offset:48
	s_and_saveexec_b64 s[14:15], s[4:5]
	s_cbranch_execz .LBB1_104
; %bb.97:                               ;   in Loop: Header=BB1_33 Depth=2
	global_load_dwordx2 v[10:11], v50, s[28:29] offset:32 glc
	global_load_dwordx2 v[2:3], v50, s[28:29] offset:40
	v_mov_b32_e32 v8, s12
	v_mov_b32_e32 v9, s13
	s_waitcnt vmcnt(0)
	v_readfirstlane_b32 s16, v2
	v_readfirstlane_b32 s17, v3
	s_and_b64 s[16:17], s[16:17], s[12:13]
	s_mul_i32 s17, s17, 24
	s_mul_hi_u32 s18, s16, 24
	s_mul_i32 s16, s16, 24
	s_add_i32 s17, s18, s17
	v_mov_b32_e32 v2, s17
	v_add_co_u32_e32 v6, vcc, s16, v18
	v_addc_co_u32_e32 v7, vcc, v19, v2, vcc
	global_store_dwordx2 v[6:7], v[10:11], off
	s_waitcnt vmcnt(0)
	global_atomic_cmpswap_x2 v[4:5], v50, v[8:11], s[28:29] offset:32 glc
	s_waitcnt vmcnt(0)
	v_cmp_ne_u64_e32 vcc, v[4:5], v[10:11]
	s_and_saveexec_b64 s[16:17], vcc
	s_cbranch_execz .LBB1_100
; %bb.98:                               ;   in Loop: Header=BB1_33 Depth=2
	s_mov_b64 s[18:19], 0
.LBB1_99:                               ;   Parent Loop BB1_2 Depth=1
                                        ;     Parent Loop BB1_33 Depth=2
                                        ; =>    This Inner Loop Header: Depth=3
	s_sleep 1
	global_store_dwordx2 v[6:7], v[4:5], off
	v_mov_b32_e32 v2, s12
	v_mov_b32_e32 v3, s13
	s_waitcnt vmcnt(0)
	global_atomic_cmpswap_x2 v[2:3], v50, v[2:5], s[28:29] offset:32 glc
	s_waitcnt vmcnt(0)
	v_cmp_eq_u64_e32 vcc, v[2:3], v[4:5]
	v_mov_b32_e32 v5, v3
	s_or_b64 s[18:19], vcc, s[18:19]
	v_mov_b32_e32 v4, v2
	s_andn2_b64 exec, exec, s[18:19]
	s_cbranch_execnz .LBB1_99
.LBB1_100:                              ;   in Loop: Header=BB1_33 Depth=2
	s_or_b64 exec, exec, s[16:17]
	global_load_dwordx2 v[2:3], v50, s[28:29] offset:16
	s_mov_b64 s[18:19], exec
	v_mbcnt_lo_u32_b32 v4, s18, 0
	v_mbcnt_hi_u32_b32 v4, s19, v4
	v_cmp_eq_u32_e32 vcc, 0, v4
	s_and_saveexec_b64 s[16:17], vcc
	s_cbranch_execz .LBB1_102
; %bb.101:                              ;   in Loop: Header=BB1_33 Depth=2
	s_bcnt1_i32_b64 s18, s[18:19]
	v_mov_b32_e32 v49, s18
	s_waitcnt vmcnt(0)
	global_atomic_add_x2 v[2:3], v[49:50], off offset:8
.LBB1_102:                              ;   in Loop: Header=BB1_33 Depth=2
	s_or_b64 exec, exec, s[16:17]
	s_waitcnt vmcnt(0)
	global_load_dwordx2 v[4:5], v[2:3], off offset:16
	s_waitcnt vmcnt(0)
	v_cmp_eq_u64_e32 vcc, 0, v[4:5]
	s_cbranch_vccnz .LBB1_104
; %bb.103:                              ;   in Loop: Header=BB1_33 Depth=2
	global_load_dword v49, v[2:3], off offset:24
	s_waitcnt vmcnt(0)
	v_and_b32_e32 v2, 0xffffff, v49
	v_readfirstlane_b32 m0, v2
	global_store_dwordx2 v[4:5], v[49:50], off
	s_sendmsg sendmsg(MSG_INTERRUPT)
.LBB1_104:                              ;   in Loop: Header=BB1_33 Depth=2
	s_or_b64 exec, exec, s[14:15]
	v_add_co_u32_e32 v2, vcc, v20, v26
	v_addc_co_u32_e32 v3, vcc, 0, v21, vcc
	s_branch .LBB1_108
.LBB1_105:                              ;   in Loop: Header=BB1_108 Depth=3
	s_or_b64 exec, exec, s[14:15]
	v_readfirstlane_b32 s14, v4
	s_cmp_eq_u32 s14, 0
	s_cbranch_scc1 .LBB1_107
; %bb.106:                              ;   in Loop: Header=BB1_108 Depth=3
	s_sleep 1
	s_cbranch_execnz .LBB1_108
	s_branch .LBB1_110
.LBB1_107:                              ;   in Loop: Header=BB1_33 Depth=2
	s_branch .LBB1_110
.LBB1_108:                              ;   Parent Loop BB1_2 Depth=1
                                        ;     Parent Loop BB1_33 Depth=2
                                        ; =>    This Inner Loop Header: Depth=3
	v_mov_b32_e32 v4, 1
	s_and_saveexec_b64 s[14:15], s[4:5]
	s_cbranch_execz .LBB1_105
; %bb.109:                              ;   in Loop: Header=BB1_108 Depth=3
	global_load_dword v4, v[22:23], off offset:20 glc
	s_waitcnt vmcnt(0)
	buffer_wbinvl1_vol
	v_and_b32_e32 v4, 1, v4
	s_branch .LBB1_105
.LBB1_110:                              ;   in Loop: Header=BB1_33 Depth=2
	global_load_dwordx4 v[2:5], v[2:3], off
	s_and_saveexec_b64 s[14:15], s[4:5]
	s_cbranch_execz .LBB1_32
; %bb.111:                              ;   in Loop: Header=BB1_33 Depth=2
	global_load_dwordx2 v[6:7], v50, s[28:29] offset:40
	global_load_dwordx2 v[10:11], v50, s[28:29] offset:24 glc
	global_load_dwordx2 v[8:9], v50, s[28:29]
	s_waitcnt vmcnt(3)
	v_mov_b32_e32 v5, s13
	s_waitcnt vmcnt(2)
	v_add_co_u32_e32 v12, vcc, 1, v6
	v_addc_co_u32_e32 v13, vcc, 0, v7, vcc
	v_add_co_u32_e32 v4, vcc, s12, v12
	v_addc_co_u32_e32 v5, vcc, v13, v5, vcc
	v_cmp_eq_u64_e32 vcc, 0, v[4:5]
	v_cndmask_b32_e32 v5, v5, v13, vcc
	v_cndmask_b32_e32 v4, v4, v12, vcc
	v_and_b32_e32 v7, v5, v7
	v_and_b32_e32 v6, v4, v6
	v_mul_lo_u32 v7, v7, 24
	v_mul_hi_u32 v12, v6, 24
	v_mul_lo_u32 v13, v6, 24
	s_waitcnt vmcnt(1)
	v_mov_b32_e32 v6, v10
	v_add_u32_e32 v7, v12, v7
	s_waitcnt vmcnt(0)
	v_add_co_u32_e32 v8, vcc, v8, v13
	v_addc_co_u32_e32 v9, vcc, v9, v7, vcc
	global_store_dwordx2 v[8:9], v[10:11], off
	v_mov_b32_e32 v7, v11
	s_waitcnt vmcnt(0)
	global_atomic_cmpswap_x2 v[6:7], v50, v[4:7], s[28:29] offset:24 glc
	s_waitcnt vmcnt(0)
	v_cmp_ne_u64_e32 vcc, v[6:7], v[10:11]
	s_and_b64 exec, exec, vcc
	s_cbranch_execz .LBB1_32
; %bb.112:                              ;   in Loop: Header=BB1_33 Depth=2
	s_mov_b64 s[4:5], 0
.LBB1_113:                              ;   Parent Loop BB1_2 Depth=1
                                        ;     Parent Loop BB1_33 Depth=2
                                        ; =>    This Inner Loop Header: Depth=3
	s_sleep 1
	global_store_dwordx2 v[8:9], v[6:7], off
	s_waitcnt vmcnt(0)
	global_atomic_cmpswap_x2 v[10:11], v50, v[4:7], s[28:29] offset:24 glc
	s_waitcnt vmcnt(0)
	v_cmp_eq_u64_e32 vcc, v[10:11], v[6:7]
	v_mov_b32_e32 v6, v10
	s_or_b64 s[4:5], vcc, s[4:5]
	v_mov_b32_e32 v7, v11
	s_andn2_b64 exec, exec, s[4:5]
	s_cbranch_execnz .LBB1_113
	s_branch .LBB1_32
.LBB1_114:                              ;   in Loop: Header=BB1_2 Depth=1
	s_branch .LBB1_143
.LBB1_115:                              ;   in Loop: Header=BB1_2 Depth=1
                                        ; implicit-def: $vgpr2_vgpr3
	s_cbranch_execz .LBB1_143
; %bb.116:                              ;   in Loop: Header=BB1_2 Depth=1
	v_readfirstlane_b32 s4, v55
	s_waitcnt vmcnt(0)
	v_mov_b32_e32 v2, 0
	v_mov_b32_e32 v3, 0
	v_cmp_eq_u32_e64 s[4:5], s4, v55
	s_and_saveexec_b64 s[6:7], s[4:5]
	s_cbranch_execz .LBB1_122
; %bb.117:                              ;   in Loop: Header=BB1_2 Depth=1
	global_load_dwordx2 v[4:5], v50, s[28:29] offset:24 glc
	s_waitcnt vmcnt(0)
	buffer_wbinvl1_vol
	global_load_dwordx2 v[2:3], v50, s[28:29] offset:40
	global_load_dwordx2 v[6:7], v50, s[28:29]
	s_waitcnt vmcnt(1)
	v_and_b32_e32 v2, v2, v4
	v_and_b32_e32 v3, v3, v5
	v_mul_lo_u32 v3, v3, 24
	v_mul_hi_u32 v8, v2, 24
	v_mul_lo_u32 v2, v2, 24
	v_add_u32_e32 v3, v8, v3
	s_waitcnt vmcnt(0)
	v_add_co_u32_e32 v2, vcc, v6, v2
	v_addc_co_u32_e32 v3, vcc, v7, v3, vcc
	global_load_dwordx2 v[2:3], v[2:3], off glc
	s_waitcnt vmcnt(0)
	global_atomic_cmpswap_x2 v[2:3], v50, v[2:5], s[28:29] offset:24 glc
	s_waitcnt vmcnt(0)
	buffer_wbinvl1_vol
	v_cmp_ne_u64_e32 vcc, v[2:3], v[4:5]
	s_and_saveexec_b64 s[8:9], vcc
	s_cbranch_execz .LBB1_121
; %bb.118:                              ;   in Loop: Header=BB1_2 Depth=1
	s_mov_b64 s[10:11], 0
.LBB1_119:                              ;   Parent Loop BB1_2 Depth=1
                                        ; =>  This Inner Loop Header: Depth=2
	s_sleep 1
	global_load_dwordx2 v[6:7], v50, s[28:29] offset:40
	global_load_dwordx2 v[8:9], v50, s[28:29]
	v_mov_b32_e32 v5, v3
	v_mov_b32_e32 v4, v2
	s_waitcnt vmcnt(1)
	v_and_b32_e32 v2, v6, v4
	s_waitcnt vmcnt(0)
	v_mad_u64_u32 v[2:3], s[12:13], v2, 24, v[8:9]
	v_and_b32_e32 v6, v7, v5
	v_mad_u64_u32 v[6:7], s[12:13], v6, 24, v[3:4]
	v_mov_b32_e32 v3, v6
	global_load_dwordx2 v[2:3], v[2:3], off glc
	s_waitcnt vmcnt(0)
	global_atomic_cmpswap_x2 v[2:3], v50, v[2:5], s[28:29] offset:24 glc
	s_waitcnt vmcnt(0)
	buffer_wbinvl1_vol
	v_cmp_eq_u64_e32 vcc, v[2:3], v[4:5]
	s_or_b64 s[10:11], vcc, s[10:11]
	s_andn2_b64 exec, exec, s[10:11]
	s_cbranch_execnz .LBB1_119
; %bb.120:                              ;   in Loop: Header=BB1_2 Depth=1
	s_or_b64 exec, exec, s[10:11]
.LBB1_121:                              ;   in Loop: Header=BB1_2 Depth=1
	s_or_b64 exec, exec, s[8:9]
.LBB1_122:                              ;   in Loop: Header=BB1_2 Depth=1
	s_or_b64 exec, exec, s[6:7]
	global_load_dwordx2 v[8:9], v50, s[28:29] offset:40
	global_load_dwordx4 v[4:7], v50, s[28:29]
	v_readfirstlane_b32 s6, v2
	v_readfirstlane_b32 s7, v3
	s_mov_b64 s[8:9], exec
	s_waitcnt vmcnt(1)
	v_readfirstlane_b32 s10, v8
	v_readfirstlane_b32 s11, v9
	s_and_b64 s[10:11], s[6:7], s[10:11]
	s_mul_i32 s12, s11, 24
	s_mul_hi_u32 s13, s10, 24
	s_mul_i32 s14, s10, 24
	s_add_i32 s12, s13, s12
	v_mov_b32_e32 v2, s12
	s_waitcnt vmcnt(0)
	v_add_co_u32_e32 v8, vcc, s14, v4
	v_addc_co_u32_e32 v9, vcc, v5, v2, vcc
	s_and_saveexec_b64 s[12:13], s[4:5]
	s_cbranch_execz .LBB1_124
; %bb.123:                              ;   in Loop: Header=BB1_2 Depth=1
	v_mov_b32_e32 v52, s9
	v_mov_b32_e32 v51, s8
	global_store_dwordx4 v[8:9], v[51:54], off offset:8
.LBB1_124:                              ;   in Loop: Header=BB1_2 Depth=1
	s_or_b64 exec, exec, s[12:13]
	s_lshl_b64 s[8:9], s[10:11], 12
	v_mov_b32_e32 v2, s9
	v_add_co_u32_e32 v6, vcc, s8, v6
	v_addc_co_u32_e32 v7, vcc, v7, v2, vcc
	v_and_or_b32 v0, v0, s23, 32
	v_lshlrev_b32_e32 v10, 6, v55
	v_mov_b32_e32 v2, v50
	v_mov_b32_e32 v3, v50
	v_readfirstlane_b32 s8, v6
	v_readfirstlane_b32 s9, v7
	s_nop 4
	global_store_dwordx4 v10, v[0:3], s[8:9]
	s_nop 0
	v_mov_b32_e32 v0, s36
	v_mov_b32_e32 v1, s37
	;; [unrolled: 1-line block ×4, first 2 shown]
	global_store_dwordx4 v10, v[0:3], s[8:9] offset:16
	global_store_dwordx4 v10, v[0:3], s[8:9] offset:32
	;; [unrolled: 1-line block ×3, first 2 shown]
	s_and_saveexec_b64 s[8:9], s[4:5]
	s_cbranch_execz .LBB1_132
; %bb.125:                              ;   in Loop: Header=BB1_2 Depth=1
	global_load_dwordx2 v[13:14], v50, s[28:29] offset:32 glc
	global_load_dwordx2 v[0:1], v50, s[28:29] offset:40
	v_mov_b32_e32 v11, s6
	v_mov_b32_e32 v12, s7
	s_waitcnt vmcnt(0)
	v_readfirstlane_b32 s10, v0
	v_readfirstlane_b32 s11, v1
	s_and_b64 s[10:11], s[10:11], s[6:7]
	s_mul_i32 s11, s11, 24
	s_mul_hi_u32 s12, s10, 24
	s_mul_i32 s10, s10, 24
	s_add_i32 s11, s12, s11
	v_mov_b32_e32 v0, s11
	v_add_co_u32_e32 v4, vcc, s10, v4
	v_addc_co_u32_e32 v5, vcc, v5, v0, vcc
	global_store_dwordx2 v[4:5], v[13:14], off
	s_waitcnt vmcnt(0)
	global_atomic_cmpswap_x2 v[2:3], v50, v[11:14], s[28:29] offset:32 glc
	s_waitcnt vmcnt(0)
	v_cmp_ne_u64_e32 vcc, v[2:3], v[13:14]
	s_and_saveexec_b64 s[10:11], vcc
	s_cbranch_execz .LBB1_128
; %bb.126:                              ;   in Loop: Header=BB1_2 Depth=1
	s_mov_b64 s[12:13], 0
.LBB1_127:                              ;   Parent Loop BB1_2 Depth=1
                                        ; =>  This Inner Loop Header: Depth=2
	s_sleep 1
	global_store_dwordx2 v[4:5], v[2:3], off
	v_mov_b32_e32 v0, s6
	v_mov_b32_e32 v1, s7
	s_waitcnt vmcnt(0)
	global_atomic_cmpswap_x2 v[0:1], v50, v[0:3], s[28:29] offset:32 glc
	s_waitcnt vmcnt(0)
	v_cmp_eq_u64_e32 vcc, v[0:1], v[2:3]
	v_mov_b32_e32 v3, v1
	s_or_b64 s[12:13], vcc, s[12:13]
	v_mov_b32_e32 v2, v0
	s_andn2_b64 exec, exec, s[12:13]
	s_cbranch_execnz .LBB1_127
.LBB1_128:                              ;   in Loop: Header=BB1_2 Depth=1
	s_or_b64 exec, exec, s[10:11]
	global_load_dwordx2 v[0:1], v50, s[28:29] offset:16
	s_mov_b64 s[12:13], exec
	v_mbcnt_lo_u32_b32 v2, s12, 0
	v_mbcnt_hi_u32_b32 v2, s13, v2
	v_cmp_eq_u32_e32 vcc, 0, v2
	s_and_saveexec_b64 s[10:11], vcc
	s_cbranch_execz .LBB1_130
; %bb.129:                              ;   in Loop: Header=BB1_2 Depth=1
	s_bcnt1_i32_b64 s12, s[12:13]
	v_mov_b32_e32 v49, s12
	s_waitcnt vmcnt(0)
	global_atomic_add_x2 v[0:1], v[49:50], off offset:8
.LBB1_130:                              ;   in Loop: Header=BB1_2 Depth=1
	s_or_b64 exec, exec, s[10:11]
	s_waitcnt vmcnt(0)
	global_load_dwordx2 v[2:3], v[0:1], off offset:16
	s_waitcnt vmcnt(0)
	v_cmp_eq_u64_e32 vcc, 0, v[2:3]
	s_cbranch_vccnz .LBB1_132
; %bb.131:                              ;   in Loop: Header=BB1_2 Depth=1
	global_load_dword v49, v[0:1], off offset:24
	s_waitcnt vmcnt(0)
	v_and_b32_e32 v0, 0xffffff, v49
	v_readfirstlane_b32 m0, v0
	global_store_dwordx2 v[2:3], v[49:50], off
	s_sendmsg sendmsg(MSG_INTERRUPT)
.LBB1_132:                              ;   in Loop: Header=BB1_2 Depth=1
	s_or_b64 exec, exec, s[8:9]
	v_add_co_u32_e32 v0, vcc, v6, v10
	v_addc_co_u32_e32 v1, vcc, 0, v7, vcc
	s_branch .LBB1_136
.LBB1_133:                              ;   in Loop: Header=BB1_136 Depth=2
	s_or_b64 exec, exec, s[8:9]
	v_readfirstlane_b32 s8, v2
	s_cmp_eq_u32 s8, 0
	s_cbranch_scc1 .LBB1_135
; %bb.134:                              ;   in Loop: Header=BB1_136 Depth=2
	s_sleep 1
	s_cbranch_execnz .LBB1_136
	s_branch .LBB1_138
.LBB1_135:                              ;   in Loop: Header=BB1_2 Depth=1
	s_branch .LBB1_138
.LBB1_136:                              ;   Parent Loop BB1_2 Depth=1
                                        ; =>  This Inner Loop Header: Depth=2
	v_mov_b32_e32 v2, 1
	s_and_saveexec_b64 s[8:9], s[4:5]
	s_cbranch_execz .LBB1_133
; %bb.137:                              ;   in Loop: Header=BB1_136 Depth=2
	global_load_dword v2, v[8:9], off offset:20 glc
	s_waitcnt vmcnt(0)
	buffer_wbinvl1_vol
	v_and_b32_e32 v2, 1, v2
	s_branch .LBB1_133
.LBB1_138:                              ;   in Loop: Header=BB1_2 Depth=1
	global_load_dwordx2 v[2:3], v[0:1], off
	s_and_saveexec_b64 s[8:9], s[4:5]
	s_cbranch_execz .LBB1_142
; %bb.139:                              ;   in Loop: Header=BB1_2 Depth=1
	global_load_dwordx2 v[0:1], v50, s[28:29] offset:40
	global_load_dwordx2 v[8:9], v50, s[28:29] offset:24 glc
	global_load_dwordx2 v[10:11], v50, s[28:29]
	v_mov_b32_e32 v5, s7
	s_waitcnt vmcnt(2)
	v_add_co_u32_e32 v6, vcc, 1, v0
	v_addc_co_u32_e32 v7, vcc, 0, v1, vcc
	v_add_co_u32_e32 v4, vcc, s6, v6
	v_addc_co_u32_e32 v5, vcc, v7, v5, vcc
	v_cmp_eq_u64_e32 vcc, 0, v[4:5]
	v_cndmask_b32_e32 v5, v5, v7, vcc
	v_cndmask_b32_e32 v4, v4, v6, vcc
	v_and_b32_e32 v1, v5, v1
	v_and_b32_e32 v0, v4, v0
	v_mul_lo_u32 v1, v1, 24
	v_mul_hi_u32 v7, v0, 24
	v_mul_lo_u32 v0, v0, 24
	s_waitcnt vmcnt(1)
	v_mov_b32_e32 v6, v8
	v_add_u32_e32 v1, v7, v1
	s_waitcnt vmcnt(0)
	v_add_co_u32_e32 v0, vcc, v10, v0
	v_addc_co_u32_e32 v1, vcc, v11, v1, vcc
	global_store_dwordx2 v[0:1], v[8:9], off
	v_mov_b32_e32 v7, v9
	s_waitcnt vmcnt(0)
	global_atomic_cmpswap_x2 v[6:7], v50, v[4:7], s[28:29] offset:24 glc
	s_waitcnt vmcnt(0)
	v_cmp_ne_u64_e32 vcc, v[6:7], v[8:9]
	s_and_b64 exec, exec, vcc
	s_cbranch_execz .LBB1_142
; %bb.140:                              ;   in Loop: Header=BB1_2 Depth=1
	s_mov_b64 s[4:5], 0
.LBB1_141:                              ;   Parent Loop BB1_2 Depth=1
                                        ; =>  This Inner Loop Header: Depth=2
	s_sleep 1
	global_store_dwordx2 v[0:1], v[6:7], off
	s_waitcnt vmcnt(0)
	global_atomic_cmpswap_x2 v[8:9], v50, v[4:7], s[28:29] offset:24 glc
	s_waitcnt vmcnt(0)
	v_cmp_eq_u64_e32 vcc, v[8:9], v[6:7]
	v_mov_b32_e32 v6, v8
	s_or_b64 s[4:5], vcc, s[4:5]
	v_mov_b32_e32 v7, v9
	s_andn2_b64 exec, exec, s[4:5]
	s_cbranch_execnz .LBB1_141
.LBB1_142:                              ;   in Loop: Header=BB1_2 Depth=1
	s_or_b64 exec, exec, s[8:9]
.LBB1_143:                              ;   in Loop: Header=BB1_2 Depth=1
	v_readfirstlane_b32 s4, v55
	s_waitcnt vmcnt(0)
	v_mov_b32_e32 v0, 0
	v_mov_b32_e32 v1, 0
	v_cmp_eq_u32_e64 s[4:5], s4, v55
	s_and_saveexec_b64 s[6:7], s[4:5]
	s_cbranch_execz .LBB1_149
; %bb.144:                              ;   in Loop: Header=BB1_2 Depth=1
	global_load_dwordx2 v[6:7], v50, s[28:29] offset:24 glc
	s_waitcnt vmcnt(0)
	buffer_wbinvl1_vol
	global_load_dwordx2 v[0:1], v50, s[28:29] offset:40
	global_load_dwordx2 v[4:5], v50, s[28:29]
	s_waitcnt vmcnt(1)
	v_and_b32_e32 v0, v0, v6
	v_and_b32_e32 v1, v1, v7
	v_mul_lo_u32 v1, v1, 24
	v_mul_hi_u32 v8, v0, 24
	v_mul_lo_u32 v0, v0, 24
	v_add_u32_e32 v1, v8, v1
	s_waitcnt vmcnt(0)
	v_add_co_u32_e32 v0, vcc, v4, v0
	v_addc_co_u32_e32 v1, vcc, v5, v1, vcc
	global_load_dwordx2 v[4:5], v[0:1], off glc
	s_waitcnt vmcnt(0)
	global_atomic_cmpswap_x2 v[0:1], v50, v[4:7], s[28:29] offset:24 glc
	s_waitcnt vmcnt(0)
	buffer_wbinvl1_vol
	v_cmp_ne_u64_e32 vcc, v[0:1], v[6:7]
	s_and_saveexec_b64 s[8:9], vcc
	s_cbranch_execz .LBB1_148
; %bb.145:                              ;   in Loop: Header=BB1_2 Depth=1
	s_mov_b64 s[10:11], 0
.LBB1_146:                              ;   Parent Loop BB1_2 Depth=1
                                        ; =>  This Inner Loop Header: Depth=2
	s_sleep 1
	global_load_dwordx2 v[4:5], v50, s[28:29] offset:40
	global_load_dwordx2 v[8:9], v50, s[28:29]
	v_mov_b32_e32 v7, v1
	v_mov_b32_e32 v6, v0
	s_waitcnt vmcnt(1)
	v_and_b32_e32 v0, v4, v6
	s_waitcnt vmcnt(0)
	v_mad_u64_u32 v[0:1], s[12:13], v0, 24, v[8:9]
	v_and_b32_e32 v4, v5, v7
	v_mad_u64_u32 v[4:5], s[12:13], v4, 24, v[1:2]
	v_mov_b32_e32 v1, v4
	global_load_dwordx2 v[4:5], v[0:1], off glc
	s_waitcnt vmcnt(0)
	global_atomic_cmpswap_x2 v[0:1], v50, v[4:7], s[28:29] offset:24 glc
	s_waitcnt vmcnt(0)
	buffer_wbinvl1_vol
	v_cmp_eq_u64_e32 vcc, v[0:1], v[6:7]
	s_or_b64 s[10:11], vcc, s[10:11]
	s_andn2_b64 exec, exec, s[10:11]
	s_cbranch_execnz .LBB1_146
; %bb.147:                              ;   in Loop: Header=BB1_2 Depth=1
	s_or_b64 exec, exec, s[10:11]
.LBB1_148:                              ;   in Loop: Header=BB1_2 Depth=1
	s_or_b64 exec, exec, s[8:9]
.LBB1_149:                              ;   in Loop: Header=BB1_2 Depth=1
	s_or_b64 exec, exec, s[6:7]
	global_load_dwordx2 v[4:5], v50, s[28:29] offset:40
	global_load_dwordx4 v[6:9], v50, s[28:29]
	v_readfirstlane_b32 s6, v0
	v_readfirstlane_b32 s7, v1
	s_mov_b64 s[8:9], exec
	s_waitcnt vmcnt(1)
	v_readfirstlane_b32 s10, v4
	v_readfirstlane_b32 s11, v5
	s_and_b64 s[10:11], s[6:7], s[10:11]
	s_mul_i32 s12, s11, 24
	s_mul_hi_u32 s13, s10, 24
	s_mul_i32 s14, s10, 24
	s_add_i32 s12, s13, s12
	v_mov_b32_e32 v0, s12
	s_waitcnt vmcnt(0)
	v_add_co_u32_e32 v10, vcc, s14, v6
	v_addc_co_u32_e32 v11, vcc, v7, v0, vcc
	s_and_saveexec_b64 s[12:13], s[4:5]
	s_cbranch_execz .LBB1_151
; %bb.150:                              ;   in Loop: Header=BB1_2 Depth=1
	v_mov_b32_e32 v52, s9
	v_mov_b32_e32 v51, s8
	global_store_dwordx4 v[10:11], v[51:54], off offset:8
.LBB1_151:                              ;   in Loop: Header=BB1_2 Depth=1
	s_or_b64 exec, exec, s[12:13]
	s_lshl_b64 s[8:9], s[10:11], 12
	v_mov_b32_e32 v0, s9
	v_add_co_u32_e32 v1, vcc, s8, v8
	v_addc_co_u32_e32 v0, vcc, v9, v0, vcc
	v_and_or_b32 v2, v2, s40, 34
	v_ashrrev_i32_e32 v5, 31, v24
	v_lshlrev_b32_e32 v8, 6, v55
	v_mov_b32_e32 v4, v24
	v_readfirstlane_b32 s8, v1
	v_readfirstlane_b32 s9, v0
	s_nop 4
	global_store_dwordx4 v8, v[2:5], s[8:9]
	v_mov_b32_e32 v0, s36
	v_mov_b32_e32 v1, s37
	;; [unrolled: 1-line block ×4, first 2 shown]
	global_store_dwordx4 v8, v[0:3], s[8:9] offset:16
	global_store_dwordx4 v8, v[0:3], s[8:9] offset:32
	;; [unrolled: 1-line block ×3, first 2 shown]
	s_and_saveexec_b64 s[8:9], s[4:5]
	s_cbranch_execz .LBB1_159
; %bb.152:                              ;   in Loop: Header=BB1_2 Depth=1
	global_load_dwordx2 v[14:15], v50, s[28:29] offset:32 glc
	global_load_dwordx2 v[0:1], v50, s[28:29] offset:40
	v_mov_b32_e32 v12, s6
	v_mov_b32_e32 v13, s7
	s_waitcnt vmcnt(0)
	v_readfirstlane_b32 s10, v0
	v_readfirstlane_b32 s11, v1
	s_and_b64 s[10:11], s[10:11], s[6:7]
	s_mul_i32 s11, s11, 24
	s_mul_hi_u32 s12, s10, 24
	s_mul_i32 s10, s10, 24
	s_add_i32 s11, s12, s11
	v_mov_b32_e32 v0, s11
	v_add_co_u32_e32 v4, vcc, s10, v6
	v_addc_co_u32_e32 v5, vcc, v7, v0, vcc
	global_store_dwordx2 v[4:5], v[14:15], off
	s_waitcnt vmcnt(0)
	global_atomic_cmpswap_x2 v[2:3], v50, v[12:15], s[28:29] offset:32 glc
	s_waitcnt vmcnt(0)
	v_cmp_ne_u64_e32 vcc, v[2:3], v[14:15]
	s_and_saveexec_b64 s[10:11], vcc
	s_cbranch_execz .LBB1_155
; %bb.153:                              ;   in Loop: Header=BB1_2 Depth=1
	s_mov_b64 s[12:13], 0
.LBB1_154:                              ;   Parent Loop BB1_2 Depth=1
                                        ; =>  This Inner Loop Header: Depth=2
	s_sleep 1
	global_store_dwordx2 v[4:5], v[2:3], off
	v_mov_b32_e32 v0, s6
	v_mov_b32_e32 v1, s7
	s_waitcnt vmcnt(0)
	global_atomic_cmpswap_x2 v[0:1], v50, v[0:3], s[28:29] offset:32 glc
	s_waitcnt vmcnt(0)
	v_cmp_eq_u64_e32 vcc, v[0:1], v[2:3]
	v_mov_b32_e32 v3, v1
	s_or_b64 s[12:13], vcc, s[12:13]
	v_mov_b32_e32 v2, v0
	s_andn2_b64 exec, exec, s[12:13]
	s_cbranch_execnz .LBB1_154
.LBB1_155:                              ;   in Loop: Header=BB1_2 Depth=1
	s_or_b64 exec, exec, s[10:11]
	global_load_dwordx2 v[0:1], v50, s[28:29] offset:16
	s_mov_b64 s[12:13], exec
	v_mbcnt_lo_u32_b32 v2, s12, 0
	v_mbcnt_hi_u32_b32 v2, s13, v2
	v_cmp_eq_u32_e32 vcc, 0, v2
	s_and_saveexec_b64 s[10:11], vcc
	s_cbranch_execz .LBB1_157
; %bb.156:                              ;   in Loop: Header=BB1_2 Depth=1
	s_bcnt1_i32_b64 s12, s[12:13]
	v_mov_b32_e32 v49, s12
	s_waitcnt vmcnt(0)
	global_atomic_add_x2 v[0:1], v[49:50], off offset:8
.LBB1_157:                              ;   in Loop: Header=BB1_2 Depth=1
	s_or_b64 exec, exec, s[10:11]
	s_waitcnt vmcnt(0)
	global_load_dwordx2 v[2:3], v[0:1], off offset:16
	s_waitcnt vmcnt(0)
	v_cmp_eq_u64_e32 vcc, 0, v[2:3]
	s_cbranch_vccnz .LBB1_159
; %bb.158:                              ;   in Loop: Header=BB1_2 Depth=1
	global_load_dword v49, v[0:1], off offset:24
	s_waitcnt vmcnt(0)
	v_and_b32_e32 v0, 0xffffff, v49
	v_readfirstlane_b32 m0, v0
	global_store_dwordx2 v[2:3], v[49:50], off
	s_sendmsg sendmsg(MSG_INTERRUPT)
.LBB1_159:                              ;   in Loop: Header=BB1_2 Depth=1
	s_or_b64 exec, exec, s[8:9]
	s_branch .LBB1_163
.LBB1_160:                              ;   in Loop: Header=BB1_163 Depth=2
	s_or_b64 exec, exec, s[8:9]
	v_readfirstlane_b32 s8, v0
	s_cmp_eq_u32 s8, 0
	s_cbranch_scc1 .LBB1_162
; %bb.161:                              ;   in Loop: Header=BB1_163 Depth=2
	s_sleep 1
	s_cbranch_execnz .LBB1_163
	s_branch .LBB1_165
.LBB1_162:                              ;   in Loop: Header=BB1_2 Depth=1
	s_branch .LBB1_165
.LBB1_163:                              ;   Parent Loop BB1_2 Depth=1
                                        ; =>  This Inner Loop Header: Depth=2
	v_mov_b32_e32 v0, 1
	s_and_saveexec_b64 s[8:9], s[4:5]
	s_cbranch_execz .LBB1_160
; %bb.164:                              ;   in Loop: Header=BB1_163 Depth=2
	global_load_dword v0, v[10:11], off offset:20 glc
	s_waitcnt vmcnt(0)
	buffer_wbinvl1_vol
	v_and_b32_e32 v0, 1, v0
	s_branch .LBB1_160
.LBB1_165:                              ;   in Loop: Header=BB1_2 Depth=1
	s_and_saveexec_b64 s[8:9], s[4:5]
	s_cbranch_execz .LBB1_1
; %bb.166:                              ;   in Loop: Header=BB1_2 Depth=1
	global_load_dwordx2 v[2:3], v50, s[28:29] offset:40
	global_load_dwordx2 v[6:7], v50, s[28:29] offset:24 glc
	global_load_dwordx2 v[4:5], v50, s[28:29]
	v_mov_b32_e32 v1, s7
	s_waitcnt vmcnt(2)
	v_add_co_u32_e32 v8, vcc, 1, v2
	v_addc_co_u32_e32 v9, vcc, 0, v3, vcc
	v_add_co_u32_e32 v0, vcc, s6, v8
	v_addc_co_u32_e32 v1, vcc, v9, v1, vcc
	v_cmp_eq_u64_e32 vcc, 0, v[0:1]
	v_cndmask_b32_e32 v1, v1, v9, vcc
	v_cndmask_b32_e32 v0, v0, v8, vcc
	v_and_b32_e32 v3, v1, v3
	v_and_b32_e32 v2, v0, v2
	v_mul_lo_u32 v3, v3, 24
	v_mul_hi_u32 v8, v2, 24
	v_mul_lo_u32 v9, v2, 24
	s_waitcnt vmcnt(1)
	v_mov_b32_e32 v2, v6
	v_add_u32_e32 v3, v8, v3
	s_waitcnt vmcnt(0)
	v_add_co_u32_e32 v4, vcc, v4, v9
	v_addc_co_u32_e32 v5, vcc, v5, v3, vcc
	global_store_dwordx2 v[4:5], v[6:7], off
	v_mov_b32_e32 v3, v7
	s_waitcnt vmcnt(0)
	global_atomic_cmpswap_x2 v[2:3], v50, v[0:3], s[28:29] offset:24 glc
	s_waitcnt vmcnt(0)
	v_cmp_ne_u64_e32 vcc, v[2:3], v[6:7]
	s_and_b64 exec, exec, vcc
	s_cbranch_execz .LBB1_1
; %bb.167:                              ;   in Loop: Header=BB1_2 Depth=1
	s_mov_b64 s[4:5], 0
.LBB1_168:                              ;   Parent Loop BB1_2 Depth=1
                                        ; =>  This Inner Loop Header: Depth=2
	s_sleep 1
	global_store_dwordx2 v[4:5], v[2:3], off
	s_waitcnt vmcnt(0)
	global_atomic_cmpswap_x2 v[6:7], v50, v[0:3], s[28:29] offset:24 glc
	s_waitcnt vmcnt(0)
	v_cmp_eq_u64_e32 vcc, v[6:7], v[2:3]
	v_mov_b32_e32 v2, v6
	s_or_b64 s[4:5], vcc, s[4:5]
	v_mov_b32_e32 v3, v7
	s_andn2_b64 exec, exec, s[4:5]
	s_cbranch_execnz .LBB1_168
	s_branch .LBB1_1
.LBB1_169:
	s_getpc_b64 s[34:35]
	s_add_u32 s34, s34, .str.8@rel32@lo+4
	s_addc_u32 s35, s35, .str.8@rel32@hi+12
	s_mov_b64 s[8:9], s[24:25]
	v_mov_b32_e32 v0, s34
	v_mov_b32_e32 v1, s35
	s_getpc_b64 s[36:37]
	s_add_u32 s36, s36, _ZNK8migraphx13basic_printerIZNS_4coutEvEUlT_E_ElsEPKc@rel32@lo+4
	s_addc_u32 s37, s37, _ZNK8migraphx13basic_printerIZNS_4coutEvEUlT_E_ElsEPKc@rel32@hi+12
	s_swappc_b64 s[30:31], s[36:37]
	s_getpc_b64 s[4:5]
	s_add_u32 s4, s4, .str.10@rel32@lo+4
	s_addc_u32 s5, s5, .str.10@rel32@hi+12
	s_mov_b64 s[8:9], s[24:25]
	v_mov_b32_e32 v0, s4
	v_mov_b32_e32 v1, s5
	s_swappc_b64 s[30:31], s[36:37]
	s_mov_b64 s[8:9], s[24:25]
	v_mov_b32_e32 v0, s34
	v_mov_b32_e32 v1, s35
	s_swappc_b64 s[30:31], s[36:37]
	flat_load_dwordx2 v[52:53], v[36:37] offset:8
	s_mov_b32 s35, 0
	v_mov_b32_e32 v38, 0
	s_mov_b32 s36, s35
	s_mov_b32 s37, s35
	s_mov_b32 s38, s35
	s_mov_b32 s39, s35
	s_movk_i32 s23, 0xff1f
	s_movk_i32 s40, 0xff1d
	v_mov_b32_e32 v50, 2
	v_mov_b32_e32 v51, 1
	;; [unrolled: 1-line block ×3, first 2 shown]
	s_mov_b32 s34, s35
	s_branch .LBB1_171
.LBB1_170:                              ;   in Loop: Header=BB1_171 Depth=1
	s_or_b64 exec, exec, s[8:9]
	s_add_i32 s34, s34, 1
	s_cmp_lg_u32 s34, 5
	s_cbranch_scc0 .LBB1_338
.LBB1_171:                              ; =>This Loop Header: Depth=1
                                        ;     Child Loop BB1_176 Depth 2
                                        ;     Child Loop BB1_184 Depth 2
	;; [unrolled: 1-line block ×9, first 2 shown]
                                        ;       Child Loop BB1_205 Depth 3
                                        ;       Child Loop BB1_212 Depth 3
                                        ;       Child Loop BB1_220 Depth 3
                                        ;       Child Loop BB1_228 Depth 3
                                        ;       Child Loop BB1_236 Depth 3
                                        ;       Child Loop BB1_244 Depth 3
                                        ;       Child Loop BB1_252 Depth 3
                                        ;       Child Loop BB1_260 Depth 3
                                        ;       Child Loop BB1_268 Depth 3
                                        ;       Child Loop BB1_277 Depth 3
                                        ;       Child Loop BB1_282 Depth 3
                                        ;     Child Loop BB1_315 Depth 2
                                        ;     Child Loop BB1_323 Depth 2
	;; [unrolled: 1-line block ×4, first 2 shown]
	s_cmp_eq_u32 s34, 0
	s_cbranch_scc1 .LBB1_173
; %bb.172:                              ;   in Loop: Header=BB1_171 Depth=1
	s_getpc_b64 s[4:5]
	s_add_u32 s4, s4, .str.11@rel32@lo+4
	s_addc_u32 s5, s5, .str.11@rel32@hi+12
	s_mov_b64 s[8:9], s[24:25]
	v_mov_b32_e32 v0, s4
	v_mov_b32_e32 v1, s5
	s_getpc_b64 s[6:7]
	s_add_u32 s6, s6, _ZNK8migraphx13basic_printerIZNS_4coutEvEUlT_E_ElsEPKc@rel32@lo+4
	s_addc_u32 s7, s7, _ZNK8migraphx13basic_printerIZNS_4coutEvEUlT_E_ElsEPKc@rel32@hi+12
	s_swappc_b64 s[30:31], s[6:7]
.LBB1_173:                              ;   in Loop: Header=BB1_171 Depth=1
	s_lshl_b64 s[4:5], s[34:35], 2
	v_mov_b32_e32 v1, s5
	s_waitcnt vmcnt(0) lgkmcnt(0)
	v_add_co_u32_e32 v0, vcc, s4, v52
	v_addc_co_u32_e32 v1, vcc, v53, v1, vcc
	flat_load_dword v24, v[0:1]
	v_readfirstlane_b32 s4, v55
	v_mov_b32_e32 v4, 0
	v_mov_b32_e32 v5, 0
	v_cmp_eq_u32_e64 s[4:5], s4, v55
	s_and_saveexec_b64 s[6:7], s[4:5]
	s_cbranch_execz .LBB1_179
; %bb.174:                              ;   in Loop: Header=BB1_171 Depth=1
	global_load_dwordx2 v[2:3], v38, s[28:29] offset:24 glc
	s_waitcnt vmcnt(0)
	buffer_wbinvl1_vol
	global_load_dwordx2 v[0:1], v38, s[28:29] offset:40
	global_load_dwordx2 v[4:5], v38, s[28:29]
	s_waitcnt vmcnt(0)
	v_and_b32_e32 v0, v0, v2
	v_and_b32_e32 v1, v1, v3
	v_mul_lo_u32 v1, v1, 24
	v_mul_hi_u32 v6, v0, 24
	v_mul_lo_u32 v0, v0, 24
	v_add_u32_e32 v1, v6, v1
	v_add_co_u32_e32 v0, vcc, v4, v0
	v_addc_co_u32_e32 v1, vcc, v5, v1, vcc
	global_load_dwordx2 v[0:1], v[0:1], off glc
	s_waitcnt vmcnt(0)
	global_atomic_cmpswap_x2 v[4:5], v38, v[0:3], s[28:29] offset:24 glc
	s_waitcnt vmcnt(0)
	buffer_wbinvl1_vol
	v_cmp_ne_u64_e32 vcc, v[4:5], v[2:3]
	s_and_saveexec_b64 s[8:9], vcc
	s_cbranch_execz .LBB1_178
; %bb.175:                              ;   in Loop: Header=BB1_171 Depth=1
	s_mov_b64 s[10:11], 0
.LBB1_176:                              ;   Parent Loop BB1_171 Depth=1
                                        ; =>  This Inner Loop Header: Depth=2
	s_sleep 1
	global_load_dwordx2 v[0:1], v38, s[28:29] offset:40
	global_load_dwordx2 v[6:7], v38, s[28:29]
	v_mov_b32_e32 v2, v4
	v_mov_b32_e32 v3, v5
	s_waitcnt vmcnt(0)
	v_and_b32_e32 v0, v0, v2
	v_mad_u64_u32 v[4:5], s[12:13], v0, 24, v[6:7]
	v_and_b32_e32 v1, v1, v3
	v_mov_b32_e32 v0, v5
	v_mad_u64_u32 v[0:1], s[12:13], v1, 24, v[0:1]
	v_mov_b32_e32 v5, v0
	global_load_dwordx2 v[0:1], v[4:5], off glc
	s_waitcnt vmcnt(0)
	global_atomic_cmpswap_x2 v[4:5], v38, v[0:3], s[28:29] offset:24 glc
	s_waitcnt vmcnt(0)
	buffer_wbinvl1_vol
	v_cmp_eq_u64_e32 vcc, v[4:5], v[2:3]
	s_or_b64 s[10:11], vcc, s[10:11]
	s_andn2_b64 exec, exec, s[10:11]
	s_cbranch_execnz .LBB1_176
; %bb.177:                              ;   in Loop: Header=BB1_171 Depth=1
	s_or_b64 exec, exec, s[10:11]
.LBB1_178:                              ;   in Loop: Header=BB1_171 Depth=1
	s_or_b64 exec, exec, s[8:9]
.LBB1_179:                              ;   in Loop: Header=BB1_171 Depth=1
	s_or_b64 exec, exec, s[6:7]
	global_load_dwordx2 v[6:7], v38, s[28:29] offset:40
	global_load_dwordx4 v[0:3], v38, s[28:29]
	v_readfirstlane_b32 s6, v4
	v_readfirstlane_b32 s7, v5
	s_mov_b64 s[8:9], exec
	s_waitcnt vmcnt(0)
	v_readfirstlane_b32 s10, v6
	v_readfirstlane_b32 s11, v7
	s_and_b64 s[10:11], s[6:7], s[10:11]
	s_mul_i32 s12, s11, 24
	s_mul_hi_u32 s13, s10, 24
	s_mul_i32 s14, s10, 24
	s_add_i32 s12, s13, s12
	v_mov_b32_e32 v5, s12
	v_add_co_u32_e32 v4, vcc, s14, v0
	v_addc_co_u32_e32 v5, vcc, v1, v5, vcc
	s_and_saveexec_b64 s[12:13], s[4:5]
	s_cbranch_execz .LBB1_181
; %bb.180:                              ;   in Loop: Header=BB1_171 Depth=1
	v_mov_b32_e32 v49, s9
	v_mov_b32_e32 v48, s8
	global_store_dwordx4 v[4:5], v[48:51], off offset:8
.LBB1_181:                              ;   in Loop: Header=BB1_171 Depth=1
	s_or_b64 exec, exec, s[12:13]
	s_lshl_b64 s[8:9], s[10:11], 12
	v_mov_b32_e32 v6, s9
	v_add_co_u32_e32 v8, vcc, s8, v2
	v_addc_co_u32_e32 v9, vcc, v3, v6, vcc
	v_mov_b32_e32 v10, s36
	v_mov_b32_e32 v37, v38
	;; [unrolled: 1-line block ×3, first 2 shown]
	v_readfirstlane_b32 s8, v8
	v_readfirstlane_b32 s9, v9
	v_mov_b32_e32 v11, s37
	v_mov_b32_e32 v12, s38
	;; [unrolled: 1-line block ×3, first 2 shown]
	s_nop 1
	global_store_dwordx4 v40, v[36:39], s[8:9]
	global_store_dwordx4 v40, v[10:13], s[8:9] offset:16
	global_store_dwordx4 v40, v[10:13], s[8:9] offset:32
	;; [unrolled: 1-line block ×3, first 2 shown]
	s_and_saveexec_b64 s[8:9], s[4:5]
	s_cbranch_execz .LBB1_189
; %bb.182:                              ;   in Loop: Header=BB1_171 Depth=1
	global_load_dwordx2 v[12:13], v38, s[28:29] offset:32 glc
	global_load_dwordx2 v[2:3], v38, s[28:29] offset:40
	v_mov_b32_e32 v10, s6
	v_mov_b32_e32 v11, s7
	s_waitcnt vmcnt(0)
	v_readfirstlane_b32 s10, v2
	v_readfirstlane_b32 s11, v3
	s_and_b64 s[10:11], s[10:11], s[6:7]
	s_mul_i32 s11, s11, 24
	s_mul_hi_u32 s12, s10, 24
	s_mul_i32 s10, s10, 24
	s_add_i32 s11, s12, s11
	v_mov_b32_e32 v2, s11
	v_add_co_u32_e32 v6, vcc, s10, v0
	v_addc_co_u32_e32 v7, vcc, v1, v2, vcc
	global_store_dwordx2 v[6:7], v[12:13], off
	s_waitcnt vmcnt(0)
	global_atomic_cmpswap_x2 v[2:3], v38, v[10:13], s[28:29] offset:32 glc
	s_waitcnt vmcnt(0)
	v_cmp_ne_u64_e32 vcc, v[2:3], v[12:13]
	s_and_saveexec_b64 s[10:11], vcc
	s_cbranch_execz .LBB1_185
; %bb.183:                              ;   in Loop: Header=BB1_171 Depth=1
	s_mov_b64 s[12:13], 0
.LBB1_184:                              ;   Parent Loop BB1_171 Depth=1
                                        ; =>  This Inner Loop Header: Depth=2
	s_sleep 1
	global_store_dwordx2 v[6:7], v[2:3], off
	v_mov_b32_e32 v0, s6
	v_mov_b32_e32 v1, s7
	s_waitcnt vmcnt(0)
	global_atomic_cmpswap_x2 v[0:1], v38, v[0:3], s[28:29] offset:32 glc
	s_waitcnt vmcnt(0)
	v_cmp_eq_u64_e32 vcc, v[0:1], v[2:3]
	v_mov_b32_e32 v3, v1
	s_or_b64 s[12:13], vcc, s[12:13]
	v_mov_b32_e32 v2, v0
	s_andn2_b64 exec, exec, s[12:13]
	s_cbranch_execnz .LBB1_184
.LBB1_185:                              ;   in Loop: Header=BB1_171 Depth=1
	s_or_b64 exec, exec, s[10:11]
	global_load_dwordx2 v[0:1], v38, s[28:29] offset:16
	s_mov_b64 s[12:13], exec
	v_mbcnt_lo_u32_b32 v2, s12, 0
	v_mbcnt_hi_u32_b32 v2, s13, v2
	v_cmp_eq_u32_e32 vcc, 0, v2
	s_and_saveexec_b64 s[10:11], vcc
	s_cbranch_execz .LBB1_187
; %bb.186:                              ;   in Loop: Header=BB1_171 Depth=1
	s_bcnt1_i32_b64 s12, s[12:13]
	v_mov_b32_e32 v37, s12
	s_waitcnt vmcnt(0)
	global_atomic_add_x2 v[0:1], v[37:38], off offset:8
.LBB1_187:                              ;   in Loop: Header=BB1_171 Depth=1
	s_or_b64 exec, exec, s[10:11]
	s_waitcnt vmcnt(0)
	global_load_dwordx2 v[2:3], v[0:1], off offset:16
	s_waitcnt vmcnt(0)
	v_cmp_eq_u64_e32 vcc, 0, v[2:3]
	s_cbranch_vccnz .LBB1_189
; %bb.188:                              ;   in Loop: Header=BB1_171 Depth=1
	global_load_dword v37, v[0:1], off offset:24
	s_waitcnt vmcnt(0)
	v_and_b32_e32 v0, 0xffffff, v37
	v_readfirstlane_b32 m0, v0
	global_store_dwordx2 v[2:3], v[37:38], off
	s_sendmsg sendmsg(MSG_INTERRUPT)
.LBB1_189:                              ;   in Loop: Header=BB1_171 Depth=1
	s_or_b64 exec, exec, s[8:9]
	v_add_co_u32_e32 v0, vcc, v8, v40
	v_addc_co_u32_e32 v1, vcc, 0, v9, vcc
	s_branch .LBB1_193
.LBB1_190:                              ;   in Loop: Header=BB1_193 Depth=2
	s_or_b64 exec, exec, s[8:9]
	v_readfirstlane_b32 s8, v2
	s_cmp_eq_u32 s8, 0
	s_cbranch_scc1 .LBB1_192
; %bb.191:                              ;   in Loop: Header=BB1_193 Depth=2
	s_sleep 1
	s_cbranch_execnz .LBB1_193
	s_branch .LBB1_195
.LBB1_192:                              ;   in Loop: Header=BB1_171 Depth=1
	s_branch .LBB1_195
.LBB1_193:                              ;   Parent Loop BB1_171 Depth=1
                                        ; =>  This Inner Loop Header: Depth=2
	v_mov_b32_e32 v2, 1
	s_and_saveexec_b64 s[8:9], s[4:5]
	s_cbranch_execz .LBB1_190
; %bb.194:                              ;   in Loop: Header=BB1_193 Depth=2
	global_load_dword v2, v[4:5], off offset:20 glc
	s_waitcnt vmcnt(0)
	buffer_wbinvl1_vol
	v_and_b32_e32 v2, 1, v2
	s_branch .LBB1_190
.LBB1_195:                              ;   in Loop: Header=BB1_171 Depth=1
	global_load_dwordx2 v[0:1], v[0:1], off
	s_and_saveexec_b64 s[8:9], s[4:5]
	s_cbranch_execz .LBB1_199
; %bb.196:                              ;   in Loop: Header=BB1_171 Depth=1
	global_load_dwordx2 v[4:5], v38, s[28:29] offset:40
	global_load_dwordx2 v[8:9], v38, s[28:29] offset:24 glc
	global_load_dwordx2 v[6:7], v38, s[28:29]
	v_mov_b32_e32 v3, s7
	s_waitcnt vmcnt(0)
	v_add_co_u32_e32 v10, vcc, 1, v4
	v_addc_co_u32_e32 v11, vcc, 0, v5, vcc
	v_add_co_u32_e32 v2, vcc, s6, v10
	v_addc_co_u32_e32 v3, vcc, v11, v3, vcc
	v_cmp_eq_u64_e32 vcc, 0, v[2:3]
	v_cndmask_b32_e32 v3, v3, v11, vcc
	v_cndmask_b32_e32 v2, v2, v10, vcc
	v_and_b32_e32 v5, v3, v5
	v_and_b32_e32 v4, v2, v4
	v_mul_lo_u32 v5, v5, 24
	v_mul_hi_u32 v10, v4, 24
	v_mul_lo_u32 v11, v4, 24
	v_mov_b32_e32 v4, v8
	v_add_u32_e32 v5, v10, v5
	v_add_co_u32_e32 v6, vcc, v6, v11
	v_addc_co_u32_e32 v7, vcc, v7, v5, vcc
	global_store_dwordx2 v[6:7], v[8:9], off
	v_mov_b32_e32 v5, v9
	s_waitcnt vmcnt(0)
	global_atomic_cmpswap_x2 v[4:5], v38, v[2:5], s[28:29] offset:24 glc
	s_waitcnt vmcnt(0)
	v_cmp_ne_u64_e32 vcc, v[4:5], v[8:9]
	s_and_b64 exec, exec, vcc
	s_cbranch_execz .LBB1_199
; %bb.197:                              ;   in Loop: Header=BB1_171 Depth=1
	s_mov_b64 s[4:5], 0
.LBB1_198:                              ;   Parent Loop BB1_171 Depth=1
                                        ; =>  This Inner Loop Header: Depth=2
	s_sleep 1
	global_store_dwordx2 v[6:7], v[4:5], off
	s_waitcnt vmcnt(0)
	global_atomic_cmpswap_x2 v[8:9], v38, v[2:5], s[28:29] offset:24 glc
	s_waitcnt vmcnt(0)
	v_cmp_eq_u64_e32 vcc, v[8:9], v[4:5]
	v_mov_b32_e32 v4, v8
	s_or_b64 s[4:5], vcc, s[4:5]
	v_mov_b32_e32 v5, v9
	s_andn2_b64 exec, exec, s[4:5]
	s_cbranch_execnz .LBB1_198
.LBB1_199:                              ;   in Loop: Header=BB1_171 Depth=1
	s_or_b64 exec, exec, s[8:9]
	s_and_b64 vcc, exec, s[26:27]
	s_cbranch_vccz .LBB1_284
; %bb.200:                              ;   in Loop: Header=BB1_171 Depth=1
	s_waitcnt vmcnt(0)
	v_and_b32_e32 v25, 2, v0
	v_and_b32_e32 v2, -3, v0
	v_mov_b32_e32 v3, v1
	s_mov_b64 s[8:9], 4
	s_getpc_b64 s[6:7]
	s_add_u32 s6, s6, .str.7@rel32@lo+4
	s_addc_u32 s7, s7, .str.7@rel32@hi+12
	s_branch .LBB1_202
.LBB1_201:                              ;   in Loop: Header=BB1_202 Depth=2
	s_or_b64 exec, exec, s[14:15]
	s_sub_u32 s8, s8, s10
	s_subb_u32 s9, s9, s11
	s_add_u32 s6, s6, s10
	s_addc_u32 s7, s7, s11
	s_cmp_lg_u64 s[8:9], 0
	s_cbranch_scc0 .LBB1_283
.LBB1_202:                              ;   Parent Loop BB1_171 Depth=1
                                        ; =>  This Loop Header: Depth=2
                                        ;       Child Loop BB1_205 Depth 3
                                        ;       Child Loop BB1_212 Depth 3
	;; [unrolled: 1-line block ×11, first 2 shown]
	v_cmp_lt_u64_e64 s[4:5], s[8:9], 56
	v_cmp_gt_u64_e64 s[12:13], s[8:9], 7
	s_and_b64 s[4:5], s[4:5], exec
	s_cselect_b32 s11, s9, 0
	s_cselect_b32 s10, s8, 56
	s_and_b64 vcc, exec, s[12:13]
	s_cbranch_vccnz .LBB1_207
; %bb.203:                              ;   in Loop: Header=BB1_202 Depth=2
	s_waitcnt vmcnt(0)
	v_mov_b32_e32 v4, 0
	s_cmp_eq_u64 s[8:9], 0
	v_mov_b32_e32 v5, 0
	s_mov_b64 s[4:5], 0
	s_cbranch_scc1 .LBB1_206
; %bb.204:                              ;   in Loop: Header=BB1_202 Depth=2
	v_mov_b32_e32 v4, 0
	s_lshl_b64 s[12:13], s[10:11], 3
	s_mov_b64 s[14:15], 0
	v_mov_b32_e32 v5, 0
	s_mov_b64 s[16:17], s[6:7]
.LBB1_205:                              ;   Parent Loop BB1_171 Depth=1
                                        ;     Parent Loop BB1_202 Depth=2
                                        ; =>    This Inner Loop Header: Depth=3
	global_load_ubyte v6, v38, s[16:17]
	s_waitcnt vmcnt(0)
	v_and_b32_e32 v37, 0xffff, v6
	v_lshlrev_b64 v[6:7], s14, v[37:38]
	s_add_u32 s14, s14, 8
	s_addc_u32 s15, s15, 0
	s_add_u32 s16, s16, 1
	s_addc_u32 s17, s17, 0
	v_or_b32_e32 v4, v6, v4
	s_cmp_lg_u32 s12, s14
	v_or_b32_e32 v5, v7, v5
	s_cbranch_scc1 .LBB1_205
.LBB1_206:                              ;   in Loop: Header=BB1_202 Depth=2
	s_mov_b32 s16, 0
	s_andn2_b64 vcc, exec, s[4:5]
	s_mov_b64 s[4:5], s[6:7]
	s_cbranch_vccz .LBB1_208
	s_branch .LBB1_209
.LBB1_207:                              ;   in Loop: Header=BB1_202 Depth=2
                                        ; implicit-def: $vgpr4_vgpr5
                                        ; implicit-def: $sgpr16
	s_mov_b64 s[4:5], s[6:7]
.LBB1_208:                              ;   in Loop: Header=BB1_202 Depth=2
	global_load_dwordx2 v[4:5], v38, s[6:7]
	s_add_i32 s16, s10, -8
	s_add_u32 s4, s6, 8
	s_addc_u32 s5, s7, 0
.LBB1_209:                              ;   in Loop: Header=BB1_202 Depth=2
	s_cmp_gt_u32 s16, 7
	s_cbranch_scc1 .LBB1_213
; %bb.210:                              ;   in Loop: Header=BB1_202 Depth=2
	s_cmp_eq_u32 s16, 0
	s_cbranch_scc1 .LBB1_214
; %bb.211:                              ;   in Loop: Header=BB1_202 Depth=2
	v_mov_b32_e32 v6, 0
	s_mov_b64 s[12:13], 0
	v_mov_b32_e32 v7, 0
	s_mov_b64 s[14:15], 0
.LBB1_212:                              ;   Parent Loop BB1_171 Depth=1
                                        ;     Parent Loop BB1_202 Depth=2
                                        ; =>    This Inner Loop Header: Depth=3
	s_add_u32 s18, s4, s14
	s_addc_u32 s19, s5, s15
	global_load_ubyte v8, v38, s[18:19]
	s_add_u32 s14, s14, 1
	s_addc_u32 s15, s15, 0
	s_waitcnt vmcnt(0)
	v_and_b32_e32 v37, 0xffff, v8
	v_lshlrev_b64 v[8:9], s12, v[37:38]
	s_add_u32 s12, s12, 8
	s_addc_u32 s13, s13, 0
	v_or_b32_e32 v6, v8, v6
	s_cmp_lg_u32 s16, s14
	v_or_b32_e32 v7, v9, v7
	s_cbranch_scc1 .LBB1_212
	s_branch .LBB1_215
.LBB1_213:                              ;   in Loop: Header=BB1_202 Depth=2
                                        ; implicit-def: $vgpr6_vgpr7
                                        ; implicit-def: $sgpr17
	s_branch .LBB1_216
.LBB1_214:                              ;   in Loop: Header=BB1_202 Depth=2
	v_mov_b32_e32 v6, 0
	v_mov_b32_e32 v7, 0
.LBB1_215:                              ;   in Loop: Header=BB1_202 Depth=2
	s_mov_b32 s17, 0
	s_cbranch_execnz .LBB1_217
.LBB1_216:                              ;   in Loop: Header=BB1_202 Depth=2
	global_load_dwordx2 v[6:7], v38, s[4:5]
	s_add_i32 s17, s16, -8
	s_add_u32 s4, s4, 8
	s_addc_u32 s5, s5, 0
.LBB1_217:                              ;   in Loop: Header=BB1_202 Depth=2
	s_cmp_gt_u32 s17, 7
	s_cbranch_scc1 .LBB1_221
; %bb.218:                              ;   in Loop: Header=BB1_202 Depth=2
	s_cmp_eq_u32 s17, 0
	s_cbranch_scc1 .LBB1_222
; %bb.219:                              ;   in Loop: Header=BB1_202 Depth=2
	v_mov_b32_e32 v8, 0
	s_mov_b64 s[12:13], 0
	v_mov_b32_e32 v9, 0
	s_mov_b64 s[14:15], 0
.LBB1_220:                              ;   Parent Loop BB1_171 Depth=1
                                        ;     Parent Loop BB1_202 Depth=2
                                        ; =>    This Inner Loop Header: Depth=3
	s_add_u32 s18, s4, s14
	s_addc_u32 s19, s5, s15
	global_load_ubyte v10, v38, s[18:19]
	s_add_u32 s14, s14, 1
	s_addc_u32 s15, s15, 0
	s_waitcnt vmcnt(0)
	v_and_b32_e32 v37, 0xffff, v10
	v_lshlrev_b64 v[10:11], s12, v[37:38]
	s_add_u32 s12, s12, 8
	s_addc_u32 s13, s13, 0
	v_or_b32_e32 v8, v10, v8
	s_cmp_lg_u32 s17, s14
	v_or_b32_e32 v9, v11, v9
	s_cbranch_scc1 .LBB1_220
	s_branch .LBB1_223
.LBB1_221:                              ;   in Loop: Header=BB1_202 Depth=2
                                        ; implicit-def: $sgpr16
	s_branch .LBB1_224
.LBB1_222:                              ;   in Loop: Header=BB1_202 Depth=2
	v_mov_b32_e32 v8, 0
	v_mov_b32_e32 v9, 0
.LBB1_223:                              ;   in Loop: Header=BB1_202 Depth=2
	s_mov_b32 s16, 0
	s_cbranch_execnz .LBB1_225
.LBB1_224:                              ;   in Loop: Header=BB1_202 Depth=2
	global_load_dwordx2 v[8:9], v38, s[4:5]
	s_add_i32 s16, s17, -8
	s_add_u32 s4, s4, 8
	s_addc_u32 s5, s5, 0
.LBB1_225:                              ;   in Loop: Header=BB1_202 Depth=2
	s_cmp_gt_u32 s16, 7
	s_cbranch_scc1 .LBB1_229
; %bb.226:                              ;   in Loop: Header=BB1_202 Depth=2
	s_cmp_eq_u32 s16, 0
	s_cbranch_scc1 .LBB1_230
; %bb.227:                              ;   in Loop: Header=BB1_202 Depth=2
	v_mov_b32_e32 v10, 0
	s_mov_b64 s[12:13], 0
	v_mov_b32_e32 v11, 0
	s_mov_b64 s[14:15], 0
.LBB1_228:                              ;   Parent Loop BB1_171 Depth=1
                                        ;     Parent Loop BB1_202 Depth=2
                                        ; =>    This Inner Loop Header: Depth=3
	s_add_u32 s18, s4, s14
	s_addc_u32 s19, s5, s15
	global_load_ubyte v12, v38, s[18:19]
	s_add_u32 s14, s14, 1
	s_addc_u32 s15, s15, 0
	s_waitcnt vmcnt(0)
	v_and_b32_e32 v37, 0xffff, v12
	v_lshlrev_b64 v[12:13], s12, v[37:38]
	s_add_u32 s12, s12, 8
	s_addc_u32 s13, s13, 0
	v_or_b32_e32 v10, v12, v10
	s_cmp_lg_u32 s16, s14
	v_or_b32_e32 v11, v13, v11
	s_cbranch_scc1 .LBB1_228
	s_branch .LBB1_231
.LBB1_229:                              ;   in Loop: Header=BB1_202 Depth=2
                                        ; implicit-def: $vgpr10_vgpr11
                                        ; implicit-def: $sgpr17
	s_branch .LBB1_232
.LBB1_230:                              ;   in Loop: Header=BB1_202 Depth=2
	v_mov_b32_e32 v10, 0
	v_mov_b32_e32 v11, 0
.LBB1_231:                              ;   in Loop: Header=BB1_202 Depth=2
	s_mov_b32 s17, 0
	s_cbranch_execnz .LBB1_233
.LBB1_232:                              ;   in Loop: Header=BB1_202 Depth=2
	global_load_dwordx2 v[10:11], v38, s[4:5]
	s_add_i32 s17, s16, -8
	s_add_u32 s4, s4, 8
	s_addc_u32 s5, s5, 0
.LBB1_233:                              ;   in Loop: Header=BB1_202 Depth=2
	s_cmp_gt_u32 s17, 7
	s_cbranch_scc1 .LBB1_237
; %bb.234:                              ;   in Loop: Header=BB1_202 Depth=2
	s_cmp_eq_u32 s17, 0
	s_cbranch_scc1 .LBB1_238
; %bb.235:                              ;   in Loop: Header=BB1_202 Depth=2
	v_mov_b32_e32 v12, 0
	s_mov_b64 s[12:13], 0
	v_mov_b32_e32 v13, 0
	s_mov_b64 s[14:15], 0
.LBB1_236:                              ;   Parent Loop BB1_171 Depth=1
                                        ;     Parent Loop BB1_202 Depth=2
                                        ; =>    This Inner Loop Header: Depth=3
	s_add_u32 s18, s4, s14
	s_addc_u32 s19, s5, s15
	global_load_ubyte v14, v38, s[18:19]
	s_add_u32 s14, s14, 1
	s_addc_u32 s15, s15, 0
	s_waitcnt vmcnt(0)
	v_and_b32_e32 v37, 0xffff, v14
	v_lshlrev_b64 v[14:15], s12, v[37:38]
	s_add_u32 s12, s12, 8
	s_addc_u32 s13, s13, 0
	v_or_b32_e32 v12, v14, v12
	s_cmp_lg_u32 s17, s14
	v_or_b32_e32 v13, v15, v13
	s_cbranch_scc1 .LBB1_236
	s_branch .LBB1_239
.LBB1_237:                              ;   in Loop: Header=BB1_202 Depth=2
                                        ; implicit-def: $sgpr16
	s_branch .LBB1_240
.LBB1_238:                              ;   in Loop: Header=BB1_202 Depth=2
	v_mov_b32_e32 v12, 0
	v_mov_b32_e32 v13, 0
.LBB1_239:                              ;   in Loop: Header=BB1_202 Depth=2
	s_mov_b32 s16, 0
	s_cbranch_execnz .LBB1_241
.LBB1_240:                              ;   in Loop: Header=BB1_202 Depth=2
	global_load_dwordx2 v[12:13], v38, s[4:5]
	s_add_i32 s16, s17, -8
	s_add_u32 s4, s4, 8
	s_addc_u32 s5, s5, 0
.LBB1_241:                              ;   in Loop: Header=BB1_202 Depth=2
	s_cmp_gt_u32 s16, 7
	s_cbranch_scc1 .LBB1_245
; %bb.242:                              ;   in Loop: Header=BB1_202 Depth=2
	s_cmp_eq_u32 s16, 0
	s_cbranch_scc1 .LBB1_246
; %bb.243:                              ;   in Loop: Header=BB1_202 Depth=2
	v_mov_b32_e32 v14, 0
	s_mov_b64 s[12:13], 0
	v_mov_b32_e32 v15, 0
	s_mov_b64 s[14:15], 0
.LBB1_244:                              ;   Parent Loop BB1_171 Depth=1
                                        ;     Parent Loop BB1_202 Depth=2
                                        ; =>    This Inner Loop Header: Depth=3
	s_add_u32 s18, s4, s14
	s_addc_u32 s19, s5, s15
	global_load_ubyte v16, v38, s[18:19]
	s_add_u32 s14, s14, 1
	s_addc_u32 s15, s15, 0
	s_waitcnt vmcnt(0)
	v_and_b32_e32 v37, 0xffff, v16
	v_lshlrev_b64 v[16:17], s12, v[37:38]
	s_add_u32 s12, s12, 8
	s_addc_u32 s13, s13, 0
	v_or_b32_e32 v14, v16, v14
	s_cmp_lg_u32 s16, s14
	v_or_b32_e32 v15, v17, v15
	s_cbranch_scc1 .LBB1_244
	s_branch .LBB1_247
.LBB1_245:                              ;   in Loop: Header=BB1_202 Depth=2
                                        ; implicit-def: $vgpr14_vgpr15
                                        ; implicit-def: $sgpr17
	s_branch .LBB1_248
.LBB1_246:                              ;   in Loop: Header=BB1_202 Depth=2
	v_mov_b32_e32 v14, 0
	v_mov_b32_e32 v15, 0
.LBB1_247:                              ;   in Loop: Header=BB1_202 Depth=2
	s_mov_b32 s17, 0
	s_cbranch_execnz .LBB1_249
.LBB1_248:                              ;   in Loop: Header=BB1_202 Depth=2
	global_load_dwordx2 v[14:15], v38, s[4:5]
	s_add_i32 s17, s16, -8
	s_add_u32 s4, s4, 8
	s_addc_u32 s5, s5, 0
.LBB1_249:                              ;   in Loop: Header=BB1_202 Depth=2
	s_cmp_gt_u32 s17, 7
	s_cbranch_scc1 .LBB1_253
; %bb.250:                              ;   in Loop: Header=BB1_202 Depth=2
	s_cmp_eq_u32 s17, 0
	s_cbranch_scc1 .LBB1_254
; %bb.251:                              ;   in Loop: Header=BB1_202 Depth=2
	v_mov_b32_e32 v16, 0
	s_mov_b64 s[12:13], 0
	v_mov_b32_e32 v17, 0
	s_mov_b64 s[14:15], s[4:5]
.LBB1_252:                              ;   Parent Loop BB1_171 Depth=1
                                        ;     Parent Loop BB1_202 Depth=2
                                        ; =>    This Inner Loop Header: Depth=3
	global_load_ubyte v18, v38, s[14:15]
	s_add_i32 s17, s17, -1
	s_waitcnt vmcnt(0)
	v_and_b32_e32 v37, 0xffff, v18
	v_lshlrev_b64 v[18:19], s12, v[37:38]
	s_add_u32 s12, s12, 8
	s_addc_u32 s13, s13, 0
	s_add_u32 s14, s14, 1
	s_addc_u32 s15, s15, 0
	v_or_b32_e32 v16, v18, v16
	s_cmp_lg_u32 s17, 0
	v_or_b32_e32 v17, v19, v17
	s_cbranch_scc1 .LBB1_252
	s_branch .LBB1_255
.LBB1_253:                              ;   in Loop: Header=BB1_202 Depth=2
	s_branch .LBB1_256
.LBB1_254:                              ;   in Loop: Header=BB1_202 Depth=2
	v_mov_b32_e32 v16, 0
	v_mov_b32_e32 v17, 0
.LBB1_255:                              ;   in Loop: Header=BB1_202 Depth=2
	s_cbranch_execnz .LBB1_257
.LBB1_256:                              ;   in Loop: Header=BB1_202 Depth=2
	global_load_dwordx2 v[16:17], v38, s[4:5]
.LBB1_257:                              ;   in Loop: Header=BB1_202 Depth=2
	v_readfirstlane_b32 s4, v55
	v_mov_b32_e32 v22, 0
	v_mov_b32_e32 v23, 0
	v_cmp_eq_u32_e64 s[4:5], s4, v55
	s_and_saveexec_b64 s[12:13], s[4:5]
	s_cbranch_execz .LBB1_263
; %bb.258:                              ;   in Loop: Header=BB1_202 Depth=2
	global_load_dwordx2 v[20:21], v38, s[28:29] offset:24 glc
	s_waitcnt vmcnt(0)
	buffer_wbinvl1_vol
	global_load_dwordx2 v[18:19], v38, s[28:29] offset:40
	global_load_dwordx2 v[22:23], v38, s[28:29]
	s_waitcnt vmcnt(0)
	v_and_b32_e32 v18, v18, v20
	v_and_b32_e32 v19, v19, v21
	v_mul_lo_u32 v19, v19, 24
	v_mul_hi_u32 v26, v18, 24
	v_mul_lo_u32 v18, v18, 24
	v_add_u32_e32 v19, v26, v19
	v_add_co_u32_e32 v18, vcc, v22, v18
	v_addc_co_u32_e32 v19, vcc, v23, v19, vcc
	global_load_dwordx2 v[18:19], v[18:19], off glc
	s_waitcnt vmcnt(0)
	global_atomic_cmpswap_x2 v[22:23], v38, v[18:21], s[28:29] offset:24 glc
	s_waitcnt vmcnt(0)
	buffer_wbinvl1_vol
	v_cmp_ne_u64_e32 vcc, v[22:23], v[20:21]
	s_and_saveexec_b64 s[14:15], vcc
	s_cbranch_execz .LBB1_262
; %bb.259:                              ;   in Loop: Header=BB1_202 Depth=2
	s_mov_b64 s[16:17], 0
.LBB1_260:                              ;   Parent Loop BB1_171 Depth=1
                                        ;     Parent Loop BB1_202 Depth=2
                                        ; =>    This Inner Loop Header: Depth=3
	s_sleep 1
	global_load_dwordx2 v[18:19], v38, s[28:29] offset:40
	global_load_dwordx2 v[26:27], v38, s[28:29]
	v_mov_b32_e32 v20, v22
	v_mov_b32_e32 v21, v23
	s_waitcnt vmcnt(0)
	v_and_b32_e32 v18, v18, v20
	v_mad_u64_u32 v[22:23], s[18:19], v18, 24, v[26:27]
	v_and_b32_e32 v19, v19, v21
	v_mov_b32_e32 v18, v23
	v_mad_u64_u32 v[18:19], s[18:19], v19, 24, v[18:19]
	v_mov_b32_e32 v23, v18
	global_load_dwordx2 v[18:19], v[22:23], off glc
	s_waitcnt vmcnt(0)
	global_atomic_cmpswap_x2 v[22:23], v38, v[18:21], s[28:29] offset:24 glc
	s_waitcnt vmcnt(0)
	buffer_wbinvl1_vol
	v_cmp_eq_u64_e32 vcc, v[22:23], v[20:21]
	s_or_b64 s[16:17], vcc, s[16:17]
	s_andn2_b64 exec, exec, s[16:17]
	s_cbranch_execnz .LBB1_260
; %bb.261:                              ;   in Loop: Header=BB1_202 Depth=2
	s_or_b64 exec, exec, s[16:17]
.LBB1_262:                              ;   in Loop: Header=BB1_202 Depth=2
	s_or_b64 exec, exec, s[14:15]
.LBB1_263:                              ;   in Loop: Header=BB1_202 Depth=2
	s_or_b64 exec, exec, s[12:13]
	global_load_dwordx2 v[26:27], v38, s[28:29] offset:40
	global_load_dwordx4 v[18:21], v38, s[28:29]
	v_readfirstlane_b32 s12, v22
	v_readfirstlane_b32 s13, v23
	s_mov_b64 s[14:15], exec
	s_waitcnt vmcnt(0)
	v_readfirstlane_b32 s16, v26
	v_readfirstlane_b32 s17, v27
	s_and_b64 s[16:17], s[12:13], s[16:17]
	s_mul_i32 s18, s17, 24
	s_mul_hi_u32 s19, s16, 24
	s_mul_i32 s20, s16, 24
	s_add_i32 s18, s19, s18
	v_mov_b32_e32 v23, s18
	v_add_co_u32_e32 v22, vcc, s20, v18
	v_addc_co_u32_e32 v23, vcc, v19, v23, vcc
	s_and_saveexec_b64 s[18:19], s[4:5]
	s_cbranch_execz .LBB1_265
; %bb.264:                              ;   in Loop: Header=BB1_202 Depth=2
	v_mov_b32_e32 v49, s15
	v_mov_b32_e32 v48, s14
	global_store_dwordx4 v[22:23], v[48:51], off offset:8
.LBB1_265:                              ;   in Loop: Header=BB1_202 Depth=2
	s_or_b64 exec, exec, s[18:19]
	s_lshl_b64 s[14:15], s[16:17], 12
	v_mov_b32_e32 v26, s15
	v_add_co_u32_e32 v20, vcc, s14, v20
	v_addc_co_u32_e32 v21, vcc, v21, v26, vcc
	v_cmp_gt_u64_e64 vcc, s[8:9], 56
	v_or_b32_e32 v27, v2, v25
	s_lshl_b32 s14, s10, 2
	v_cndmask_b32_e32 v2, v27, v2, vcc
	s_add_i32 s14, s14, 28
	v_or_b32_e32 v26, 0, v3
	s_and_b32 s14, s14, 0x1e0
	v_and_b32_e32 v2, 0xffffff1f, v2
	v_cndmask_b32_e32 v3, v26, v3, vcc
	v_or_b32_e32 v2, s14, v2
	v_readfirstlane_b32 s14, v20
	v_readfirstlane_b32 s15, v21
	s_nop 4
	global_store_dwordx4 v40, v[2:5], s[14:15]
	global_store_dwordx4 v40, v[6:9], s[14:15] offset:16
	global_store_dwordx4 v40, v[10:13], s[14:15] offset:32
	;; [unrolled: 1-line block ×3, first 2 shown]
	s_and_saveexec_b64 s[14:15], s[4:5]
	s_cbranch_execz .LBB1_273
; %bb.266:                              ;   in Loop: Header=BB1_202 Depth=2
	global_load_dwordx2 v[10:11], v38, s[28:29] offset:32 glc
	global_load_dwordx2 v[2:3], v38, s[28:29] offset:40
	v_mov_b32_e32 v8, s12
	v_mov_b32_e32 v9, s13
	s_waitcnt vmcnt(0)
	v_readfirstlane_b32 s16, v2
	v_readfirstlane_b32 s17, v3
	s_and_b64 s[16:17], s[16:17], s[12:13]
	s_mul_i32 s17, s17, 24
	s_mul_hi_u32 s18, s16, 24
	s_mul_i32 s16, s16, 24
	s_add_i32 s17, s18, s17
	v_mov_b32_e32 v2, s17
	v_add_co_u32_e32 v6, vcc, s16, v18
	v_addc_co_u32_e32 v7, vcc, v19, v2, vcc
	global_store_dwordx2 v[6:7], v[10:11], off
	s_waitcnt vmcnt(0)
	global_atomic_cmpswap_x2 v[4:5], v38, v[8:11], s[28:29] offset:32 glc
	s_waitcnt vmcnt(0)
	v_cmp_ne_u64_e32 vcc, v[4:5], v[10:11]
	s_and_saveexec_b64 s[16:17], vcc
	s_cbranch_execz .LBB1_269
; %bb.267:                              ;   in Loop: Header=BB1_202 Depth=2
	s_mov_b64 s[18:19], 0
.LBB1_268:                              ;   Parent Loop BB1_171 Depth=1
                                        ;     Parent Loop BB1_202 Depth=2
                                        ; =>    This Inner Loop Header: Depth=3
	s_sleep 1
	global_store_dwordx2 v[6:7], v[4:5], off
	v_mov_b32_e32 v2, s12
	v_mov_b32_e32 v3, s13
	s_waitcnt vmcnt(0)
	global_atomic_cmpswap_x2 v[2:3], v38, v[2:5], s[28:29] offset:32 glc
	s_waitcnt vmcnt(0)
	v_cmp_eq_u64_e32 vcc, v[2:3], v[4:5]
	v_mov_b32_e32 v5, v3
	s_or_b64 s[18:19], vcc, s[18:19]
	v_mov_b32_e32 v4, v2
	s_andn2_b64 exec, exec, s[18:19]
	s_cbranch_execnz .LBB1_268
.LBB1_269:                              ;   in Loop: Header=BB1_202 Depth=2
	s_or_b64 exec, exec, s[16:17]
	global_load_dwordx2 v[2:3], v38, s[28:29] offset:16
	s_mov_b64 s[18:19], exec
	v_mbcnt_lo_u32_b32 v4, s18, 0
	v_mbcnt_hi_u32_b32 v4, s19, v4
	v_cmp_eq_u32_e32 vcc, 0, v4
	s_and_saveexec_b64 s[16:17], vcc
	s_cbranch_execz .LBB1_271
; %bb.270:                              ;   in Loop: Header=BB1_202 Depth=2
	s_bcnt1_i32_b64 s18, s[18:19]
	v_mov_b32_e32 v37, s18
	s_waitcnt vmcnt(0)
	global_atomic_add_x2 v[2:3], v[37:38], off offset:8
.LBB1_271:                              ;   in Loop: Header=BB1_202 Depth=2
	s_or_b64 exec, exec, s[16:17]
	s_waitcnt vmcnt(0)
	global_load_dwordx2 v[4:5], v[2:3], off offset:16
	s_waitcnt vmcnt(0)
	v_cmp_eq_u64_e32 vcc, 0, v[4:5]
	s_cbranch_vccnz .LBB1_273
; %bb.272:                              ;   in Loop: Header=BB1_202 Depth=2
	global_load_dword v37, v[2:3], off offset:24
	s_waitcnt vmcnt(0)
	v_and_b32_e32 v2, 0xffffff, v37
	v_readfirstlane_b32 m0, v2
	global_store_dwordx2 v[4:5], v[37:38], off
	s_sendmsg sendmsg(MSG_INTERRUPT)
.LBB1_273:                              ;   in Loop: Header=BB1_202 Depth=2
	s_or_b64 exec, exec, s[14:15]
	v_add_co_u32_e32 v2, vcc, v20, v40
	v_addc_co_u32_e32 v3, vcc, 0, v21, vcc
	s_branch .LBB1_277
.LBB1_274:                              ;   in Loop: Header=BB1_277 Depth=3
	s_or_b64 exec, exec, s[14:15]
	v_readfirstlane_b32 s14, v4
	s_cmp_eq_u32 s14, 0
	s_cbranch_scc1 .LBB1_276
; %bb.275:                              ;   in Loop: Header=BB1_277 Depth=3
	s_sleep 1
	s_cbranch_execnz .LBB1_277
	s_branch .LBB1_279
.LBB1_276:                              ;   in Loop: Header=BB1_202 Depth=2
	s_branch .LBB1_279
.LBB1_277:                              ;   Parent Loop BB1_171 Depth=1
                                        ;     Parent Loop BB1_202 Depth=2
                                        ; =>    This Inner Loop Header: Depth=3
	v_mov_b32_e32 v4, 1
	s_and_saveexec_b64 s[14:15], s[4:5]
	s_cbranch_execz .LBB1_274
; %bb.278:                              ;   in Loop: Header=BB1_277 Depth=3
	global_load_dword v4, v[22:23], off offset:20 glc
	s_waitcnt vmcnt(0)
	buffer_wbinvl1_vol
	v_and_b32_e32 v4, 1, v4
	s_branch .LBB1_274
.LBB1_279:                              ;   in Loop: Header=BB1_202 Depth=2
	global_load_dwordx4 v[2:5], v[2:3], off
	s_and_saveexec_b64 s[14:15], s[4:5]
	s_cbranch_execz .LBB1_201
; %bb.280:                              ;   in Loop: Header=BB1_202 Depth=2
	global_load_dwordx2 v[6:7], v38, s[28:29] offset:40
	global_load_dwordx2 v[10:11], v38, s[28:29] offset:24 glc
	global_load_dwordx2 v[8:9], v38, s[28:29]
	s_waitcnt vmcnt(0)
	v_mov_b32_e32 v5, s13
	v_add_co_u32_e32 v12, vcc, 1, v6
	v_addc_co_u32_e32 v13, vcc, 0, v7, vcc
	v_add_co_u32_e32 v4, vcc, s12, v12
	v_addc_co_u32_e32 v5, vcc, v13, v5, vcc
	v_cmp_eq_u64_e32 vcc, 0, v[4:5]
	v_cndmask_b32_e32 v5, v5, v13, vcc
	v_cndmask_b32_e32 v4, v4, v12, vcc
	v_and_b32_e32 v7, v5, v7
	v_and_b32_e32 v6, v4, v6
	v_mul_lo_u32 v7, v7, 24
	v_mul_hi_u32 v12, v6, 24
	v_mul_lo_u32 v13, v6, 24
	v_mov_b32_e32 v6, v10
	v_add_u32_e32 v7, v12, v7
	v_add_co_u32_e32 v8, vcc, v8, v13
	v_addc_co_u32_e32 v9, vcc, v9, v7, vcc
	global_store_dwordx2 v[8:9], v[10:11], off
	v_mov_b32_e32 v7, v11
	s_waitcnt vmcnt(0)
	global_atomic_cmpswap_x2 v[6:7], v38, v[4:7], s[28:29] offset:24 glc
	s_waitcnt vmcnt(0)
	v_cmp_ne_u64_e32 vcc, v[6:7], v[10:11]
	s_and_b64 exec, exec, vcc
	s_cbranch_execz .LBB1_201
; %bb.281:                              ;   in Loop: Header=BB1_202 Depth=2
	s_mov_b64 s[4:5], 0
.LBB1_282:                              ;   Parent Loop BB1_171 Depth=1
                                        ;     Parent Loop BB1_202 Depth=2
                                        ; =>    This Inner Loop Header: Depth=3
	s_sleep 1
	global_store_dwordx2 v[8:9], v[6:7], off
	s_waitcnt vmcnt(0)
	global_atomic_cmpswap_x2 v[10:11], v38, v[4:7], s[28:29] offset:24 glc
	s_waitcnt vmcnt(0)
	v_cmp_eq_u64_e32 vcc, v[10:11], v[6:7]
	v_mov_b32_e32 v6, v10
	s_or_b64 s[4:5], vcc, s[4:5]
	v_mov_b32_e32 v7, v11
	s_andn2_b64 exec, exec, s[4:5]
	s_cbranch_execnz .LBB1_282
	s_branch .LBB1_201
.LBB1_283:                              ;   in Loop: Header=BB1_171 Depth=1
	s_branch .LBB1_312
.LBB1_284:                              ;   in Loop: Header=BB1_171 Depth=1
                                        ; implicit-def: $vgpr2_vgpr3
	s_cbranch_execz .LBB1_312
; %bb.285:                              ;   in Loop: Header=BB1_171 Depth=1
	v_readfirstlane_b32 s4, v55
	s_waitcnt vmcnt(0)
	v_mov_b32_e32 v2, 0
	v_mov_b32_e32 v3, 0
	v_cmp_eq_u32_e64 s[4:5], s4, v55
	s_and_saveexec_b64 s[6:7], s[4:5]
	s_cbranch_execz .LBB1_291
; %bb.286:                              ;   in Loop: Header=BB1_171 Depth=1
	global_load_dwordx2 v[4:5], v38, s[28:29] offset:24 glc
	s_waitcnt vmcnt(0)
	buffer_wbinvl1_vol
	global_load_dwordx2 v[2:3], v38, s[28:29] offset:40
	global_load_dwordx2 v[6:7], v38, s[28:29]
	s_waitcnt vmcnt(0)
	v_and_b32_e32 v2, v2, v4
	v_and_b32_e32 v3, v3, v5
	v_mul_lo_u32 v3, v3, 24
	v_mul_hi_u32 v8, v2, 24
	v_mul_lo_u32 v2, v2, 24
	v_add_u32_e32 v3, v8, v3
	v_add_co_u32_e32 v2, vcc, v6, v2
	v_addc_co_u32_e32 v3, vcc, v7, v3, vcc
	global_load_dwordx2 v[2:3], v[2:3], off glc
	s_waitcnt vmcnt(0)
	global_atomic_cmpswap_x2 v[2:3], v38, v[2:5], s[28:29] offset:24 glc
	s_waitcnt vmcnt(0)
	buffer_wbinvl1_vol
	v_cmp_ne_u64_e32 vcc, v[2:3], v[4:5]
	s_and_saveexec_b64 s[8:9], vcc
	s_cbranch_execz .LBB1_290
; %bb.287:                              ;   in Loop: Header=BB1_171 Depth=1
	s_mov_b64 s[10:11], 0
.LBB1_288:                              ;   Parent Loop BB1_171 Depth=1
                                        ; =>  This Inner Loop Header: Depth=2
	s_sleep 1
	global_load_dwordx2 v[6:7], v38, s[28:29] offset:40
	global_load_dwordx2 v[8:9], v38, s[28:29]
	v_mov_b32_e32 v5, v3
	v_mov_b32_e32 v4, v2
	s_waitcnt vmcnt(0)
	v_and_b32_e32 v2, v6, v4
	v_mad_u64_u32 v[2:3], s[12:13], v2, 24, v[8:9]
	v_and_b32_e32 v6, v7, v5
	v_mad_u64_u32 v[6:7], s[12:13], v6, 24, v[3:4]
	v_mov_b32_e32 v3, v6
	global_load_dwordx2 v[2:3], v[2:3], off glc
	s_waitcnt vmcnt(0)
	global_atomic_cmpswap_x2 v[2:3], v38, v[2:5], s[28:29] offset:24 glc
	s_waitcnt vmcnt(0)
	buffer_wbinvl1_vol
	v_cmp_eq_u64_e32 vcc, v[2:3], v[4:5]
	s_or_b64 s[10:11], vcc, s[10:11]
	s_andn2_b64 exec, exec, s[10:11]
	s_cbranch_execnz .LBB1_288
; %bb.289:                              ;   in Loop: Header=BB1_171 Depth=1
	s_or_b64 exec, exec, s[10:11]
.LBB1_290:                              ;   in Loop: Header=BB1_171 Depth=1
	s_or_b64 exec, exec, s[8:9]
.LBB1_291:                              ;   in Loop: Header=BB1_171 Depth=1
	s_or_b64 exec, exec, s[6:7]
	global_load_dwordx2 v[8:9], v38, s[28:29] offset:40
	global_load_dwordx4 v[4:7], v38, s[28:29]
	v_readfirstlane_b32 s6, v2
	v_readfirstlane_b32 s7, v3
	s_mov_b64 s[8:9], exec
	s_waitcnt vmcnt(0)
	v_readfirstlane_b32 s10, v8
	v_readfirstlane_b32 s11, v9
	s_and_b64 s[10:11], s[6:7], s[10:11]
	s_mul_i32 s12, s11, 24
	s_mul_hi_u32 s13, s10, 24
	s_mul_i32 s14, s10, 24
	s_add_i32 s12, s13, s12
	v_mov_b32_e32 v2, s12
	v_add_co_u32_e32 v8, vcc, s14, v4
	v_addc_co_u32_e32 v9, vcc, v5, v2, vcc
	s_and_saveexec_b64 s[12:13], s[4:5]
	s_cbranch_execz .LBB1_293
; %bb.292:                              ;   in Loop: Header=BB1_171 Depth=1
	v_mov_b32_e32 v49, s9
	v_mov_b32_e32 v48, s8
	global_store_dwordx4 v[8:9], v[48:51], off offset:8
.LBB1_293:                              ;   in Loop: Header=BB1_171 Depth=1
	s_or_b64 exec, exec, s[12:13]
	s_lshl_b64 s[8:9], s[10:11], 12
	v_mov_b32_e32 v2, s9
	v_add_co_u32_e32 v6, vcc, s8, v6
	v_addc_co_u32_e32 v7, vcc, v7, v2, vcc
	v_and_or_b32 v0, v0, s23, 32
	v_mov_b32_e32 v2, v38
	v_mov_b32_e32 v3, v38
	v_readfirstlane_b32 s8, v6
	v_readfirstlane_b32 s9, v7
	s_nop 4
	global_store_dwordx4 v40, v[0:3], s[8:9]
	s_nop 0
	v_mov_b32_e32 v0, s36
	v_mov_b32_e32 v1, s37
	;; [unrolled: 1-line block ×4, first 2 shown]
	global_store_dwordx4 v40, v[0:3], s[8:9] offset:16
	global_store_dwordx4 v40, v[0:3], s[8:9] offset:32
	;; [unrolled: 1-line block ×3, first 2 shown]
	s_and_saveexec_b64 s[8:9], s[4:5]
	s_cbranch_execz .LBB1_301
; %bb.294:                              ;   in Loop: Header=BB1_171 Depth=1
	global_load_dwordx2 v[12:13], v38, s[28:29] offset:32 glc
	global_load_dwordx2 v[0:1], v38, s[28:29] offset:40
	v_mov_b32_e32 v10, s6
	v_mov_b32_e32 v11, s7
	s_waitcnt vmcnt(0)
	v_readfirstlane_b32 s10, v0
	v_readfirstlane_b32 s11, v1
	s_and_b64 s[10:11], s[10:11], s[6:7]
	s_mul_i32 s11, s11, 24
	s_mul_hi_u32 s12, s10, 24
	s_mul_i32 s10, s10, 24
	s_add_i32 s11, s12, s11
	v_mov_b32_e32 v0, s11
	v_add_co_u32_e32 v4, vcc, s10, v4
	v_addc_co_u32_e32 v5, vcc, v5, v0, vcc
	global_store_dwordx2 v[4:5], v[12:13], off
	s_waitcnt vmcnt(0)
	global_atomic_cmpswap_x2 v[2:3], v38, v[10:13], s[28:29] offset:32 glc
	s_waitcnt vmcnt(0)
	v_cmp_ne_u64_e32 vcc, v[2:3], v[12:13]
	s_and_saveexec_b64 s[10:11], vcc
	s_cbranch_execz .LBB1_297
; %bb.295:                              ;   in Loop: Header=BB1_171 Depth=1
	s_mov_b64 s[12:13], 0
.LBB1_296:                              ;   Parent Loop BB1_171 Depth=1
                                        ; =>  This Inner Loop Header: Depth=2
	s_sleep 1
	global_store_dwordx2 v[4:5], v[2:3], off
	v_mov_b32_e32 v0, s6
	v_mov_b32_e32 v1, s7
	s_waitcnt vmcnt(0)
	global_atomic_cmpswap_x2 v[0:1], v38, v[0:3], s[28:29] offset:32 glc
	s_waitcnt vmcnt(0)
	v_cmp_eq_u64_e32 vcc, v[0:1], v[2:3]
	v_mov_b32_e32 v3, v1
	s_or_b64 s[12:13], vcc, s[12:13]
	v_mov_b32_e32 v2, v0
	s_andn2_b64 exec, exec, s[12:13]
	s_cbranch_execnz .LBB1_296
.LBB1_297:                              ;   in Loop: Header=BB1_171 Depth=1
	s_or_b64 exec, exec, s[10:11]
	global_load_dwordx2 v[0:1], v38, s[28:29] offset:16
	s_mov_b64 s[12:13], exec
	v_mbcnt_lo_u32_b32 v2, s12, 0
	v_mbcnt_hi_u32_b32 v2, s13, v2
	v_cmp_eq_u32_e32 vcc, 0, v2
	s_and_saveexec_b64 s[10:11], vcc
	s_cbranch_execz .LBB1_299
; %bb.298:                              ;   in Loop: Header=BB1_171 Depth=1
	s_bcnt1_i32_b64 s12, s[12:13]
	v_mov_b32_e32 v37, s12
	s_waitcnt vmcnt(0)
	global_atomic_add_x2 v[0:1], v[37:38], off offset:8
.LBB1_299:                              ;   in Loop: Header=BB1_171 Depth=1
	s_or_b64 exec, exec, s[10:11]
	s_waitcnt vmcnt(0)
	global_load_dwordx2 v[2:3], v[0:1], off offset:16
	s_waitcnt vmcnt(0)
	v_cmp_eq_u64_e32 vcc, 0, v[2:3]
	s_cbranch_vccnz .LBB1_301
; %bb.300:                              ;   in Loop: Header=BB1_171 Depth=1
	global_load_dword v37, v[0:1], off offset:24
	s_waitcnt vmcnt(0)
	v_and_b32_e32 v0, 0xffffff, v37
	v_readfirstlane_b32 m0, v0
	global_store_dwordx2 v[2:3], v[37:38], off
	s_sendmsg sendmsg(MSG_INTERRUPT)
.LBB1_301:                              ;   in Loop: Header=BB1_171 Depth=1
	s_or_b64 exec, exec, s[8:9]
	v_add_co_u32_e32 v0, vcc, v6, v40
	v_addc_co_u32_e32 v1, vcc, 0, v7, vcc
	s_branch .LBB1_305
.LBB1_302:                              ;   in Loop: Header=BB1_305 Depth=2
	s_or_b64 exec, exec, s[8:9]
	v_readfirstlane_b32 s8, v2
	s_cmp_eq_u32 s8, 0
	s_cbranch_scc1 .LBB1_304
; %bb.303:                              ;   in Loop: Header=BB1_305 Depth=2
	s_sleep 1
	s_cbranch_execnz .LBB1_305
	s_branch .LBB1_307
.LBB1_304:                              ;   in Loop: Header=BB1_171 Depth=1
	s_branch .LBB1_307
.LBB1_305:                              ;   Parent Loop BB1_171 Depth=1
                                        ; =>  This Inner Loop Header: Depth=2
	v_mov_b32_e32 v2, 1
	s_and_saveexec_b64 s[8:9], s[4:5]
	s_cbranch_execz .LBB1_302
; %bb.306:                              ;   in Loop: Header=BB1_305 Depth=2
	global_load_dword v2, v[8:9], off offset:20 glc
	s_waitcnt vmcnt(0)
	buffer_wbinvl1_vol
	v_and_b32_e32 v2, 1, v2
	s_branch .LBB1_302
.LBB1_307:                              ;   in Loop: Header=BB1_171 Depth=1
	global_load_dwordx2 v[2:3], v[0:1], off
	s_and_saveexec_b64 s[8:9], s[4:5]
	s_cbranch_execz .LBB1_311
; %bb.308:                              ;   in Loop: Header=BB1_171 Depth=1
	global_load_dwordx2 v[0:1], v38, s[28:29] offset:40
	global_load_dwordx2 v[8:9], v38, s[28:29] offset:24 glc
	global_load_dwordx2 v[10:11], v38, s[28:29]
	v_mov_b32_e32 v5, s7
	s_waitcnt vmcnt(0)
	v_add_co_u32_e32 v6, vcc, 1, v0
	v_addc_co_u32_e32 v7, vcc, 0, v1, vcc
	v_add_co_u32_e32 v4, vcc, s6, v6
	v_addc_co_u32_e32 v5, vcc, v7, v5, vcc
	v_cmp_eq_u64_e32 vcc, 0, v[4:5]
	v_cndmask_b32_e32 v5, v5, v7, vcc
	v_cndmask_b32_e32 v4, v4, v6, vcc
	v_and_b32_e32 v1, v5, v1
	v_and_b32_e32 v0, v4, v0
	v_mul_lo_u32 v1, v1, 24
	v_mul_hi_u32 v7, v0, 24
	v_mul_lo_u32 v0, v0, 24
	v_mov_b32_e32 v6, v8
	v_add_u32_e32 v1, v7, v1
	v_add_co_u32_e32 v0, vcc, v10, v0
	v_addc_co_u32_e32 v1, vcc, v11, v1, vcc
	global_store_dwordx2 v[0:1], v[8:9], off
	v_mov_b32_e32 v7, v9
	s_waitcnt vmcnt(0)
	global_atomic_cmpswap_x2 v[6:7], v38, v[4:7], s[28:29] offset:24 glc
	s_waitcnt vmcnt(0)
	v_cmp_ne_u64_e32 vcc, v[6:7], v[8:9]
	s_and_b64 exec, exec, vcc
	s_cbranch_execz .LBB1_311
; %bb.309:                              ;   in Loop: Header=BB1_171 Depth=1
	s_mov_b64 s[4:5], 0
.LBB1_310:                              ;   Parent Loop BB1_171 Depth=1
                                        ; =>  This Inner Loop Header: Depth=2
	s_sleep 1
	global_store_dwordx2 v[0:1], v[6:7], off
	s_waitcnt vmcnt(0)
	global_atomic_cmpswap_x2 v[8:9], v38, v[4:7], s[28:29] offset:24 glc
	s_waitcnt vmcnt(0)
	v_cmp_eq_u64_e32 vcc, v[8:9], v[6:7]
	v_mov_b32_e32 v6, v8
	s_or_b64 s[4:5], vcc, s[4:5]
	v_mov_b32_e32 v7, v9
	s_andn2_b64 exec, exec, s[4:5]
	s_cbranch_execnz .LBB1_310
.LBB1_311:                              ;   in Loop: Header=BB1_171 Depth=1
	s_or_b64 exec, exec, s[8:9]
.LBB1_312:                              ;   in Loop: Header=BB1_171 Depth=1
	v_readfirstlane_b32 s4, v55
	s_waitcnt vmcnt(0)
	v_mov_b32_e32 v0, 0
	v_mov_b32_e32 v1, 0
	v_cmp_eq_u32_e64 s[4:5], s4, v55
	s_and_saveexec_b64 s[6:7], s[4:5]
	s_cbranch_execz .LBB1_318
; %bb.313:                              ;   in Loop: Header=BB1_171 Depth=1
	global_load_dwordx2 v[6:7], v38, s[28:29] offset:24 glc
	s_waitcnt vmcnt(0)
	buffer_wbinvl1_vol
	global_load_dwordx2 v[0:1], v38, s[28:29] offset:40
	global_load_dwordx2 v[4:5], v38, s[28:29]
	s_waitcnt vmcnt(0)
	v_and_b32_e32 v0, v0, v6
	v_and_b32_e32 v1, v1, v7
	v_mul_lo_u32 v1, v1, 24
	v_mul_hi_u32 v8, v0, 24
	v_mul_lo_u32 v0, v0, 24
	v_add_u32_e32 v1, v8, v1
	v_add_co_u32_e32 v0, vcc, v4, v0
	v_addc_co_u32_e32 v1, vcc, v5, v1, vcc
	global_load_dwordx2 v[4:5], v[0:1], off glc
	s_waitcnt vmcnt(0)
	global_atomic_cmpswap_x2 v[0:1], v38, v[4:7], s[28:29] offset:24 glc
	s_waitcnt vmcnt(0)
	buffer_wbinvl1_vol
	v_cmp_ne_u64_e32 vcc, v[0:1], v[6:7]
	s_and_saveexec_b64 s[8:9], vcc
	s_cbranch_execz .LBB1_317
; %bb.314:                              ;   in Loop: Header=BB1_171 Depth=1
	s_mov_b64 s[10:11], 0
.LBB1_315:                              ;   Parent Loop BB1_171 Depth=1
                                        ; =>  This Inner Loop Header: Depth=2
	s_sleep 1
	global_load_dwordx2 v[4:5], v38, s[28:29] offset:40
	global_load_dwordx2 v[8:9], v38, s[28:29]
	v_mov_b32_e32 v7, v1
	v_mov_b32_e32 v6, v0
	s_waitcnt vmcnt(0)
	v_and_b32_e32 v0, v4, v6
	v_mad_u64_u32 v[0:1], s[12:13], v0, 24, v[8:9]
	v_and_b32_e32 v4, v5, v7
	v_mad_u64_u32 v[4:5], s[12:13], v4, 24, v[1:2]
	v_mov_b32_e32 v1, v4
	global_load_dwordx2 v[4:5], v[0:1], off glc
	s_waitcnt vmcnt(0)
	global_atomic_cmpswap_x2 v[0:1], v38, v[4:7], s[28:29] offset:24 glc
	s_waitcnt vmcnt(0)
	buffer_wbinvl1_vol
	v_cmp_eq_u64_e32 vcc, v[0:1], v[6:7]
	s_or_b64 s[10:11], vcc, s[10:11]
	s_andn2_b64 exec, exec, s[10:11]
	s_cbranch_execnz .LBB1_315
; %bb.316:                              ;   in Loop: Header=BB1_171 Depth=1
	s_or_b64 exec, exec, s[10:11]
.LBB1_317:                              ;   in Loop: Header=BB1_171 Depth=1
	s_or_b64 exec, exec, s[8:9]
.LBB1_318:                              ;   in Loop: Header=BB1_171 Depth=1
	s_or_b64 exec, exec, s[6:7]
	global_load_dwordx2 v[4:5], v38, s[28:29] offset:40
	global_load_dwordx4 v[6:9], v38, s[28:29]
	v_readfirstlane_b32 s6, v0
	v_readfirstlane_b32 s7, v1
	s_mov_b64 s[8:9], exec
	s_waitcnt vmcnt(0)
	v_readfirstlane_b32 s10, v4
	v_readfirstlane_b32 s11, v5
	s_and_b64 s[10:11], s[6:7], s[10:11]
	s_mul_i32 s12, s11, 24
	s_mul_hi_u32 s13, s10, 24
	s_mul_i32 s14, s10, 24
	s_add_i32 s12, s13, s12
	v_mov_b32_e32 v0, s12
	v_add_co_u32_e32 v10, vcc, s14, v6
	v_addc_co_u32_e32 v11, vcc, v7, v0, vcc
	s_and_saveexec_b64 s[12:13], s[4:5]
	s_cbranch_execz .LBB1_320
; %bb.319:                              ;   in Loop: Header=BB1_171 Depth=1
	v_mov_b32_e32 v49, s9
	v_mov_b32_e32 v48, s8
	global_store_dwordx4 v[10:11], v[48:51], off offset:8
.LBB1_320:                              ;   in Loop: Header=BB1_171 Depth=1
	s_or_b64 exec, exec, s[12:13]
	s_lshl_b64 s[8:9], s[10:11], 12
	v_mov_b32_e32 v0, s9
	v_add_co_u32_e32 v1, vcc, s8, v8
	v_addc_co_u32_e32 v0, vcc, v9, v0, vcc
	v_and_or_b32 v2, v2, s40, 34
	s_waitcnt lgkmcnt(0)
	v_ashrrev_i32_e32 v5, 31, v24
	v_mov_b32_e32 v4, v24
	v_readfirstlane_b32 s8, v1
	v_readfirstlane_b32 s9, v0
	s_nop 4
	global_store_dwordx4 v40, v[2:5], s[8:9]
	v_mov_b32_e32 v0, s36
	v_mov_b32_e32 v1, s37
	;; [unrolled: 1-line block ×4, first 2 shown]
	global_store_dwordx4 v40, v[0:3], s[8:9] offset:16
	global_store_dwordx4 v40, v[0:3], s[8:9] offset:32
	;; [unrolled: 1-line block ×3, first 2 shown]
	s_and_saveexec_b64 s[8:9], s[4:5]
	s_cbranch_execz .LBB1_328
; %bb.321:                              ;   in Loop: Header=BB1_171 Depth=1
	global_load_dwordx2 v[14:15], v38, s[28:29] offset:32 glc
	global_load_dwordx2 v[0:1], v38, s[28:29] offset:40
	v_mov_b32_e32 v12, s6
	v_mov_b32_e32 v13, s7
	s_waitcnt vmcnt(0)
	v_readfirstlane_b32 s10, v0
	v_readfirstlane_b32 s11, v1
	s_and_b64 s[10:11], s[10:11], s[6:7]
	s_mul_i32 s11, s11, 24
	s_mul_hi_u32 s12, s10, 24
	s_mul_i32 s10, s10, 24
	s_add_i32 s11, s12, s11
	v_mov_b32_e32 v0, s11
	v_add_co_u32_e32 v4, vcc, s10, v6
	v_addc_co_u32_e32 v5, vcc, v7, v0, vcc
	global_store_dwordx2 v[4:5], v[14:15], off
	s_waitcnt vmcnt(0)
	global_atomic_cmpswap_x2 v[2:3], v38, v[12:15], s[28:29] offset:32 glc
	s_waitcnt vmcnt(0)
	v_cmp_ne_u64_e32 vcc, v[2:3], v[14:15]
	s_and_saveexec_b64 s[10:11], vcc
	s_cbranch_execz .LBB1_324
; %bb.322:                              ;   in Loop: Header=BB1_171 Depth=1
	s_mov_b64 s[12:13], 0
.LBB1_323:                              ;   Parent Loop BB1_171 Depth=1
                                        ; =>  This Inner Loop Header: Depth=2
	s_sleep 1
	global_store_dwordx2 v[4:5], v[2:3], off
	v_mov_b32_e32 v0, s6
	v_mov_b32_e32 v1, s7
	s_waitcnt vmcnt(0)
	global_atomic_cmpswap_x2 v[0:1], v38, v[0:3], s[28:29] offset:32 glc
	s_waitcnt vmcnt(0)
	v_cmp_eq_u64_e32 vcc, v[0:1], v[2:3]
	v_mov_b32_e32 v3, v1
	s_or_b64 s[12:13], vcc, s[12:13]
	v_mov_b32_e32 v2, v0
	s_andn2_b64 exec, exec, s[12:13]
	s_cbranch_execnz .LBB1_323
.LBB1_324:                              ;   in Loop: Header=BB1_171 Depth=1
	s_or_b64 exec, exec, s[10:11]
	global_load_dwordx2 v[0:1], v38, s[28:29] offset:16
	s_mov_b64 s[12:13], exec
	v_mbcnt_lo_u32_b32 v2, s12, 0
	v_mbcnt_hi_u32_b32 v2, s13, v2
	v_cmp_eq_u32_e32 vcc, 0, v2
	s_and_saveexec_b64 s[10:11], vcc
	s_cbranch_execz .LBB1_326
; %bb.325:                              ;   in Loop: Header=BB1_171 Depth=1
	s_bcnt1_i32_b64 s12, s[12:13]
	v_mov_b32_e32 v37, s12
	s_waitcnt vmcnt(0)
	global_atomic_add_x2 v[0:1], v[37:38], off offset:8
.LBB1_326:                              ;   in Loop: Header=BB1_171 Depth=1
	s_or_b64 exec, exec, s[10:11]
	s_waitcnt vmcnt(0)
	global_load_dwordx2 v[2:3], v[0:1], off offset:16
	s_waitcnt vmcnt(0)
	v_cmp_eq_u64_e32 vcc, 0, v[2:3]
	s_cbranch_vccnz .LBB1_328
; %bb.327:                              ;   in Loop: Header=BB1_171 Depth=1
	global_load_dword v37, v[0:1], off offset:24
	s_waitcnt vmcnt(0)
	v_and_b32_e32 v0, 0xffffff, v37
	v_readfirstlane_b32 m0, v0
	global_store_dwordx2 v[2:3], v[37:38], off
	s_sendmsg sendmsg(MSG_INTERRUPT)
.LBB1_328:                              ;   in Loop: Header=BB1_171 Depth=1
	s_or_b64 exec, exec, s[8:9]
	s_branch .LBB1_332
.LBB1_329:                              ;   in Loop: Header=BB1_332 Depth=2
	s_or_b64 exec, exec, s[8:9]
	v_readfirstlane_b32 s8, v0
	s_cmp_eq_u32 s8, 0
	s_cbranch_scc1 .LBB1_331
; %bb.330:                              ;   in Loop: Header=BB1_332 Depth=2
	s_sleep 1
	s_cbranch_execnz .LBB1_332
	s_branch .LBB1_334
.LBB1_331:                              ;   in Loop: Header=BB1_171 Depth=1
	s_branch .LBB1_334
.LBB1_332:                              ;   Parent Loop BB1_171 Depth=1
                                        ; =>  This Inner Loop Header: Depth=2
	v_mov_b32_e32 v0, 1
	s_and_saveexec_b64 s[8:9], s[4:5]
	s_cbranch_execz .LBB1_329
; %bb.333:                              ;   in Loop: Header=BB1_332 Depth=2
	global_load_dword v0, v[10:11], off offset:20 glc
	s_waitcnt vmcnt(0)
	buffer_wbinvl1_vol
	v_and_b32_e32 v0, 1, v0
	s_branch .LBB1_329
.LBB1_334:                              ;   in Loop: Header=BB1_171 Depth=1
	s_and_saveexec_b64 s[8:9], s[4:5]
	s_cbranch_execz .LBB1_170
; %bb.335:                              ;   in Loop: Header=BB1_171 Depth=1
	global_load_dwordx2 v[2:3], v38, s[28:29] offset:40
	global_load_dwordx2 v[6:7], v38, s[28:29] offset:24 glc
	global_load_dwordx2 v[4:5], v38, s[28:29]
	v_mov_b32_e32 v1, s7
	s_waitcnt vmcnt(2)
	v_add_co_u32_e32 v8, vcc, 1, v2
	v_addc_co_u32_e32 v9, vcc, 0, v3, vcc
	v_add_co_u32_e32 v0, vcc, s6, v8
	v_addc_co_u32_e32 v1, vcc, v9, v1, vcc
	v_cmp_eq_u64_e32 vcc, 0, v[0:1]
	v_cndmask_b32_e32 v1, v1, v9, vcc
	v_cndmask_b32_e32 v0, v0, v8, vcc
	v_and_b32_e32 v3, v1, v3
	v_and_b32_e32 v2, v0, v2
	v_mul_lo_u32 v3, v3, 24
	v_mul_hi_u32 v8, v2, 24
	v_mul_lo_u32 v9, v2, 24
	s_waitcnt vmcnt(1)
	v_mov_b32_e32 v2, v6
	v_add_u32_e32 v3, v8, v3
	s_waitcnt vmcnt(0)
	v_add_co_u32_e32 v4, vcc, v4, v9
	v_addc_co_u32_e32 v5, vcc, v5, v3, vcc
	global_store_dwordx2 v[4:5], v[6:7], off
	v_mov_b32_e32 v3, v7
	s_waitcnt vmcnt(0)
	global_atomic_cmpswap_x2 v[2:3], v38, v[0:3], s[28:29] offset:24 glc
	s_waitcnt vmcnt(0)
	v_cmp_ne_u64_e32 vcc, v[2:3], v[6:7]
	s_and_b64 exec, exec, vcc
	s_cbranch_execz .LBB1_170
; %bb.336:                              ;   in Loop: Header=BB1_171 Depth=1
	s_mov_b64 s[4:5], 0
.LBB1_337:                              ;   Parent Loop BB1_171 Depth=1
                                        ; =>  This Inner Loop Header: Depth=2
	s_sleep 1
	global_store_dwordx2 v[4:5], v[2:3], off
	s_waitcnt vmcnt(0)
	global_atomic_cmpswap_x2 v[6:7], v38, v[0:3], s[28:29] offset:24 glc
	s_waitcnt vmcnt(0)
	v_cmp_eq_u64_e32 vcc, v[6:7], v[2:3]
	v_mov_b32_e32 v2, v6
	s_or_b64 s[4:5], vcc, s[4:5]
	v_mov_b32_e32 v3, v7
	s_andn2_b64 exec, exec, s[4:5]
	s_cbranch_execnz .LBB1_337
	s_branch .LBB1_170
.LBB1_338:
	v_readlane_b32 s30, v41, 0
	v_readlane_b32 s31, v41, 1
	;; [unrolled: 1-line block ×3, first 2 shown]
	s_or_saveexec_b64 s[6:7], -1
	buffer_load_dword v41, off, s[0:3], s33 ; 4-byte Folded Reload
	s_mov_b64 exec, s[6:7]
	s_addk_i32 s32, 0xfc00
	s_mov_b32 s33, s4
	s_waitcnt vmcnt(0) lgkmcnt(0)
	s_setpc_b64 s[30:31]
.Lfunc_end1:
	.size	_ZN8migraphx4testlsIKNS_13basic_printerIZNS_4coutEvEUlT_E_EEEERS3_S7_RKNS0_10expressionINS0_14lhs_expressionIRNS_5arrayIiLj5EEENS0_3nopEEESC_NS0_5equalEEE, .Lfunc_end1-_ZN8migraphx4testlsIKNS_13basic_printerIZNS_4coutEvEUlT_E_EEEERS3_S7_RKNS0_10expressionINS0_14lhs_expressionIRNS_5arrayIiLj5EEENS0_3nopEEESC_NS0_5equalEEE
                                        ; -- End function
	.section	.AMDGPU.csdata,"",@progbits
; Function info:
; codeLenInByte = 11708
; NumSgprs: 45
; NumVgprs: 56
; ScratchSize: 16
; MemoryBound: 0
	.text
	.p2align	2                               ; -- Begin function _ZNK8migraphx13basic_printerIZNS_4coutEvEUlT_E_ElsEc
	.type	_ZNK8migraphx13basic_printerIZNS_4coutEvEUlT_E_ElsEc,@function
_ZNK8migraphx13basic_printerIZNS_4coutEvEUlT_E_ElsEc: ; @_ZNK8migraphx13basic_printerIZNS_4coutEvEUlT_E_ElsEc
; %bb.0:
	s_waitcnt vmcnt(0) expcnt(0) lgkmcnt(0)
	s_load_dwordx2 s[6:7], s[8:9], 0x50
	v_mbcnt_lo_u32_b32 v1, -1, 0
	v_mbcnt_hi_u32_b32 v33, -1, v1
	v_readfirstlane_b32 s4, v33
	v_mov_b32_e32 v6, 0
	v_mov_b32_e32 v7, 0
	v_cmp_eq_u32_e64 s[4:5], s4, v33
	s_and_saveexec_b64 s[8:9], s[4:5]
	s_cbranch_execz .LBB2_6
; %bb.1:
	v_mov_b32_e32 v1, 0
	s_waitcnt lgkmcnt(0)
	global_load_dwordx2 v[4:5], v1, s[6:7] offset:24 glc
	s_waitcnt vmcnt(0)
	buffer_wbinvl1_vol
	global_load_dwordx2 v[2:3], v1, s[6:7] offset:40
	global_load_dwordx2 v[6:7], v1, s[6:7]
	s_waitcnt vmcnt(1)
	v_and_b32_e32 v2, v2, v4
	v_and_b32_e32 v3, v3, v5
	v_mul_lo_u32 v3, v3, 24
	v_mul_hi_u32 v8, v2, 24
	v_mul_lo_u32 v2, v2, 24
	v_add_u32_e32 v3, v8, v3
	s_waitcnt vmcnt(0)
	v_add_co_u32_e32 v2, vcc, v6, v2
	v_addc_co_u32_e32 v3, vcc, v7, v3, vcc
	global_load_dwordx2 v[2:3], v[2:3], off glc
	s_waitcnt vmcnt(0)
	global_atomic_cmpswap_x2 v[6:7], v1, v[2:5], s[6:7] offset:24 glc
	s_waitcnt vmcnt(0)
	buffer_wbinvl1_vol
	v_cmp_ne_u64_e32 vcc, v[6:7], v[4:5]
	s_and_saveexec_b64 s[10:11], vcc
	s_cbranch_execz .LBB2_5
; %bb.2:
	s_mov_b64 s[12:13], 0
.LBB2_3:                                ; =>This Inner Loop Header: Depth=1
	s_sleep 1
	global_load_dwordx2 v[2:3], v1, s[6:7] offset:40
	global_load_dwordx2 v[8:9], v1, s[6:7]
	v_mov_b32_e32 v4, v6
	v_mov_b32_e32 v5, v7
	s_waitcnt vmcnt(1)
	v_and_b32_e32 v2, v2, v4
	s_waitcnt vmcnt(0)
	v_mad_u64_u32 v[6:7], s[14:15], v2, 24, v[8:9]
	v_and_b32_e32 v3, v3, v5
	v_mov_b32_e32 v2, v7
	v_mad_u64_u32 v[2:3], s[14:15], v3, 24, v[2:3]
	v_mov_b32_e32 v7, v2
	global_load_dwordx2 v[2:3], v[6:7], off glc
	s_waitcnt vmcnt(0)
	global_atomic_cmpswap_x2 v[6:7], v1, v[2:5], s[6:7] offset:24 glc
	s_waitcnt vmcnt(0)
	buffer_wbinvl1_vol
	v_cmp_eq_u64_e32 vcc, v[6:7], v[4:5]
	s_or_b64 s[12:13], vcc, s[12:13]
	s_andn2_b64 exec, exec, s[12:13]
	s_cbranch_execnz .LBB2_3
; %bb.4:
	s_or_b64 exec, exec, s[12:13]
.LBB2_5:
	s_or_b64 exec, exec, s[10:11]
.LBB2_6:
	s_or_b64 exec, exec, s[8:9]
	v_mov_b32_e32 v5, 0
	s_waitcnt lgkmcnt(0)
	global_load_dwordx2 v[8:9], v5, s[6:7] offset:40
	global_load_dwordx4 v[1:4], v5, s[6:7]
	v_readfirstlane_b32 s8, v6
	v_readfirstlane_b32 s9, v7
	s_mov_b64 s[10:11], exec
	s_waitcnt vmcnt(1)
	v_readfirstlane_b32 s12, v8
	v_readfirstlane_b32 s13, v9
	s_and_b64 s[12:13], s[8:9], s[12:13]
	s_mul_i32 s14, s13, 24
	s_mul_hi_u32 s15, s12, 24
	s_mul_i32 s16, s12, 24
	s_add_i32 s14, s15, s14
	v_mov_b32_e32 v6, s14
	s_waitcnt vmcnt(0)
	v_add_co_u32_e32 v8, vcc, s16, v1
	v_addc_co_u32_e32 v9, vcc, v2, v6, vcc
	s_and_saveexec_b64 s[14:15], s[4:5]
	s_cbranch_execz .LBB2_8
; %bb.7:
	v_mov_b32_e32 v10, s10
	v_mov_b32_e32 v11, s11
	;; [unrolled: 1-line block ×4, first 2 shown]
	global_store_dwordx4 v[8:9], v[10:13], off offset:8
.LBB2_8:
	s_or_b64 exec, exec, s[14:15]
	s_lshl_b64 s[10:11], s[12:13], 12
	v_mov_b32_e32 v6, s11
	v_add_co_u32_e32 v3, vcc, s10, v3
	v_addc_co_u32_e32 v12, vcc, v4, v6, vcc
	s_mov_b32 s12, 0
	v_lshlrev_b32_e32 v32, 6, v33
	v_mov_b32_e32 v4, 33
	v_mov_b32_e32 v6, v5
	v_mov_b32_e32 v7, v5
	v_readfirstlane_b32 s10, v3
	v_readfirstlane_b32 s11, v12
	v_add_co_u32_e32 v10, vcc, v3, v32
	s_mov_b32 s13, s12
	s_mov_b32 s14, s12
	;; [unrolled: 1-line block ×3, first 2 shown]
	s_nop 0
	global_store_dwordx4 v32, v[4:7], s[10:11]
	v_mov_b32_e32 v3, s12
	v_addc_co_u32_e32 v11, vcc, 0, v12, vcc
	v_mov_b32_e32 v4, s13
	v_mov_b32_e32 v5, s14
	;; [unrolled: 1-line block ×3, first 2 shown]
	global_store_dwordx4 v32, v[3:6], s[10:11] offset:16
	global_store_dwordx4 v32, v[3:6], s[10:11] offset:32
	;; [unrolled: 1-line block ×3, first 2 shown]
	s_and_saveexec_b64 s[10:11], s[4:5]
	s_cbranch_execz .LBB2_16
; %bb.9:
	v_mov_b32_e32 v7, 0
	global_load_dwordx2 v[14:15], v7, s[6:7] offset:32 glc
	global_load_dwordx2 v[3:4], v7, s[6:7] offset:40
	v_mov_b32_e32 v12, s8
	v_mov_b32_e32 v13, s9
	s_waitcnt vmcnt(0)
	v_and_b32_e32 v3, s8, v3
	v_and_b32_e32 v4, s9, v4
	v_mul_lo_u32 v4, v4, 24
	v_mul_hi_u32 v5, v3, 24
	v_mul_lo_u32 v3, v3, 24
	v_add_u32_e32 v4, v5, v4
	v_add_co_u32_e32 v5, vcc, v1, v3
	v_addc_co_u32_e32 v6, vcc, v2, v4, vcc
	global_store_dwordx2 v[5:6], v[14:15], off
	s_waitcnt vmcnt(0)
	global_atomic_cmpswap_x2 v[3:4], v7, v[12:15], s[6:7] offset:32 glc
	s_waitcnt vmcnt(0)
	v_cmp_ne_u64_e32 vcc, v[3:4], v[14:15]
	s_and_saveexec_b64 s[12:13], vcc
	s_cbranch_execz .LBB2_12
; %bb.10:
	s_mov_b64 s[14:15], 0
.LBB2_11:                               ; =>This Inner Loop Header: Depth=1
	s_sleep 1
	global_store_dwordx2 v[5:6], v[3:4], off
	v_mov_b32_e32 v1, s8
	v_mov_b32_e32 v2, s9
	s_waitcnt vmcnt(0)
	global_atomic_cmpswap_x2 v[1:2], v7, v[1:4], s[6:7] offset:32 glc
	s_waitcnt vmcnt(0)
	v_cmp_eq_u64_e32 vcc, v[1:2], v[3:4]
	v_mov_b32_e32 v4, v2
	s_or_b64 s[14:15], vcc, s[14:15]
	v_mov_b32_e32 v3, v1
	s_andn2_b64 exec, exec, s[14:15]
	s_cbranch_execnz .LBB2_11
.LBB2_12:
	s_or_b64 exec, exec, s[12:13]
	v_mov_b32_e32 v4, 0
	global_load_dwordx2 v[1:2], v4, s[6:7] offset:16
	s_mov_b64 s[12:13], exec
	v_mbcnt_lo_u32_b32 v3, s12, 0
	v_mbcnt_hi_u32_b32 v3, s13, v3
	v_cmp_eq_u32_e32 vcc, 0, v3
	s_and_saveexec_b64 s[14:15], vcc
	s_cbranch_execz .LBB2_14
; %bb.13:
	s_bcnt1_i32_b64 s12, s[12:13]
	v_mov_b32_e32 v3, s12
	s_waitcnt vmcnt(0)
	global_atomic_add_x2 v[1:2], v[3:4], off offset:8
.LBB2_14:
	s_or_b64 exec, exec, s[14:15]
	s_waitcnt vmcnt(0)
	global_load_dwordx2 v[3:4], v[1:2], off offset:16
	s_waitcnt vmcnt(0)
	v_cmp_eq_u64_e32 vcc, 0, v[3:4]
	s_cbranch_vccnz .LBB2_16
; %bb.15:
	global_load_dword v1, v[1:2], off offset:24
	v_mov_b32_e32 v2, 0
	s_waitcnt vmcnt(0)
	global_store_dwordx2 v[3:4], v[1:2], off
	v_and_b32_e32 v1, 0xffffff, v1
	v_readfirstlane_b32 m0, v1
	s_sendmsg sendmsg(MSG_INTERRUPT)
.LBB2_16:
	s_or_b64 exec, exec, s[10:11]
	s_branch .LBB2_20
.LBB2_17:                               ;   in Loop: Header=BB2_20 Depth=1
	s_or_b64 exec, exec, s[10:11]
	v_readfirstlane_b32 s10, v1
	s_cmp_eq_u32 s10, 0
	s_cbranch_scc1 .LBB2_19
; %bb.18:                               ;   in Loop: Header=BB2_20 Depth=1
	s_sleep 1
	s_cbranch_execnz .LBB2_20
	s_branch .LBB2_22
.LBB2_19:
	s_branch .LBB2_22
.LBB2_20:                               ; =>This Inner Loop Header: Depth=1
	v_mov_b32_e32 v1, 1
	s_and_saveexec_b64 s[10:11], s[4:5]
	s_cbranch_execz .LBB2_17
; %bb.21:                               ;   in Loop: Header=BB2_20 Depth=1
	global_load_dword v1, v[8:9], off offset:20 glc
	s_waitcnt vmcnt(0)
	buffer_wbinvl1_vol
	v_and_b32_e32 v1, 1, v1
	s_branch .LBB2_17
.LBB2_22:
	global_load_dwordx2 v[1:2], v[10:11], off
	s_and_saveexec_b64 s[10:11], s[4:5]
	s_cbranch_execz .LBB2_25
; %bb.23:
	v_mov_b32_e32 v9, 0
	global_load_dwordx2 v[5:6], v9, s[6:7] offset:40
	global_load_dwordx2 v[10:11], v9, s[6:7] offset:24 glc
	global_load_dwordx2 v[7:8], v9, s[6:7]
	v_mov_b32_e32 v4, s9
	s_mov_b64 s[4:5], 0
	s_waitcnt vmcnt(2)
	v_add_co_u32_e32 v12, vcc, 1, v5
	v_addc_co_u32_e32 v13, vcc, 0, v6, vcc
	v_add_co_u32_e32 v3, vcc, s8, v12
	v_addc_co_u32_e32 v4, vcc, v13, v4, vcc
	v_cmp_eq_u64_e32 vcc, 0, v[3:4]
	v_cndmask_b32_e32 v4, v4, v13, vcc
	v_cndmask_b32_e32 v3, v3, v12, vcc
	v_and_b32_e32 v6, v4, v6
	v_and_b32_e32 v5, v3, v5
	v_mul_lo_u32 v6, v6, 24
	v_mul_hi_u32 v12, v5, 24
	v_mul_lo_u32 v13, v5, 24
	s_waitcnt vmcnt(1)
	v_mov_b32_e32 v5, v10
	v_add_u32_e32 v6, v12, v6
	s_waitcnt vmcnt(0)
	v_add_co_u32_e32 v7, vcc, v7, v13
	v_addc_co_u32_e32 v8, vcc, v8, v6, vcc
	global_store_dwordx2 v[7:8], v[10:11], off
	v_mov_b32_e32 v6, v11
	s_waitcnt vmcnt(0)
	global_atomic_cmpswap_x2 v[5:6], v9, v[3:6], s[6:7] offset:24 glc
	s_waitcnt vmcnt(0)
	v_cmp_ne_u64_e32 vcc, v[5:6], v[10:11]
	s_and_b64 exec, exec, vcc
	s_cbranch_execz .LBB2_25
.LBB2_24:                               ; =>This Inner Loop Header: Depth=1
	s_sleep 1
	global_store_dwordx2 v[7:8], v[5:6], off
	s_waitcnt vmcnt(0)
	global_atomic_cmpswap_x2 v[10:11], v9, v[3:6], s[6:7] offset:24 glc
	s_waitcnt vmcnt(0)
	v_cmp_eq_u64_e32 vcc, v[10:11], v[5:6]
	v_mov_b32_e32 v5, v10
	s_or_b64 s[4:5], vcc, s[4:5]
	v_mov_b32_e32 v6, v11
	s_andn2_b64 exec, exec, s[4:5]
	s_cbranch_execnz .LBB2_24
.LBB2_25:
	s_or_b64 exec, exec, s[10:11]
	s_getpc_b64 s[8:9]
	s_add_u32 s8, s8, .str.6@rel32@lo+4
	s_addc_u32 s9, s9, .str.6@rel32@hi+12
	s_cmp_lg_u64 s[8:9], 0
	s_cbranch_scc0 .LBB2_110
; %bb.26:
	s_waitcnt vmcnt(0)
	v_and_b32_e32 v34, 2, v1
	v_mov_b32_e32 v29, 0
	v_and_b32_e32 v3, -3, v1
	v_mov_b32_e32 v4, v2
	s_mov_b64 s[10:11], 3
	v_mov_b32_e32 v7, 2
	v_mov_b32_e32 v8, 1
	s_branch .LBB2_28
.LBB2_27:                               ;   in Loop: Header=BB2_28 Depth=1
	s_or_b64 exec, exec, s[16:17]
	s_sub_u32 s10, s10, s12
	s_subb_u32 s11, s11, s13
	s_add_u32 s8, s8, s12
	s_addc_u32 s9, s9, s13
	s_cmp_lg_u64 s[10:11], 0
	s_cbranch_scc0 .LBB2_109
.LBB2_28:                               ; =>This Loop Header: Depth=1
                                        ;     Child Loop BB2_31 Depth 2
                                        ;     Child Loop BB2_38 Depth 2
	;; [unrolled: 1-line block ×11, first 2 shown]
	v_cmp_lt_u64_e64 s[4:5], s[10:11], 56
	v_cmp_gt_u64_e64 s[14:15], s[10:11], 7
	s_and_b64 s[4:5], s[4:5], exec
	s_cselect_b32 s13, s11, 0
	s_cselect_b32 s12, s10, 56
	s_and_b64 vcc, exec, s[14:15]
	s_cbranch_vccnz .LBB2_33
; %bb.29:                               ;   in Loop: Header=BB2_28 Depth=1
	v_mov_b32_e32 v11, 0
	s_cmp_eq_u64 s[10:11], 0
	v_mov_b32_e32 v12, 0
	s_mov_b64 s[4:5], 0
	s_cbranch_scc1 .LBB2_32
; %bb.30:                               ;   in Loop: Header=BB2_28 Depth=1
	v_mov_b32_e32 v11, 0
	s_lshl_b64 s[14:15], s[12:13], 3
	s_mov_b64 s[16:17], 0
	v_mov_b32_e32 v12, 0
	s_mov_b64 s[18:19], s[8:9]
.LBB2_31:                               ;   Parent Loop BB2_28 Depth=1
                                        ; =>  This Inner Loop Header: Depth=2
	global_load_ubyte v5, v29, s[18:19]
	s_waitcnt vmcnt(0)
	v_and_b32_e32 v28, 0xffff, v5
	v_lshlrev_b64 v[5:6], s16, v[28:29]
	s_add_u32 s16, s16, 8
	s_addc_u32 s17, s17, 0
	s_add_u32 s18, s18, 1
	s_addc_u32 s19, s19, 0
	v_or_b32_e32 v11, v5, v11
	s_cmp_lg_u32 s14, s16
	v_or_b32_e32 v12, v6, v12
	s_cbranch_scc1 .LBB2_31
.LBB2_32:                               ;   in Loop: Header=BB2_28 Depth=1
	s_mov_b32 s18, 0
	s_andn2_b64 vcc, exec, s[4:5]
	s_mov_b64 s[4:5], s[8:9]
	s_cbranch_vccz .LBB2_34
	s_branch .LBB2_35
.LBB2_33:                               ;   in Loop: Header=BB2_28 Depth=1
                                        ; implicit-def: $vgpr11_vgpr12
                                        ; implicit-def: $sgpr18
	s_mov_b64 s[4:5], s[8:9]
.LBB2_34:                               ;   in Loop: Header=BB2_28 Depth=1
	global_load_dwordx2 v[11:12], v29, s[8:9]
	s_add_i32 s18, s12, -8
	s_add_u32 s4, s8, 8
	s_addc_u32 s5, s9, 0
.LBB2_35:                               ;   in Loop: Header=BB2_28 Depth=1
	s_cmp_gt_u32 s18, 7
	s_cbranch_scc1 .LBB2_39
; %bb.36:                               ;   in Loop: Header=BB2_28 Depth=1
	s_cmp_eq_u32 s18, 0
	s_cbranch_scc1 .LBB2_40
; %bb.37:                               ;   in Loop: Header=BB2_28 Depth=1
	v_mov_b32_e32 v13, 0
	s_mov_b64 s[14:15], 0
	v_mov_b32_e32 v14, 0
	s_mov_b64 s[16:17], 0
.LBB2_38:                               ;   Parent Loop BB2_28 Depth=1
                                        ; =>  This Inner Loop Header: Depth=2
	s_add_u32 s20, s4, s16
	s_addc_u32 s21, s5, s17
	global_load_ubyte v5, v29, s[20:21]
	s_add_u32 s16, s16, 1
	s_addc_u32 s17, s17, 0
	s_waitcnt vmcnt(0)
	v_and_b32_e32 v28, 0xffff, v5
	v_lshlrev_b64 v[5:6], s14, v[28:29]
	s_add_u32 s14, s14, 8
	s_addc_u32 s15, s15, 0
	v_or_b32_e32 v13, v5, v13
	s_cmp_lg_u32 s18, s16
	v_or_b32_e32 v14, v6, v14
	s_cbranch_scc1 .LBB2_38
	s_branch .LBB2_41
.LBB2_39:                               ;   in Loop: Header=BB2_28 Depth=1
                                        ; implicit-def: $vgpr13_vgpr14
                                        ; implicit-def: $sgpr19
	s_branch .LBB2_42
.LBB2_40:                               ;   in Loop: Header=BB2_28 Depth=1
	v_mov_b32_e32 v13, 0
	v_mov_b32_e32 v14, 0
.LBB2_41:                               ;   in Loop: Header=BB2_28 Depth=1
	s_mov_b32 s19, 0
	s_cbranch_execnz .LBB2_43
.LBB2_42:                               ;   in Loop: Header=BB2_28 Depth=1
	global_load_dwordx2 v[13:14], v29, s[4:5]
	s_add_i32 s19, s18, -8
	s_add_u32 s4, s4, 8
	s_addc_u32 s5, s5, 0
.LBB2_43:                               ;   in Loop: Header=BB2_28 Depth=1
	s_cmp_gt_u32 s19, 7
	s_cbranch_scc1 .LBB2_47
; %bb.44:                               ;   in Loop: Header=BB2_28 Depth=1
	s_cmp_eq_u32 s19, 0
	s_cbranch_scc1 .LBB2_48
; %bb.45:                               ;   in Loop: Header=BB2_28 Depth=1
	v_mov_b32_e32 v15, 0
	s_mov_b64 s[14:15], 0
	v_mov_b32_e32 v16, 0
	s_mov_b64 s[16:17], 0
.LBB2_46:                               ;   Parent Loop BB2_28 Depth=1
                                        ; =>  This Inner Loop Header: Depth=2
	s_add_u32 s20, s4, s16
	s_addc_u32 s21, s5, s17
	global_load_ubyte v5, v29, s[20:21]
	s_add_u32 s16, s16, 1
	s_addc_u32 s17, s17, 0
	s_waitcnt vmcnt(0)
	v_and_b32_e32 v28, 0xffff, v5
	v_lshlrev_b64 v[5:6], s14, v[28:29]
	s_add_u32 s14, s14, 8
	s_addc_u32 s15, s15, 0
	v_or_b32_e32 v15, v5, v15
	s_cmp_lg_u32 s19, s16
	v_or_b32_e32 v16, v6, v16
	s_cbranch_scc1 .LBB2_46
	s_branch .LBB2_49
.LBB2_47:                               ;   in Loop: Header=BB2_28 Depth=1
                                        ; implicit-def: $sgpr18
	s_branch .LBB2_50
.LBB2_48:                               ;   in Loop: Header=BB2_28 Depth=1
	v_mov_b32_e32 v15, 0
	v_mov_b32_e32 v16, 0
.LBB2_49:                               ;   in Loop: Header=BB2_28 Depth=1
	s_mov_b32 s18, 0
	s_cbranch_execnz .LBB2_51
.LBB2_50:                               ;   in Loop: Header=BB2_28 Depth=1
	global_load_dwordx2 v[15:16], v29, s[4:5]
	s_add_i32 s18, s19, -8
	s_add_u32 s4, s4, 8
	s_addc_u32 s5, s5, 0
.LBB2_51:                               ;   in Loop: Header=BB2_28 Depth=1
	s_cmp_gt_u32 s18, 7
	s_cbranch_scc1 .LBB2_55
; %bb.52:                               ;   in Loop: Header=BB2_28 Depth=1
	s_cmp_eq_u32 s18, 0
	s_cbranch_scc1 .LBB2_56
; %bb.53:                               ;   in Loop: Header=BB2_28 Depth=1
	v_mov_b32_e32 v17, 0
	s_mov_b64 s[14:15], 0
	v_mov_b32_e32 v18, 0
	s_mov_b64 s[16:17], 0
.LBB2_54:                               ;   Parent Loop BB2_28 Depth=1
                                        ; =>  This Inner Loop Header: Depth=2
	s_add_u32 s20, s4, s16
	s_addc_u32 s21, s5, s17
	global_load_ubyte v5, v29, s[20:21]
	s_add_u32 s16, s16, 1
	s_addc_u32 s17, s17, 0
	s_waitcnt vmcnt(0)
	v_and_b32_e32 v28, 0xffff, v5
	v_lshlrev_b64 v[5:6], s14, v[28:29]
	s_add_u32 s14, s14, 8
	s_addc_u32 s15, s15, 0
	v_or_b32_e32 v17, v5, v17
	s_cmp_lg_u32 s18, s16
	v_or_b32_e32 v18, v6, v18
	s_cbranch_scc1 .LBB2_54
	s_branch .LBB2_57
.LBB2_55:                               ;   in Loop: Header=BB2_28 Depth=1
                                        ; implicit-def: $vgpr17_vgpr18
                                        ; implicit-def: $sgpr19
	s_branch .LBB2_58
.LBB2_56:                               ;   in Loop: Header=BB2_28 Depth=1
	v_mov_b32_e32 v17, 0
	v_mov_b32_e32 v18, 0
.LBB2_57:                               ;   in Loop: Header=BB2_28 Depth=1
	s_mov_b32 s19, 0
	s_cbranch_execnz .LBB2_59
.LBB2_58:                               ;   in Loop: Header=BB2_28 Depth=1
	global_load_dwordx2 v[17:18], v29, s[4:5]
	s_add_i32 s19, s18, -8
	s_add_u32 s4, s4, 8
	s_addc_u32 s5, s5, 0
.LBB2_59:                               ;   in Loop: Header=BB2_28 Depth=1
	s_cmp_gt_u32 s19, 7
	s_cbranch_scc1 .LBB2_63
; %bb.60:                               ;   in Loop: Header=BB2_28 Depth=1
	s_cmp_eq_u32 s19, 0
	s_cbranch_scc1 .LBB2_64
; %bb.61:                               ;   in Loop: Header=BB2_28 Depth=1
	v_mov_b32_e32 v19, 0
	s_mov_b64 s[14:15], 0
	v_mov_b32_e32 v20, 0
	s_mov_b64 s[16:17], 0
.LBB2_62:                               ;   Parent Loop BB2_28 Depth=1
                                        ; =>  This Inner Loop Header: Depth=2
	s_add_u32 s20, s4, s16
	s_addc_u32 s21, s5, s17
	global_load_ubyte v5, v29, s[20:21]
	s_add_u32 s16, s16, 1
	s_addc_u32 s17, s17, 0
	s_waitcnt vmcnt(0)
	v_and_b32_e32 v28, 0xffff, v5
	v_lshlrev_b64 v[5:6], s14, v[28:29]
	s_add_u32 s14, s14, 8
	s_addc_u32 s15, s15, 0
	v_or_b32_e32 v19, v5, v19
	s_cmp_lg_u32 s19, s16
	v_or_b32_e32 v20, v6, v20
	s_cbranch_scc1 .LBB2_62
	s_branch .LBB2_65
.LBB2_63:                               ;   in Loop: Header=BB2_28 Depth=1
                                        ; implicit-def: $sgpr18
	s_branch .LBB2_66
.LBB2_64:                               ;   in Loop: Header=BB2_28 Depth=1
	v_mov_b32_e32 v19, 0
	v_mov_b32_e32 v20, 0
.LBB2_65:                               ;   in Loop: Header=BB2_28 Depth=1
	s_mov_b32 s18, 0
	s_cbranch_execnz .LBB2_67
.LBB2_66:                               ;   in Loop: Header=BB2_28 Depth=1
	global_load_dwordx2 v[19:20], v29, s[4:5]
	s_add_i32 s18, s19, -8
	s_add_u32 s4, s4, 8
	s_addc_u32 s5, s5, 0
.LBB2_67:                               ;   in Loop: Header=BB2_28 Depth=1
	s_cmp_gt_u32 s18, 7
	s_cbranch_scc1 .LBB2_71
; %bb.68:                               ;   in Loop: Header=BB2_28 Depth=1
	s_cmp_eq_u32 s18, 0
	s_cbranch_scc1 .LBB2_72
; %bb.69:                               ;   in Loop: Header=BB2_28 Depth=1
	v_mov_b32_e32 v21, 0
	s_mov_b64 s[14:15], 0
	v_mov_b32_e32 v22, 0
	s_mov_b64 s[16:17], 0
.LBB2_70:                               ;   Parent Loop BB2_28 Depth=1
                                        ; =>  This Inner Loop Header: Depth=2
	s_add_u32 s20, s4, s16
	s_addc_u32 s21, s5, s17
	global_load_ubyte v5, v29, s[20:21]
	s_add_u32 s16, s16, 1
	s_addc_u32 s17, s17, 0
	s_waitcnt vmcnt(0)
	v_and_b32_e32 v28, 0xffff, v5
	v_lshlrev_b64 v[5:6], s14, v[28:29]
	s_add_u32 s14, s14, 8
	s_addc_u32 s15, s15, 0
	v_or_b32_e32 v21, v5, v21
	s_cmp_lg_u32 s18, s16
	v_or_b32_e32 v22, v6, v22
	s_cbranch_scc1 .LBB2_70
	s_branch .LBB2_73
.LBB2_71:                               ;   in Loop: Header=BB2_28 Depth=1
                                        ; implicit-def: $vgpr21_vgpr22
                                        ; implicit-def: $sgpr19
	s_branch .LBB2_74
.LBB2_72:                               ;   in Loop: Header=BB2_28 Depth=1
	v_mov_b32_e32 v21, 0
	v_mov_b32_e32 v22, 0
.LBB2_73:                               ;   in Loop: Header=BB2_28 Depth=1
	s_mov_b32 s19, 0
	s_cbranch_execnz .LBB2_75
.LBB2_74:                               ;   in Loop: Header=BB2_28 Depth=1
	global_load_dwordx2 v[21:22], v29, s[4:5]
	s_add_i32 s19, s18, -8
	s_add_u32 s4, s4, 8
	s_addc_u32 s5, s5, 0
.LBB2_75:                               ;   in Loop: Header=BB2_28 Depth=1
	s_cmp_gt_u32 s19, 7
	s_cbranch_scc1 .LBB2_79
; %bb.76:                               ;   in Loop: Header=BB2_28 Depth=1
	s_cmp_eq_u32 s19, 0
	s_cbranch_scc1 .LBB2_80
; %bb.77:                               ;   in Loop: Header=BB2_28 Depth=1
	v_mov_b32_e32 v23, 0
	s_mov_b64 s[14:15], 0
	v_mov_b32_e32 v24, 0
	s_mov_b64 s[16:17], s[4:5]
.LBB2_78:                               ;   Parent Loop BB2_28 Depth=1
                                        ; =>  This Inner Loop Header: Depth=2
	global_load_ubyte v5, v29, s[16:17]
	s_add_i32 s19, s19, -1
	s_waitcnt vmcnt(0)
	v_and_b32_e32 v28, 0xffff, v5
	v_lshlrev_b64 v[5:6], s14, v[28:29]
	s_add_u32 s14, s14, 8
	s_addc_u32 s15, s15, 0
	s_add_u32 s16, s16, 1
	s_addc_u32 s17, s17, 0
	v_or_b32_e32 v23, v5, v23
	s_cmp_lg_u32 s19, 0
	v_or_b32_e32 v24, v6, v24
	s_cbranch_scc1 .LBB2_78
	s_branch .LBB2_81
.LBB2_79:                               ;   in Loop: Header=BB2_28 Depth=1
	s_branch .LBB2_82
.LBB2_80:                               ;   in Loop: Header=BB2_28 Depth=1
	v_mov_b32_e32 v23, 0
	v_mov_b32_e32 v24, 0
.LBB2_81:                               ;   in Loop: Header=BB2_28 Depth=1
	s_cbranch_execnz .LBB2_83
.LBB2_82:                               ;   in Loop: Header=BB2_28 Depth=1
	global_load_dwordx2 v[23:24], v29, s[4:5]
.LBB2_83:                               ;   in Loop: Header=BB2_28 Depth=1
	v_readfirstlane_b32 s4, v33
	s_waitcnt vmcnt(0)
	v_mov_b32_e32 v5, 0
	v_mov_b32_e32 v6, 0
	v_cmp_eq_u32_e64 s[4:5], s4, v33
	s_and_saveexec_b64 s[14:15], s[4:5]
	s_cbranch_execz .LBB2_89
; %bb.84:                               ;   in Loop: Header=BB2_28 Depth=1
	global_load_dwordx2 v[27:28], v29, s[6:7] offset:24 glc
	s_waitcnt vmcnt(0)
	buffer_wbinvl1_vol
	global_load_dwordx2 v[5:6], v29, s[6:7] offset:40
	global_load_dwordx2 v[9:10], v29, s[6:7]
	s_waitcnt vmcnt(1)
	v_and_b32_e32 v5, v5, v27
	v_and_b32_e32 v6, v6, v28
	v_mul_lo_u32 v6, v6, 24
	v_mul_hi_u32 v25, v5, 24
	v_mul_lo_u32 v5, v5, 24
	v_add_u32_e32 v6, v25, v6
	s_waitcnt vmcnt(0)
	v_add_co_u32_e32 v5, vcc, v9, v5
	v_addc_co_u32_e32 v6, vcc, v10, v6, vcc
	global_load_dwordx2 v[25:26], v[5:6], off glc
	s_waitcnt vmcnt(0)
	global_atomic_cmpswap_x2 v[5:6], v29, v[25:28], s[6:7] offset:24 glc
	s_waitcnt vmcnt(0)
	buffer_wbinvl1_vol
	v_cmp_ne_u64_e32 vcc, v[5:6], v[27:28]
	s_and_saveexec_b64 s[16:17], vcc
	s_cbranch_execz .LBB2_88
; %bb.85:                               ;   in Loop: Header=BB2_28 Depth=1
	s_mov_b64 s[18:19], 0
.LBB2_86:                               ;   Parent Loop BB2_28 Depth=1
                                        ; =>  This Inner Loop Header: Depth=2
	s_sleep 1
	global_load_dwordx2 v[9:10], v29, s[6:7] offset:40
	global_load_dwordx2 v[25:26], v29, s[6:7]
	v_mov_b32_e32 v28, v6
	v_mov_b32_e32 v27, v5
	s_waitcnt vmcnt(1)
	v_and_b32_e32 v5, v9, v27
	s_waitcnt vmcnt(0)
	v_mad_u64_u32 v[5:6], s[20:21], v5, 24, v[25:26]
	v_and_b32_e32 v9, v10, v28
	v_mad_u64_u32 v[9:10], s[20:21], v9, 24, v[6:7]
	v_mov_b32_e32 v6, v9
	global_load_dwordx2 v[25:26], v[5:6], off glc
	s_waitcnt vmcnt(0)
	global_atomic_cmpswap_x2 v[5:6], v29, v[25:28], s[6:7] offset:24 glc
	s_waitcnt vmcnt(0)
	buffer_wbinvl1_vol
	v_cmp_eq_u64_e32 vcc, v[5:6], v[27:28]
	s_or_b64 s[18:19], vcc, s[18:19]
	s_andn2_b64 exec, exec, s[18:19]
	s_cbranch_execnz .LBB2_86
; %bb.87:                               ;   in Loop: Header=BB2_28 Depth=1
	s_or_b64 exec, exec, s[18:19]
.LBB2_88:                               ;   in Loop: Header=BB2_28 Depth=1
	s_or_b64 exec, exec, s[16:17]
.LBB2_89:                               ;   in Loop: Header=BB2_28 Depth=1
	s_or_b64 exec, exec, s[14:15]
	global_load_dwordx2 v[9:10], v29, s[6:7] offset:40
	global_load_dwordx4 v[25:28], v29, s[6:7]
	v_readfirstlane_b32 s14, v5
	v_readfirstlane_b32 s15, v6
	s_mov_b64 s[16:17], exec
	s_waitcnt vmcnt(1)
	v_readfirstlane_b32 s18, v9
	v_readfirstlane_b32 s19, v10
	s_and_b64 s[18:19], s[14:15], s[18:19]
	s_mul_i32 s20, s19, 24
	s_mul_hi_u32 s21, s18, 24
	s_mul_i32 s22, s18, 24
	s_add_i32 s20, s21, s20
	v_mov_b32_e32 v5, s20
	s_waitcnt vmcnt(0)
	v_add_co_u32_e32 v30, vcc, s22, v25
	v_addc_co_u32_e32 v31, vcc, v26, v5, vcc
	s_and_saveexec_b64 s[20:21], s[4:5]
	s_cbranch_execz .LBB2_91
; %bb.90:                               ;   in Loop: Header=BB2_28 Depth=1
	v_mov_b32_e32 v5, s16
	v_mov_b32_e32 v6, s17
	global_store_dwordx4 v[30:31], v[5:8], off offset:8
.LBB2_91:                               ;   in Loop: Header=BB2_28 Depth=1
	s_or_b64 exec, exec, s[20:21]
	s_lshl_b64 s[16:17], s[18:19], 12
	v_mov_b32_e32 v5, s17
	v_add_co_u32_e32 v27, vcc, s16, v27
	v_addc_co_u32_e32 v35, vcc, v28, v5, vcc
	v_cmp_gt_u64_e64 vcc, s[10:11], 56
	v_or_b32_e32 v6, v3, v34
	s_lshl_b32 s16, s12, 2
	v_cndmask_b32_e32 v3, v6, v3, vcc
	s_add_i32 s16, s16, 28
	v_or_b32_e32 v5, 0, v4
	s_and_b32 s16, s16, 0x1e0
	v_and_b32_e32 v3, 0xffffff1f, v3
	v_cndmask_b32_e32 v10, v5, v4, vcc
	v_or_b32_e32 v9, s16, v3
	v_readfirstlane_b32 s16, v27
	v_readfirstlane_b32 s17, v35
	s_nop 4
	global_store_dwordx4 v32, v[9:12], s[16:17]
	global_store_dwordx4 v32, v[13:16], s[16:17] offset:16
	global_store_dwordx4 v32, v[17:20], s[16:17] offset:32
	global_store_dwordx4 v32, v[21:24], s[16:17] offset:48
	s_and_saveexec_b64 s[16:17], s[4:5]
	s_cbranch_execz .LBB2_99
; %bb.92:                               ;   in Loop: Header=BB2_28 Depth=1
	global_load_dwordx2 v[13:14], v29, s[6:7] offset:32 glc
	global_load_dwordx2 v[3:4], v29, s[6:7] offset:40
	v_mov_b32_e32 v11, s14
	v_mov_b32_e32 v12, s15
	s_waitcnt vmcnt(0)
	v_readfirstlane_b32 s18, v3
	v_readfirstlane_b32 s19, v4
	s_and_b64 s[18:19], s[18:19], s[14:15]
	s_mul_i32 s19, s19, 24
	s_mul_hi_u32 s20, s18, 24
	s_mul_i32 s18, s18, 24
	s_add_i32 s19, s20, s19
	v_mov_b32_e32 v3, s19
	v_add_co_u32_e32 v9, vcc, s18, v25
	v_addc_co_u32_e32 v10, vcc, v26, v3, vcc
	global_store_dwordx2 v[9:10], v[13:14], off
	s_waitcnt vmcnt(0)
	global_atomic_cmpswap_x2 v[5:6], v29, v[11:14], s[6:7] offset:32 glc
	s_waitcnt vmcnt(0)
	v_cmp_ne_u64_e32 vcc, v[5:6], v[13:14]
	s_and_saveexec_b64 s[18:19], vcc
	s_cbranch_execz .LBB2_95
; %bb.93:                               ;   in Loop: Header=BB2_28 Depth=1
	s_mov_b64 s[20:21], 0
.LBB2_94:                               ;   Parent Loop BB2_28 Depth=1
                                        ; =>  This Inner Loop Header: Depth=2
	s_sleep 1
	global_store_dwordx2 v[9:10], v[5:6], off
	v_mov_b32_e32 v3, s14
	v_mov_b32_e32 v4, s15
	s_waitcnt vmcnt(0)
	global_atomic_cmpswap_x2 v[3:4], v29, v[3:6], s[6:7] offset:32 glc
	s_waitcnt vmcnt(0)
	v_cmp_eq_u64_e32 vcc, v[3:4], v[5:6]
	v_mov_b32_e32 v6, v4
	s_or_b64 s[20:21], vcc, s[20:21]
	v_mov_b32_e32 v5, v3
	s_andn2_b64 exec, exec, s[20:21]
	s_cbranch_execnz .LBB2_94
.LBB2_95:                               ;   in Loop: Header=BB2_28 Depth=1
	s_or_b64 exec, exec, s[18:19]
	global_load_dwordx2 v[3:4], v29, s[6:7] offset:16
	s_mov_b64 s[20:21], exec
	v_mbcnt_lo_u32_b32 v5, s20, 0
	v_mbcnt_hi_u32_b32 v5, s21, v5
	v_cmp_eq_u32_e32 vcc, 0, v5
	s_and_saveexec_b64 s[18:19], vcc
	s_cbranch_execz .LBB2_97
; %bb.96:                               ;   in Loop: Header=BB2_28 Depth=1
	s_bcnt1_i32_b64 s20, s[20:21]
	v_mov_b32_e32 v28, s20
	s_waitcnt vmcnt(0)
	global_atomic_add_x2 v[3:4], v[28:29], off offset:8
.LBB2_97:                               ;   in Loop: Header=BB2_28 Depth=1
	s_or_b64 exec, exec, s[18:19]
	s_waitcnt vmcnt(0)
	global_load_dwordx2 v[5:6], v[3:4], off offset:16
	s_waitcnt vmcnt(0)
	v_cmp_eq_u64_e32 vcc, 0, v[5:6]
	s_cbranch_vccnz .LBB2_99
; %bb.98:                               ;   in Loop: Header=BB2_28 Depth=1
	global_load_dword v28, v[3:4], off offset:24
	s_waitcnt vmcnt(0)
	v_and_b32_e32 v3, 0xffffff, v28
	v_readfirstlane_b32 m0, v3
	global_store_dwordx2 v[5:6], v[28:29], off
	s_sendmsg sendmsg(MSG_INTERRUPT)
.LBB2_99:                               ;   in Loop: Header=BB2_28 Depth=1
	s_or_b64 exec, exec, s[16:17]
	v_add_co_u32_e32 v3, vcc, v27, v32
	v_addc_co_u32_e32 v4, vcc, 0, v35, vcc
	s_branch .LBB2_103
.LBB2_100:                              ;   in Loop: Header=BB2_103 Depth=2
	s_or_b64 exec, exec, s[16:17]
	v_readfirstlane_b32 s16, v5
	s_cmp_eq_u32 s16, 0
	s_cbranch_scc1 .LBB2_102
; %bb.101:                              ;   in Loop: Header=BB2_103 Depth=2
	s_sleep 1
	s_cbranch_execnz .LBB2_103
	s_branch .LBB2_105
.LBB2_102:                              ;   in Loop: Header=BB2_28 Depth=1
	s_branch .LBB2_105
.LBB2_103:                              ;   Parent Loop BB2_28 Depth=1
                                        ; =>  This Inner Loop Header: Depth=2
	v_mov_b32_e32 v5, 1
	s_and_saveexec_b64 s[16:17], s[4:5]
	s_cbranch_execz .LBB2_100
; %bb.104:                              ;   in Loop: Header=BB2_103 Depth=2
	global_load_dword v5, v[30:31], off offset:20 glc
	s_waitcnt vmcnt(0)
	buffer_wbinvl1_vol
	v_and_b32_e32 v5, 1, v5
	s_branch .LBB2_100
.LBB2_105:                              ;   in Loop: Header=BB2_28 Depth=1
	global_load_dwordx4 v[3:6], v[3:4], off
	s_and_saveexec_b64 s[16:17], s[4:5]
	s_cbranch_execz .LBB2_27
; %bb.106:                              ;   in Loop: Header=BB2_28 Depth=1
	global_load_dwordx2 v[5:6], v29, s[6:7] offset:40
	global_load_dwordx2 v[13:14], v29, s[6:7] offset:24 glc
	global_load_dwordx2 v[15:16], v29, s[6:7]
	v_mov_b32_e32 v10, s15
	s_waitcnt vmcnt(2)
	v_add_co_u32_e32 v11, vcc, 1, v5
	v_addc_co_u32_e32 v12, vcc, 0, v6, vcc
	v_add_co_u32_e32 v9, vcc, s14, v11
	v_addc_co_u32_e32 v10, vcc, v12, v10, vcc
	v_cmp_eq_u64_e32 vcc, 0, v[9:10]
	v_cndmask_b32_e32 v10, v10, v12, vcc
	v_cndmask_b32_e32 v9, v9, v11, vcc
	v_and_b32_e32 v6, v10, v6
	v_and_b32_e32 v5, v9, v5
	v_mul_lo_u32 v6, v6, 24
	v_mul_hi_u32 v12, v5, 24
	v_mul_lo_u32 v5, v5, 24
	s_waitcnt vmcnt(1)
	v_mov_b32_e32 v11, v13
	v_add_u32_e32 v6, v12, v6
	s_waitcnt vmcnt(0)
	v_add_co_u32_e32 v5, vcc, v15, v5
	v_addc_co_u32_e32 v6, vcc, v16, v6, vcc
	global_store_dwordx2 v[5:6], v[13:14], off
	v_mov_b32_e32 v12, v14
	s_waitcnt vmcnt(0)
	global_atomic_cmpswap_x2 v[11:12], v29, v[9:12], s[6:7] offset:24 glc
	s_waitcnt vmcnt(0)
	v_cmp_ne_u64_e32 vcc, v[11:12], v[13:14]
	s_and_b64 exec, exec, vcc
	s_cbranch_execz .LBB2_27
; %bb.107:                              ;   in Loop: Header=BB2_28 Depth=1
	s_mov_b64 s[4:5], 0
.LBB2_108:                              ;   Parent Loop BB2_28 Depth=1
                                        ; =>  This Inner Loop Header: Depth=2
	s_sleep 1
	global_store_dwordx2 v[5:6], v[11:12], off
	s_waitcnt vmcnt(0)
	global_atomic_cmpswap_x2 v[13:14], v29, v[9:12], s[6:7] offset:24 glc
	s_waitcnt vmcnt(0)
	v_cmp_eq_u64_e32 vcc, v[13:14], v[11:12]
	v_mov_b32_e32 v11, v13
	s_or_b64 s[4:5], vcc, s[4:5]
	v_mov_b32_e32 v12, v14
	s_andn2_b64 exec, exec, s[4:5]
	s_cbranch_execnz .LBB2_108
	s_branch .LBB2_27
.LBB2_109:
	s_branch .LBB2_137
.LBB2_110:
                                        ; implicit-def: $vgpr3_vgpr4
	s_cbranch_execz .LBB2_137
; %bb.111:
	v_readfirstlane_b32 s4, v33
	v_mov_b32_e32 v9, 0
	v_mov_b32_e32 v10, 0
	v_cmp_eq_u32_e64 s[4:5], s4, v33
	s_and_saveexec_b64 s[8:9], s[4:5]
	s_cbranch_execz .LBB2_117
; %bb.112:
	s_waitcnt vmcnt(0)
	v_mov_b32_e32 v3, 0
	global_load_dwordx2 v[6:7], v3, s[6:7] offset:24 glc
	s_waitcnt vmcnt(0)
	buffer_wbinvl1_vol
	global_load_dwordx2 v[4:5], v3, s[6:7] offset:40
	global_load_dwordx2 v[8:9], v3, s[6:7]
	s_waitcnt vmcnt(1)
	v_and_b32_e32 v4, v4, v6
	v_and_b32_e32 v5, v5, v7
	v_mul_lo_u32 v5, v5, 24
	v_mul_hi_u32 v10, v4, 24
	v_mul_lo_u32 v4, v4, 24
	v_add_u32_e32 v5, v10, v5
	s_waitcnt vmcnt(0)
	v_add_co_u32_e32 v4, vcc, v8, v4
	v_addc_co_u32_e32 v5, vcc, v9, v5, vcc
	global_load_dwordx2 v[4:5], v[4:5], off glc
	s_waitcnt vmcnt(0)
	global_atomic_cmpswap_x2 v[9:10], v3, v[4:7], s[6:7] offset:24 glc
	s_waitcnt vmcnt(0)
	buffer_wbinvl1_vol
	v_cmp_ne_u64_e32 vcc, v[9:10], v[6:7]
	s_and_saveexec_b64 s[10:11], vcc
	s_cbranch_execz .LBB2_116
; %bb.113:
	s_mov_b64 s[12:13], 0
.LBB2_114:                              ; =>This Inner Loop Header: Depth=1
	s_sleep 1
	global_load_dwordx2 v[4:5], v3, s[6:7] offset:40
	global_load_dwordx2 v[11:12], v3, s[6:7]
	v_mov_b32_e32 v6, v9
	v_mov_b32_e32 v7, v10
	s_waitcnt vmcnt(1)
	v_and_b32_e32 v4, v4, v6
	s_waitcnt vmcnt(0)
	v_mad_u64_u32 v[8:9], s[14:15], v4, 24, v[11:12]
	v_and_b32_e32 v5, v5, v7
	v_mov_b32_e32 v4, v9
	v_mad_u64_u32 v[4:5], s[14:15], v5, 24, v[4:5]
	v_mov_b32_e32 v9, v4
	global_load_dwordx2 v[4:5], v[8:9], off glc
	s_waitcnt vmcnt(0)
	global_atomic_cmpswap_x2 v[9:10], v3, v[4:7], s[6:7] offset:24 glc
	s_waitcnt vmcnt(0)
	buffer_wbinvl1_vol
	v_cmp_eq_u64_e32 vcc, v[9:10], v[6:7]
	s_or_b64 s[12:13], vcc, s[12:13]
	s_andn2_b64 exec, exec, s[12:13]
	s_cbranch_execnz .LBB2_114
; %bb.115:
	s_or_b64 exec, exec, s[12:13]
.LBB2_116:
	s_or_b64 exec, exec, s[10:11]
.LBB2_117:
	s_or_b64 exec, exec, s[8:9]
	s_waitcnt vmcnt(0)
	v_mov_b32_e32 v3, 0
	global_load_dwordx2 v[11:12], v3, s[6:7] offset:40
	global_load_dwordx4 v[5:8], v3, s[6:7]
	v_readfirstlane_b32 s8, v9
	v_readfirstlane_b32 s9, v10
	s_mov_b64 s[10:11], exec
	s_waitcnt vmcnt(1)
	v_readfirstlane_b32 s12, v11
	v_readfirstlane_b32 s13, v12
	s_and_b64 s[12:13], s[8:9], s[12:13]
	s_mul_i32 s14, s13, 24
	s_mul_hi_u32 s15, s12, 24
	s_mul_i32 s16, s12, 24
	s_add_i32 s14, s15, s14
	v_mov_b32_e32 v4, s14
	s_waitcnt vmcnt(0)
	v_add_co_u32_e32 v9, vcc, s16, v5
	v_addc_co_u32_e32 v10, vcc, v6, v4, vcc
	s_and_saveexec_b64 s[14:15], s[4:5]
	s_cbranch_execz .LBB2_119
; %bb.118:
	v_mov_b32_e32 v12, s11
	v_mov_b32_e32 v11, s10
	;; [unrolled: 1-line block ×4, first 2 shown]
	global_store_dwordx4 v[9:10], v[11:14], off offset:8
.LBB2_119:
	s_or_b64 exec, exec, s[14:15]
	s_lshl_b64 s[10:11], s[12:13], 12
	v_mov_b32_e32 v4, s11
	v_add_co_u32_e32 v11, vcc, s10, v7
	v_addc_co_u32_e32 v12, vcc, v8, v4, vcc
	s_movk_i32 s10, 0xff1f
	v_and_or_b32 v1, v1, s10, 32
	s_mov_b32 s12, 0
	v_mov_b32_e32 v4, v3
	v_readfirstlane_b32 s10, v11
	v_readfirstlane_b32 s11, v12
	v_add_co_u32_e32 v7, vcc, v11, v32
	s_mov_b32 s13, s12
	s_mov_b32 s14, s12
	;; [unrolled: 1-line block ×3, first 2 shown]
	s_nop 0
	global_store_dwordx4 v32, v[1:4], s[10:11]
	v_addc_co_u32_e32 v8, vcc, 0, v12, vcc
	v_mov_b32_e32 v1, s12
	v_mov_b32_e32 v2, s13
	v_mov_b32_e32 v3, s14
	v_mov_b32_e32 v4, s15
	global_store_dwordx4 v32, v[1:4], s[10:11] offset:16
	global_store_dwordx4 v32, v[1:4], s[10:11] offset:32
	;; [unrolled: 1-line block ×3, first 2 shown]
	s_and_saveexec_b64 s[10:11], s[4:5]
	s_cbranch_execz .LBB2_127
; %bb.120:
	v_mov_b32_e32 v11, 0
	global_load_dwordx2 v[14:15], v11, s[6:7] offset:32 glc
	global_load_dwordx2 v[1:2], v11, s[6:7] offset:40
	v_mov_b32_e32 v12, s8
	v_mov_b32_e32 v13, s9
	s_waitcnt vmcnt(0)
	v_readfirstlane_b32 s12, v1
	v_readfirstlane_b32 s13, v2
	s_and_b64 s[12:13], s[12:13], s[8:9]
	s_mul_i32 s13, s13, 24
	s_mul_hi_u32 s14, s12, 24
	s_mul_i32 s12, s12, 24
	s_add_i32 s13, s14, s13
	v_mov_b32_e32 v1, s13
	v_add_co_u32_e32 v5, vcc, s12, v5
	v_addc_co_u32_e32 v6, vcc, v6, v1, vcc
	global_store_dwordx2 v[5:6], v[14:15], off
	s_waitcnt vmcnt(0)
	global_atomic_cmpswap_x2 v[3:4], v11, v[12:15], s[6:7] offset:32 glc
	s_waitcnt vmcnt(0)
	v_cmp_ne_u64_e32 vcc, v[3:4], v[14:15]
	s_and_saveexec_b64 s[12:13], vcc
	s_cbranch_execz .LBB2_123
; %bb.121:
	s_mov_b64 s[14:15], 0
.LBB2_122:                              ; =>This Inner Loop Header: Depth=1
	s_sleep 1
	global_store_dwordx2 v[5:6], v[3:4], off
	v_mov_b32_e32 v1, s8
	v_mov_b32_e32 v2, s9
	s_waitcnt vmcnt(0)
	global_atomic_cmpswap_x2 v[1:2], v11, v[1:4], s[6:7] offset:32 glc
	s_waitcnt vmcnt(0)
	v_cmp_eq_u64_e32 vcc, v[1:2], v[3:4]
	v_mov_b32_e32 v4, v2
	s_or_b64 s[14:15], vcc, s[14:15]
	v_mov_b32_e32 v3, v1
	s_andn2_b64 exec, exec, s[14:15]
	s_cbranch_execnz .LBB2_122
.LBB2_123:
	s_or_b64 exec, exec, s[12:13]
	v_mov_b32_e32 v4, 0
	global_load_dwordx2 v[1:2], v4, s[6:7] offset:16
	s_mov_b64 s[12:13], exec
	v_mbcnt_lo_u32_b32 v3, s12, 0
	v_mbcnt_hi_u32_b32 v3, s13, v3
	v_cmp_eq_u32_e32 vcc, 0, v3
	s_and_saveexec_b64 s[14:15], vcc
	s_cbranch_execz .LBB2_125
; %bb.124:
	s_bcnt1_i32_b64 s12, s[12:13]
	v_mov_b32_e32 v3, s12
	s_waitcnt vmcnt(0)
	global_atomic_add_x2 v[1:2], v[3:4], off offset:8
.LBB2_125:
	s_or_b64 exec, exec, s[14:15]
	s_waitcnt vmcnt(0)
	global_load_dwordx2 v[3:4], v[1:2], off offset:16
	s_waitcnt vmcnt(0)
	v_cmp_eq_u64_e32 vcc, 0, v[3:4]
	s_cbranch_vccnz .LBB2_127
; %bb.126:
	global_load_dword v1, v[1:2], off offset:24
	v_mov_b32_e32 v2, 0
	s_waitcnt vmcnt(0)
	global_store_dwordx2 v[3:4], v[1:2], off
	v_and_b32_e32 v1, 0xffffff, v1
	v_readfirstlane_b32 m0, v1
	s_sendmsg sendmsg(MSG_INTERRUPT)
.LBB2_127:
	s_or_b64 exec, exec, s[10:11]
	s_branch .LBB2_131
.LBB2_128:                              ;   in Loop: Header=BB2_131 Depth=1
	s_or_b64 exec, exec, s[10:11]
	v_readfirstlane_b32 s10, v1
	s_cmp_eq_u32 s10, 0
	s_cbranch_scc1 .LBB2_130
; %bb.129:                              ;   in Loop: Header=BB2_131 Depth=1
	s_sleep 1
	s_cbranch_execnz .LBB2_131
	s_branch .LBB2_133
.LBB2_130:
	s_branch .LBB2_133
.LBB2_131:                              ; =>This Inner Loop Header: Depth=1
	v_mov_b32_e32 v1, 1
	s_and_saveexec_b64 s[10:11], s[4:5]
	s_cbranch_execz .LBB2_128
; %bb.132:                              ;   in Loop: Header=BB2_131 Depth=1
	global_load_dword v1, v[9:10], off offset:20 glc
	s_waitcnt vmcnt(0)
	buffer_wbinvl1_vol
	v_and_b32_e32 v1, 1, v1
	s_branch .LBB2_128
.LBB2_133:
	global_load_dwordx2 v[3:4], v[7:8], off
	s_and_saveexec_b64 s[10:11], s[4:5]
	s_cbranch_execz .LBB2_136
; %bb.134:
	v_mov_b32_e32 v9, 0
	global_load_dwordx2 v[1:2], v9, s[6:7] offset:40
	global_load_dwordx2 v[10:11], v9, s[6:7] offset:24 glc
	global_load_dwordx2 v[12:13], v9, s[6:7]
	v_mov_b32_e32 v6, s9
	s_mov_b64 s[4:5], 0
	s_waitcnt vmcnt(2)
	v_add_co_u32_e32 v7, vcc, 1, v1
	v_addc_co_u32_e32 v8, vcc, 0, v2, vcc
	v_add_co_u32_e32 v5, vcc, s8, v7
	v_addc_co_u32_e32 v6, vcc, v8, v6, vcc
	v_cmp_eq_u64_e32 vcc, 0, v[5:6]
	v_cndmask_b32_e32 v6, v6, v8, vcc
	v_cndmask_b32_e32 v5, v5, v7, vcc
	v_and_b32_e32 v2, v6, v2
	v_and_b32_e32 v1, v5, v1
	v_mul_lo_u32 v2, v2, 24
	v_mul_hi_u32 v8, v1, 24
	v_mul_lo_u32 v1, v1, 24
	s_waitcnt vmcnt(1)
	v_mov_b32_e32 v7, v10
	v_add_u32_e32 v2, v8, v2
	s_waitcnt vmcnt(0)
	v_add_co_u32_e32 v1, vcc, v12, v1
	v_addc_co_u32_e32 v2, vcc, v13, v2, vcc
	global_store_dwordx2 v[1:2], v[10:11], off
	v_mov_b32_e32 v8, v11
	s_waitcnt vmcnt(0)
	global_atomic_cmpswap_x2 v[7:8], v9, v[5:8], s[6:7] offset:24 glc
	s_waitcnt vmcnt(0)
	v_cmp_ne_u64_e32 vcc, v[7:8], v[10:11]
	s_and_b64 exec, exec, vcc
	s_cbranch_execz .LBB2_136
.LBB2_135:                              ; =>This Inner Loop Header: Depth=1
	s_sleep 1
	global_store_dwordx2 v[1:2], v[7:8], off
	s_waitcnt vmcnt(0)
	global_atomic_cmpswap_x2 v[10:11], v9, v[5:8], s[6:7] offset:24 glc
	s_waitcnt vmcnt(0)
	v_cmp_eq_u64_e32 vcc, v[10:11], v[7:8]
	v_mov_b32_e32 v7, v10
	s_or_b64 s[4:5], vcc, s[4:5]
	v_mov_b32_e32 v8, v11
	s_andn2_b64 exec, exec, s[4:5]
	s_cbranch_execnz .LBB2_135
.LBB2_136:
	s_or_b64 exec, exec, s[10:11]
.LBB2_137:
	v_readfirstlane_b32 s4, v33
	s_waitcnt vmcnt(0)
	v_mov_b32_e32 v1, 0
	v_mov_b32_e32 v2, 0
	v_cmp_eq_u32_e64 s[4:5], s4, v33
	s_and_saveexec_b64 s[8:9], s[4:5]
	s_cbranch_execz .LBB2_143
; %bb.138:
	v_mov_b32_e32 v5, 0
	global_load_dwordx2 v[8:9], v5, s[6:7] offset:24 glc
	s_waitcnt vmcnt(0)
	buffer_wbinvl1_vol
	global_load_dwordx2 v[1:2], v5, s[6:7] offset:40
	global_load_dwordx2 v[6:7], v5, s[6:7]
	s_waitcnt vmcnt(1)
	v_and_b32_e32 v1, v1, v8
	v_and_b32_e32 v2, v2, v9
	v_mul_lo_u32 v2, v2, 24
	v_mul_hi_u32 v10, v1, 24
	v_mul_lo_u32 v1, v1, 24
	v_add_u32_e32 v2, v10, v2
	s_waitcnt vmcnt(0)
	v_add_co_u32_e32 v1, vcc, v6, v1
	v_addc_co_u32_e32 v2, vcc, v7, v2, vcc
	global_load_dwordx2 v[6:7], v[1:2], off glc
	s_waitcnt vmcnt(0)
	global_atomic_cmpswap_x2 v[1:2], v5, v[6:9], s[6:7] offset:24 glc
	s_waitcnt vmcnt(0)
	buffer_wbinvl1_vol
	v_cmp_ne_u64_e32 vcc, v[1:2], v[8:9]
	s_and_saveexec_b64 s[10:11], vcc
	s_cbranch_execz .LBB2_142
; %bb.139:
	s_mov_b64 s[12:13], 0
.LBB2_140:                              ; =>This Inner Loop Header: Depth=1
	s_sleep 1
	global_load_dwordx2 v[6:7], v5, s[6:7] offset:40
	global_load_dwordx2 v[10:11], v5, s[6:7]
	v_mov_b32_e32 v9, v2
	v_mov_b32_e32 v8, v1
	s_waitcnt vmcnt(1)
	v_and_b32_e32 v1, v6, v8
	s_waitcnt vmcnt(0)
	v_mad_u64_u32 v[1:2], s[14:15], v1, 24, v[10:11]
	v_and_b32_e32 v6, v7, v9
	v_mad_u64_u32 v[6:7], s[14:15], v6, 24, v[2:3]
	v_mov_b32_e32 v2, v6
	global_load_dwordx2 v[6:7], v[1:2], off glc
	s_waitcnt vmcnt(0)
	global_atomic_cmpswap_x2 v[1:2], v5, v[6:9], s[6:7] offset:24 glc
	s_waitcnt vmcnt(0)
	buffer_wbinvl1_vol
	v_cmp_eq_u64_e32 vcc, v[1:2], v[8:9]
	s_or_b64 s[12:13], vcc, s[12:13]
	s_andn2_b64 exec, exec, s[12:13]
	s_cbranch_execnz .LBB2_140
; %bb.141:
	s_or_b64 exec, exec, s[12:13]
.LBB2_142:
	s_or_b64 exec, exec, s[10:11]
.LBB2_143:
	s_or_b64 exec, exec, s[8:9]
	v_mov_b32_e32 v6, 0
	global_load_dwordx2 v[11:12], v6, s[6:7] offset:40
	global_load_dwordx4 v[7:10], v6, s[6:7]
	v_readfirstlane_b32 s8, v1
	v_readfirstlane_b32 s9, v2
	s_mov_b64 s[10:11], exec
	s_waitcnt vmcnt(1)
	v_readfirstlane_b32 s12, v11
	v_readfirstlane_b32 s13, v12
	s_and_b64 s[12:13], s[8:9], s[12:13]
	s_mul_i32 s14, s13, 24
	s_mul_hi_u32 s15, s12, 24
	s_mul_i32 s16, s12, 24
	s_add_i32 s14, s15, s14
	v_mov_b32_e32 v1, s14
	s_waitcnt vmcnt(0)
	v_add_co_u32_e32 v11, vcc, s16, v7
	v_addc_co_u32_e32 v12, vcc, v8, v1, vcc
	s_and_saveexec_b64 s[14:15], s[4:5]
	s_cbranch_execz .LBB2_145
; %bb.144:
	v_mov_b32_e32 v14, s11
	v_mov_b32_e32 v13, s10
	;; [unrolled: 1-line block ×4, first 2 shown]
	global_store_dwordx4 v[11:12], v[13:16], off offset:8
.LBB2_145:
	s_or_b64 exec, exec, s[14:15]
	s_lshl_b64 s[10:11], s[12:13], 12
	v_mov_b32_e32 v1, s11
	v_add_co_u32_e32 v2, vcc, s10, v9
	v_addc_co_u32_e32 v1, vcc, v10, v1, vcc
	s_movk_i32 s10, 0xff1d
	v_bfe_i32 v5, v0, 0, 16
	v_and_or_b32 v3, v3, s10, 34
	s_mov_b32 s12, 0
	v_readfirstlane_b32 s10, v2
	v_readfirstlane_b32 s11, v1
	s_mov_b32 s13, s12
	s_mov_b32 s14, s12
	;; [unrolled: 1-line block ×3, first 2 shown]
	s_nop 1
	global_store_dwordx4 v32, v[3:6], s[10:11]
	v_mov_b32_e32 v0, s12
	v_mov_b32_e32 v1, s13
	;; [unrolled: 1-line block ×4, first 2 shown]
	global_store_dwordx4 v32, v[0:3], s[10:11] offset:16
	global_store_dwordx4 v32, v[0:3], s[10:11] offset:32
	global_store_dwordx4 v32, v[0:3], s[10:11] offset:48
	s_and_saveexec_b64 s[10:11], s[4:5]
	s_cbranch_execz .LBB2_153
; %bb.146:
	v_mov_b32_e32 v6, 0
	global_load_dwordx2 v[15:16], v6, s[6:7] offset:32 glc
	global_load_dwordx2 v[0:1], v6, s[6:7] offset:40
	v_mov_b32_e32 v13, s8
	v_mov_b32_e32 v14, s9
	s_waitcnt vmcnt(0)
	v_readfirstlane_b32 s12, v0
	v_readfirstlane_b32 s13, v1
	s_and_b64 s[12:13], s[12:13], s[8:9]
	s_mul_i32 s13, s13, 24
	s_mul_hi_u32 s14, s12, 24
	s_mul_i32 s12, s12, 24
	s_add_i32 s13, s14, s13
	v_mov_b32_e32 v0, s13
	v_add_co_u32_e32 v4, vcc, s12, v7
	v_addc_co_u32_e32 v5, vcc, v8, v0, vcc
	global_store_dwordx2 v[4:5], v[15:16], off
	s_waitcnt vmcnt(0)
	global_atomic_cmpswap_x2 v[2:3], v6, v[13:16], s[6:7] offset:32 glc
	s_waitcnt vmcnt(0)
	v_cmp_ne_u64_e32 vcc, v[2:3], v[15:16]
	s_and_saveexec_b64 s[12:13], vcc
	s_cbranch_execz .LBB2_149
; %bb.147:
	s_mov_b64 s[14:15], 0
.LBB2_148:                              ; =>This Inner Loop Header: Depth=1
	s_sleep 1
	global_store_dwordx2 v[4:5], v[2:3], off
	v_mov_b32_e32 v0, s8
	v_mov_b32_e32 v1, s9
	s_waitcnt vmcnt(0)
	global_atomic_cmpswap_x2 v[0:1], v6, v[0:3], s[6:7] offset:32 glc
	s_waitcnt vmcnt(0)
	v_cmp_eq_u64_e32 vcc, v[0:1], v[2:3]
	v_mov_b32_e32 v3, v1
	s_or_b64 s[14:15], vcc, s[14:15]
	v_mov_b32_e32 v2, v0
	s_andn2_b64 exec, exec, s[14:15]
	s_cbranch_execnz .LBB2_148
.LBB2_149:
	s_or_b64 exec, exec, s[12:13]
	v_mov_b32_e32 v3, 0
	global_load_dwordx2 v[0:1], v3, s[6:7] offset:16
	s_mov_b64 s[12:13], exec
	v_mbcnt_lo_u32_b32 v2, s12, 0
	v_mbcnt_hi_u32_b32 v2, s13, v2
	v_cmp_eq_u32_e32 vcc, 0, v2
	s_and_saveexec_b64 s[14:15], vcc
	s_cbranch_execz .LBB2_151
; %bb.150:
	s_bcnt1_i32_b64 s12, s[12:13]
	v_mov_b32_e32 v2, s12
	s_waitcnt vmcnt(0)
	global_atomic_add_x2 v[0:1], v[2:3], off offset:8
.LBB2_151:
	s_or_b64 exec, exec, s[14:15]
	s_waitcnt vmcnt(0)
	global_load_dwordx2 v[2:3], v[0:1], off offset:16
	s_waitcnt vmcnt(0)
	v_cmp_eq_u64_e32 vcc, 0, v[2:3]
	s_cbranch_vccnz .LBB2_153
; %bb.152:
	global_load_dword v0, v[0:1], off offset:24
	v_mov_b32_e32 v1, 0
	s_waitcnt vmcnt(0)
	global_store_dwordx2 v[2:3], v[0:1], off
	v_and_b32_e32 v0, 0xffffff, v0
	v_readfirstlane_b32 m0, v0
	s_sendmsg sendmsg(MSG_INTERRUPT)
.LBB2_153:
	s_or_b64 exec, exec, s[10:11]
	s_branch .LBB2_157
.LBB2_154:                              ;   in Loop: Header=BB2_157 Depth=1
	s_or_b64 exec, exec, s[10:11]
	v_readfirstlane_b32 s10, v0
	s_cmp_eq_u32 s10, 0
	s_cbranch_scc1 .LBB2_156
; %bb.155:                              ;   in Loop: Header=BB2_157 Depth=1
	s_sleep 1
	s_cbranch_execnz .LBB2_157
	s_branch .LBB2_159
.LBB2_156:
	s_branch .LBB2_159
.LBB2_157:                              ; =>This Inner Loop Header: Depth=1
	v_mov_b32_e32 v0, 1
	s_and_saveexec_b64 s[10:11], s[4:5]
	s_cbranch_execz .LBB2_154
; %bb.158:                              ;   in Loop: Header=BB2_157 Depth=1
	global_load_dword v0, v[11:12], off offset:20 glc
	s_waitcnt vmcnt(0)
	buffer_wbinvl1_vol
	v_and_b32_e32 v0, 1, v0
	s_branch .LBB2_154
.LBB2_159:
	s_and_saveexec_b64 s[10:11], s[4:5]
	s_cbranch_execz .LBB2_162
; %bb.160:
	v_mov_b32_e32 v6, 0
	global_load_dwordx2 v[2:3], v6, s[6:7] offset:40
	global_load_dwordx2 v[7:8], v6, s[6:7] offset:24 glc
	global_load_dwordx2 v[4:5], v6, s[6:7]
	v_mov_b32_e32 v1, s9
	s_mov_b64 s[4:5], 0
	s_waitcnt vmcnt(2)
	v_add_co_u32_e32 v9, vcc, 1, v2
	v_addc_co_u32_e32 v10, vcc, 0, v3, vcc
	v_add_co_u32_e32 v0, vcc, s8, v9
	v_addc_co_u32_e32 v1, vcc, v10, v1, vcc
	v_cmp_eq_u64_e32 vcc, 0, v[0:1]
	v_cndmask_b32_e32 v1, v1, v10, vcc
	v_cndmask_b32_e32 v0, v0, v9, vcc
	v_and_b32_e32 v3, v1, v3
	v_and_b32_e32 v2, v0, v2
	v_mul_lo_u32 v3, v3, 24
	v_mul_hi_u32 v9, v2, 24
	v_mul_lo_u32 v10, v2, 24
	s_waitcnt vmcnt(1)
	v_mov_b32_e32 v2, v7
	v_add_u32_e32 v3, v9, v3
	s_waitcnt vmcnt(0)
	v_add_co_u32_e32 v4, vcc, v4, v10
	v_addc_co_u32_e32 v5, vcc, v5, v3, vcc
	global_store_dwordx2 v[4:5], v[7:8], off
	v_mov_b32_e32 v3, v8
	s_waitcnt vmcnt(0)
	global_atomic_cmpswap_x2 v[2:3], v6, v[0:3], s[6:7] offset:24 glc
	s_waitcnt vmcnt(0)
	v_cmp_ne_u64_e32 vcc, v[2:3], v[7:8]
	s_and_b64 exec, exec, vcc
	s_cbranch_execz .LBB2_162
.LBB2_161:                              ; =>This Inner Loop Header: Depth=1
	s_sleep 1
	global_store_dwordx2 v[4:5], v[2:3], off
	s_waitcnt vmcnt(0)
	global_atomic_cmpswap_x2 v[7:8], v6, v[0:3], s[6:7] offset:24 glc
	s_waitcnt vmcnt(0)
	v_cmp_eq_u64_e32 vcc, v[7:8], v[2:3]
	v_mov_b32_e32 v2, v7
	s_or_b64 s[4:5], vcc, s[4:5]
	v_mov_b32_e32 v3, v8
	s_andn2_b64 exec, exec, s[4:5]
	s_cbranch_execnz .LBB2_161
.LBB2_162:
	s_or_b64 exec, exec, s[10:11]
	s_waitcnt vmcnt(0) lgkmcnt(0)
	s_setpc_b64 s[30:31]
.Lfunc_end2:
	.size	_ZNK8migraphx13basic_printerIZNS_4coutEvEUlT_E_ElsEc, .Lfunc_end2-_ZNK8migraphx13basic_printerIZNS_4coutEvEUlT_E_ElsEc
                                        ; -- End function
	.section	.AMDGPU.csdata,"",@progbits
; Function info:
; codeLenInByte = 5780
; NumSgprs: 36
; NumVgprs: 36
; ScratchSize: 0
; MemoryBound: 0
	.text
	.p2align	2                               ; -- Begin function _ZN8migraphx4test4failEv
	.type	_ZN8migraphx4test4failEv,@function
_ZN8migraphx4test4failEv:               ; @_ZN8migraphx4test4failEv
; %bb.0:
	s_waitcnt vmcnt(0) expcnt(0) lgkmcnt(0)
	v_mov_b32_e32 v0, 0
	global_load_dword v1, v0, s[8:9] offset:18
	global_load_ushort v2, v0, s[8:9] offset:22
	s_load_dwordx2 s[6:7], s[8:9], 0x0
	s_load_dword s10, s[8:9], 0x8
	s_waitcnt vmcnt(1)
	v_cmp_ne_u16_e32 vcc, 0, v1
	s_cmp_lg_u64 vcc, 0
	v_cmp_ne_u16_sdwa s[16:17], v1, v0 src0_sel:WORD_1 src1_sel:DWORD
	s_waitcnt lgkmcnt(0)
	s_addc_u32 s11, s6, 0
	s_cmp_lg_u64 s[16:17], 0
	s_waitcnt vmcnt(0)
	v_cmp_ne_u16_e64 s[4:5], 0, v2
	s_addc_u32 s15, s7, 0
	s_cmp_lg_u64 s[4:5], 0
	s_mul_i32 s11, s15, s11
	s_addc_u32 s4, s10, 0
	s_mul_i32 s11, s11, s4
	s_cmp_lg_u32 s11, 1
	s_cbranch_scc1 .LBB3_3
; %bb.1:
	s_cmp_lt_u32 s14, s10
	s_cselect_b32 s4, 16, 22
	s_add_u32 s4, s8, s4
	s_addc_u32 s5, s9, 0
	s_cmp_lt_u32 s13, s7
	s_cselect_b32 s7, 14, 20
	s_add_u32 s10, s8, s7
	s_addc_u32 s11, s9, 0
	s_cmp_lt_u32 s12, s6
	global_load_ushort v1, v0, s[4:5]
	global_load_ushort v2, v0, s[10:11]
	s_cselect_b32 s4, 12, 18
	s_add_u32 s4, s8, s4
	s_addc_u32 s5, s9, 0
	global_load_ushort v0, v0, s[4:5]
	s_waitcnt vmcnt(1)
	v_mul_lo_u32 v1, v2, v1
	s_waitcnt vmcnt(0)
	v_mul_lo_u32 v0, v1, v0
	v_cmp_lt_u32_e32 vcc, 64, v0
	s_cbranch_vccnz .LBB3_3
; %bb.2:
	s_endpgm
.LBB3_3:
	s_trap 2
.Lfunc_end3:
	.size	_ZN8migraphx4test4failEv, .Lfunc_end3-_ZN8migraphx4test4failEv
                                        ; -- End function
	.section	.AMDGPU.csdata,"",@progbits
; Function info:
; codeLenInByte = 224
; NumSgprs: 22
; NumVgprs: 3
; ScratchSize: 0
; MemoryBound: 0
	.text
	.p2align	2                               ; -- Begin function _ZN8migraphx4testlsIKNS_13basic_printerIZNS_4coutEvEUlT_E_EEEERS3_S7_RKNS0_10expressionINS0_14lhs_expressionIRNS_5arrayIiLj6EEENS0_3nopEEESC_NS0_5equalEEE
	.type	_ZN8migraphx4testlsIKNS_13basic_printerIZNS_4coutEvEUlT_E_EEEERS3_S7_RKNS0_10expressionINS0_14lhs_expressionIRNS_5arrayIiLj6EEENS0_3nopEEESC_NS0_5equalEEE,@function
_ZN8migraphx4testlsIKNS_13basic_printerIZNS_4coutEvEUlT_E_EEEERS3_S7_RKNS0_10expressionINS0_14lhs_expressionIRNS_5arrayIiLj6EEENS0_3nopEEESC_NS0_5equalEEE: ; @_ZN8migraphx4testlsIKNS_13basic_printerIZNS_4coutEvEUlT_E_EEEERS3_S7_RKNS0_10expressionINS0_14lhs_expressionIRNS_5arrayIiLj6EEENS0_3nopEEESC_NS0_5equalEEE
; %bb.0:
	s_waitcnt vmcnt(0) expcnt(0) lgkmcnt(0)
	s_mov_b32 s4, s33
	s_mov_b32 s33, s32
	s_or_saveexec_b64 s[6:7], -1
	buffer_store_dword v41, off, s[0:3], s33 ; 4-byte Folded Spill
	s_mov_b64 exec, s[6:7]
	v_writelane_b32 v41, s4, 2
	v_writelane_b32 v41, s30, 0
	s_addk_i32 s32, 0x400
	v_writelane_b32 v41, s31, 1
	v_mov_b32_e32 v37, v1
	v_mov_b32_e32 v36, v0
	flat_load_dwordx2 v[38:39], v[36:37]
	s_getpc_b64 s[4:5]
	s_add_u32 s4, s4, .str.7@rel32@lo+4
	s_addc_u32 s5, s5, .str.7@rel32@hi+12
	s_mov_b32 s35, 0
	s_cmp_lg_u64 s[4:5], 0
	v_mbcnt_lo_u32_b32 v0, -1, 0
	s_mov_b64 s[24:25], s[8:9]
	s_cselect_b64 s[26:27], -1, 0
	v_mbcnt_hi_u32_b32 v55, -1, v0
	v_mov_b32_e32 v50, 0
	s_mov_b32 s36, s35
	s_mov_b32 s37, s35
	;; [unrolled: 1-line block ×4, first 2 shown]
	s_movk_i32 s23, 0xff1f
	s_movk_i32 s40, 0xff1d
	v_mov_b32_e32 v53, 2
	v_mov_b32_e32 v54, 1
	;; [unrolled: 1-line block ×3, first 2 shown]
	s_mov_b32 s34, s35
	s_branch .LBB4_2
.LBB4_1:                                ;   in Loop: Header=BB4_2 Depth=1
	s_or_b64 exec, exec, s[8:9]
	s_add_i32 s34, s34, 1
	s_cmp_lg_u32 s34, 6
	s_cbranch_scc0 .LBB4_169
.LBB4_2:                                ; =>This Loop Header: Depth=1
                                        ;     Child Loop BB4_7 Depth 2
                                        ;     Child Loop BB4_15 Depth 2
	;; [unrolled: 1-line block ×9, first 2 shown]
                                        ;       Child Loop BB4_36 Depth 3
                                        ;       Child Loop BB4_43 Depth 3
	;; [unrolled: 1-line block ×11, first 2 shown]
                                        ;     Child Loop BB4_146 Depth 2
                                        ;     Child Loop BB4_154 Depth 2
	;; [unrolled: 1-line block ×4, first 2 shown]
	s_cmp_eq_u32 s34, 0
	s_cbranch_scc1 .LBB4_4
; %bb.3:                                ;   in Loop: Header=BB4_2 Depth=1
	s_getpc_b64 s[4:5]
	s_add_u32 s4, s4, .str.11@rel32@lo+4
	s_addc_u32 s5, s5, .str.11@rel32@hi+12
	s_mov_b64 s[8:9], s[24:25]
	v_mov_b32_e32 v0, s4
	v_mov_b32_e32 v1, s5
	s_getpc_b64 s[6:7]
	s_add_u32 s6, s6, _ZNK8migraphx13basic_printerIZNS_4coutEvEUlT_E_ElsEPKc@rel32@lo+4
	s_addc_u32 s7, s7, _ZNK8migraphx13basic_printerIZNS_4coutEvEUlT_E_ElsEPKc@rel32@hi+12
	s_swappc_b64 s[30:31], s[6:7]
.LBB4_4:                                ;   in Loop: Header=BB4_2 Depth=1
	s_lshl_b64 s[4:5], s[34:35], 2
	v_mov_b32_e32 v1, s5
	s_waitcnt vmcnt(0) lgkmcnt(0)
	v_add_co_u32_e32 v0, vcc, s4, v38
	v_addc_co_u32_e32 v1, vcc, v39, v1, vcc
	flat_load_dword v24, v[0:1]
	s_load_dwordx2 s[28:29], s[24:25], 0x50
	v_readfirstlane_b32 s4, v55
	v_mov_b32_e32 v4, 0
	v_mov_b32_e32 v5, 0
	v_cmp_eq_u32_e64 s[4:5], s4, v55
	s_and_saveexec_b64 s[6:7], s[4:5]
	s_cbranch_execz .LBB4_10
; %bb.5:                                ;   in Loop: Header=BB4_2 Depth=1
	s_waitcnt lgkmcnt(0)
	global_load_dwordx2 v[2:3], v50, s[28:29] offset:24 glc
	s_waitcnt vmcnt(0)
	buffer_wbinvl1_vol
	global_load_dwordx2 v[0:1], v50, s[28:29] offset:40
	global_load_dwordx2 v[4:5], v50, s[28:29]
	s_waitcnt vmcnt(1)
	v_and_b32_e32 v0, v0, v2
	v_and_b32_e32 v1, v1, v3
	v_mul_lo_u32 v1, v1, 24
	v_mul_hi_u32 v6, v0, 24
	v_mul_lo_u32 v0, v0, 24
	v_add_u32_e32 v1, v6, v1
	s_waitcnt vmcnt(0)
	v_add_co_u32_e32 v0, vcc, v4, v0
	v_addc_co_u32_e32 v1, vcc, v5, v1, vcc
	global_load_dwordx2 v[0:1], v[0:1], off glc
	s_waitcnt vmcnt(0)
	global_atomic_cmpswap_x2 v[4:5], v50, v[0:3], s[28:29] offset:24 glc
	s_waitcnt vmcnt(0)
	buffer_wbinvl1_vol
	v_cmp_ne_u64_e32 vcc, v[4:5], v[2:3]
	s_and_saveexec_b64 s[8:9], vcc
	s_cbranch_execz .LBB4_9
; %bb.6:                                ;   in Loop: Header=BB4_2 Depth=1
	s_mov_b64 s[10:11], 0
.LBB4_7:                                ;   Parent Loop BB4_2 Depth=1
                                        ; =>  This Inner Loop Header: Depth=2
	s_sleep 1
	global_load_dwordx2 v[0:1], v50, s[28:29] offset:40
	global_load_dwordx2 v[6:7], v50, s[28:29]
	v_mov_b32_e32 v2, v4
	v_mov_b32_e32 v3, v5
	s_waitcnt vmcnt(1)
	v_and_b32_e32 v0, v0, v2
	s_waitcnt vmcnt(0)
	v_mad_u64_u32 v[4:5], s[12:13], v0, 24, v[6:7]
	v_and_b32_e32 v1, v1, v3
	v_mov_b32_e32 v0, v5
	v_mad_u64_u32 v[0:1], s[12:13], v1, 24, v[0:1]
	v_mov_b32_e32 v5, v0
	global_load_dwordx2 v[0:1], v[4:5], off glc
	s_waitcnt vmcnt(0)
	global_atomic_cmpswap_x2 v[4:5], v50, v[0:3], s[28:29] offset:24 glc
	s_waitcnt vmcnt(0)
	buffer_wbinvl1_vol
	v_cmp_eq_u64_e32 vcc, v[4:5], v[2:3]
	s_or_b64 s[10:11], vcc, s[10:11]
	s_andn2_b64 exec, exec, s[10:11]
	s_cbranch_execnz .LBB4_7
; %bb.8:                                ;   in Loop: Header=BB4_2 Depth=1
	s_or_b64 exec, exec, s[10:11]
.LBB4_9:                                ;   in Loop: Header=BB4_2 Depth=1
	s_or_b64 exec, exec, s[8:9]
.LBB4_10:                               ;   in Loop: Header=BB4_2 Depth=1
	s_or_b64 exec, exec, s[6:7]
	s_waitcnt lgkmcnt(0)
	global_load_dwordx2 v[6:7], v50, s[28:29] offset:40
	global_load_dwordx4 v[0:3], v50, s[28:29]
	v_readfirstlane_b32 s6, v4
	v_readfirstlane_b32 s7, v5
	s_mov_b64 s[8:9], exec
	s_waitcnt vmcnt(0)
	v_readfirstlane_b32 s10, v6
	v_readfirstlane_b32 s11, v7
	s_and_b64 s[10:11], s[6:7], s[10:11]
	s_mul_i32 s12, s11, 24
	s_mul_hi_u32 s13, s10, 24
	s_mul_i32 s14, s10, 24
	s_add_i32 s12, s13, s12
	v_mov_b32_e32 v5, s12
	v_add_co_u32_e32 v4, vcc, s14, v0
	v_addc_co_u32_e32 v5, vcc, v1, v5, vcc
	s_and_saveexec_b64 s[12:13], s[4:5]
	s_cbranch_execz .LBB4_12
; %bb.11:                               ;   in Loop: Header=BB4_2 Depth=1
	v_mov_b32_e32 v52, s9
	v_mov_b32_e32 v51, s8
	global_store_dwordx4 v[4:5], v[51:54], off offset:8
.LBB4_12:                               ;   in Loop: Header=BB4_2 Depth=1
	s_or_b64 exec, exec, s[12:13]
	s_lshl_b64 s[8:9], s[10:11], 12
	v_mov_b32_e32 v6, s9
	v_add_co_u32_e32 v8, vcc, s8, v2
	v_addc_co_u32_e32 v9, vcc, v3, v6, vcc
	v_mov_b32_e32 v10, s36
	v_lshlrev_b32_e32 v40, 6, v55
	v_mov_b32_e32 v49, v50
	v_mov_b32_e32 v51, v50
	v_readfirstlane_b32 s8, v8
	v_readfirstlane_b32 s9, v9
	v_mov_b32_e32 v11, s37
	v_mov_b32_e32 v12, s38
	;; [unrolled: 1-line block ×3, first 2 shown]
	s_nop 1
	global_store_dwordx4 v40, v[48:51], s[8:9]
	global_store_dwordx4 v40, v[10:13], s[8:9] offset:16
	global_store_dwordx4 v40, v[10:13], s[8:9] offset:32
	;; [unrolled: 1-line block ×3, first 2 shown]
	s_and_saveexec_b64 s[8:9], s[4:5]
	s_cbranch_execz .LBB4_20
; %bb.13:                               ;   in Loop: Header=BB4_2 Depth=1
	global_load_dwordx2 v[12:13], v50, s[28:29] offset:32 glc
	global_load_dwordx2 v[2:3], v50, s[28:29] offset:40
	v_mov_b32_e32 v10, s6
	v_mov_b32_e32 v11, s7
	s_waitcnt vmcnt(0)
	v_and_b32_e32 v2, s6, v2
	v_and_b32_e32 v3, s7, v3
	v_mul_lo_u32 v3, v3, 24
	v_mul_hi_u32 v6, v2, 24
	v_mul_lo_u32 v2, v2, 24
	v_add_u32_e32 v3, v6, v3
	v_add_co_u32_e32 v6, vcc, v0, v2
	v_addc_co_u32_e32 v7, vcc, v1, v3, vcc
	global_store_dwordx2 v[6:7], v[12:13], off
	s_waitcnt vmcnt(0)
	global_atomic_cmpswap_x2 v[2:3], v50, v[10:13], s[28:29] offset:32 glc
	s_waitcnt vmcnt(0)
	v_cmp_ne_u64_e32 vcc, v[2:3], v[12:13]
	s_and_saveexec_b64 s[10:11], vcc
	s_cbranch_execz .LBB4_16
; %bb.14:                               ;   in Loop: Header=BB4_2 Depth=1
	s_mov_b64 s[12:13], 0
.LBB4_15:                               ;   Parent Loop BB4_2 Depth=1
                                        ; =>  This Inner Loop Header: Depth=2
	s_sleep 1
	global_store_dwordx2 v[6:7], v[2:3], off
	v_mov_b32_e32 v0, s6
	v_mov_b32_e32 v1, s7
	s_waitcnt vmcnt(0)
	global_atomic_cmpswap_x2 v[0:1], v50, v[0:3], s[28:29] offset:32 glc
	s_waitcnt vmcnt(0)
	v_cmp_eq_u64_e32 vcc, v[0:1], v[2:3]
	v_mov_b32_e32 v3, v1
	s_or_b64 s[12:13], vcc, s[12:13]
	v_mov_b32_e32 v2, v0
	s_andn2_b64 exec, exec, s[12:13]
	s_cbranch_execnz .LBB4_15
.LBB4_16:                               ;   in Loop: Header=BB4_2 Depth=1
	s_or_b64 exec, exec, s[10:11]
	global_load_dwordx2 v[0:1], v50, s[28:29] offset:16
	s_mov_b64 s[12:13], exec
	v_mbcnt_lo_u32_b32 v2, s12, 0
	v_mbcnt_hi_u32_b32 v2, s13, v2
	v_cmp_eq_u32_e32 vcc, 0, v2
	s_and_saveexec_b64 s[10:11], vcc
	s_cbranch_execz .LBB4_18
; %bb.17:                               ;   in Loop: Header=BB4_2 Depth=1
	s_bcnt1_i32_b64 s12, s[12:13]
	v_mov_b32_e32 v49, s12
	s_waitcnt vmcnt(0)
	global_atomic_add_x2 v[0:1], v[49:50], off offset:8
.LBB4_18:                               ;   in Loop: Header=BB4_2 Depth=1
	s_or_b64 exec, exec, s[10:11]
	s_waitcnt vmcnt(0)
	global_load_dwordx2 v[2:3], v[0:1], off offset:16
	s_waitcnt vmcnt(0)
	v_cmp_eq_u64_e32 vcc, 0, v[2:3]
	s_cbranch_vccnz .LBB4_20
; %bb.19:                               ;   in Loop: Header=BB4_2 Depth=1
	global_load_dword v49, v[0:1], off offset:24
	s_waitcnt vmcnt(0)
	v_and_b32_e32 v0, 0xffffff, v49
	v_readfirstlane_b32 m0, v0
	global_store_dwordx2 v[2:3], v[49:50], off
	s_sendmsg sendmsg(MSG_INTERRUPT)
.LBB4_20:                               ;   in Loop: Header=BB4_2 Depth=1
	s_or_b64 exec, exec, s[8:9]
	v_add_co_u32_e32 v0, vcc, v8, v40
	v_addc_co_u32_e32 v1, vcc, 0, v9, vcc
	s_branch .LBB4_24
.LBB4_21:                               ;   in Loop: Header=BB4_24 Depth=2
	s_or_b64 exec, exec, s[8:9]
	v_readfirstlane_b32 s8, v2
	s_cmp_eq_u32 s8, 0
	s_cbranch_scc1 .LBB4_23
; %bb.22:                               ;   in Loop: Header=BB4_24 Depth=2
	s_sleep 1
	s_cbranch_execnz .LBB4_24
	s_branch .LBB4_26
.LBB4_23:                               ;   in Loop: Header=BB4_2 Depth=1
	s_branch .LBB4_26
.LBB4_24:                               ;   Parent Loop BB4_2 Depth=1
                                        ; =>  This Inner Loop Header: Depth=2
	v_mov_b32_e32 v2, 1
	s_and_saveexec_b64 s[8:9], s[4:5]
	s_cbranch_execz .LBB4_21
; %bb.25:                               ;   in Loop: Header=BB4_24 Depth=2
	global_load_dword v2, v[4:5], off offset:20 glc
	s_waitcnt vmcnt(0)
	buffer_wbinvl1_vol
	v_and_b32_e32 v2, 1, v2
	s_branch .LBB4_21
.LBB4_26:                               ;   in Loop: Header=BB4_2 Depth=1
	global_load_dwordx2 v[0:1], v[0:1], off
	s_and_saveexec_b64 s[8:9], s[4:5]
	s_cbranch_execz .LBB4_30
; %bb.27:                               ;   in Loop: Header=BB4_2 Depth=1
	global_load_dwordx2 v[4:5], v50, s[28:29] offset:40
	global_load_dwordx2 v[8:9], v50, s[28:29] offset:24 glc
	global_load_dwordx2 v[6:7], v50, s[28:29]
	v_mov_b32_e32 v3, s7
	s_waitcnt vmcnt(2)
	v_add_co_u32_e32 v10, vcc, 1, v4
	v_addc_co_u32_e32 v11, vcc, 0, v5, vcc
	v_add_co_u32_e32 v2, vcc, s6, v10
	v_addc_co_u32_e32 v3, vcc, v11, v3, vcc
	v_cmp_eq_u64_e32 vcc, 0, v[2:3]
	v_cndmask_b32_e32 v3, v3, v11, vcc
	v_cndmask_b32_e32 v2, v2, v10, vcc
	v_and_b32_e32 v5, v3, v5
	v_and_b32_e32 v4, v2, v4
	v_mul_lo_u32 v5, v5, 24
	v_mul_hi_u32 v10, v4, 24
	v_mul_lo_u32 v11, v4, 24
	s_waitcnt vmcnt(1)
	v_mov_b32_e32 v4, v8
	v_add_u32_e32 v5, v10, v5
	s_waitcnt vmcnt(0)
	v_add_co_u32_e32 v6, vcc, v6, v11
	v_addc_co_u32_e32 v7, vcc, v7, v5, vcc
	global_store_dwordx2 v[6:7], v[8:9], off
	v_mov_b32_e32 v5, v9
	s_waitcnt vmcnt(0)
	global_atomic_cmpswap_x2 v[4:5], v50, v[2:5], s[28:29] offset:24 glc
	s_waitcnt vmcnt(0)
	v_cmp_ne_u64_e32 vcc, v[4:5], v[8:9]
	s_and_b64 exec, exec, vcc
	s_cbranch_execz .LBB4_30
; %bb.28:                               ;   in Loop: Header=BB4_2 Depth=1
	s_mov_b64 s[4:5], 0
.LBB4_29:                               ;   Parent Loop BB4_2 Depth=1
                                        ; =>  This Inner Loop Header: Depth=2
	s_sleep 1
	global_store_dwordx2 v[6:7], v[4:5], off
	s_waitcnt vmcnt(0)
	global_atomic_cmpswap_x2 v[8:9], v50, v[2:5], s[28:29] offset:24 glc
	s_waitcnt vmcnt(0)
	v_cmp_eq_u64_e32 vcc, v[8:9], v[4:5]
	v_mov_b32_e32 v4, v8
	s_or_b64 s[4:5], vcc, s[4:5]
	v_mov_b32_e32 v5, v9
	s_andn2_b64 exec, exec, s[4:5]
	s_cbranch_execnz .LBB4_29
.LBB4_30:                               ;   in Loop: Header=BB4_2 Depth=1
	s_or_b64 exec, exec, s[8:9]
	s_and_b64 vcc, exec, s[26:27]
	s_cbranch_vccz .LBB4_115
; %bb.31:                               ;   in Loop: Header=BB4_2 Depth=1
	s_waitcnt vmcnt(0)
	v_and_b32_e32 v25, 2, v0
	v_and_b32_e32 v2, -3, v0
	v_mov_b32_e32 v3, v1
	s_mov_b64 s[8:9], 4
	s_getpc_b64 s[6:7]
	s_add_u32 s6, s6, .str.7@rel32@lo+4
	s_addc_u32 s7, s7, .str.7@rel32@hi+12
	s_branch .LBB4_33
.LBB4_32:                               ;   in Loop: Header=BB4_33 Depth=2
	s_or_b64 exec, exec, s[14:15]
	s_sub_u32 s8, s8, s10
	s_subb_u32 s9, s9, s11
	s_add_u32 s6, s6, s10
	s_addc_u32 s7, s7, s11
	s_cmp_lg_u64 s[8:9], 0
	s_cbranch_scc0 .LBB4_114
.LBB4_33:                               ;   Parent Loop BB4_2 Depth=1
                                        ; =>  This Loop Header: Depth=2
                                        ;       Child Loop BB4_36 Depth 3
                                        ;       Child Loop BB4_43 Depth 3
	;; [unrolled: 1-line block ×11, first 2 shown]
	v_cmp_lt_u64_e64 s[4:5], s[8:9], 56
	v_cmp_gt_u64_e64 s[12:13], s[8:9], 7
	s_and_b64 s[4:5], s[4:5], exec
	s_cselect_b32 s11, s9, 0
	s_cselect_b32 s10, s8, 56
	s_and_b64 vcc, exec, s[12:13]
	s_cbranch_vccnz .LBB4_38
; %bb.34:                               ;   in Loop: Header=BB4_33 Depth=2
	s_waitcnt vmcnt(0)
	v_mov_b32_e32 v4, 0
	s_cmp_eq_u64 s[8:9], 0
	v_mov_b32_e32 v5, 0
	s_mov_b64 s[4:5], 0
	s_cbranch_scc1 .LBB4_37
; %bb.35:                               ;   in Loop: Header=BB4_33 Depth=2
	v_mov_b32_e32 v4, 0
	s_lshl_b64 s[12:13], s[10:11], 3
	s_mov_b64 s[14:15], 0
	v_mov_b32_e32 v5, 0
	s_mov_b64 s[16:17], s[6:7]
.LBB4_36:                               ;   Parent Loop BB4_2 Depth=1
                                        ;     Parent Loop BB4_33 Depth=2
                                        ; =>    This Inner Loop Header: Depth=3
	global_load_ubyte v6, v50, s[16:17]
	s_waitcnt vmcnt(0)
	v_and_b32_e32 v49, 0xffff, v6
	v_lshlrev_b64 v[6:7], s14, v[49:50]
	s_add_u32 s14, s14, 8
	s_addc_u32 s15, s15, 0
	s_add_u32 s16, s16, 1
	s_addc_u32 s17, s17, 0
	v_or_b32_e32 v4, v6, v4
	s_cmp_lg_u32 s12, s14
	v_or_b32_e32 v5, v7, v5
	s_cbranch_scc1 .LBB4_36
.LBB4_37:                               ;   in Loop: Header=BB4_33 Depth=2
	s_mov_b32 s16, 0
	s_andn2_b64 vcc, exec, s[4:5]
	s_mov_b64 s[4:5], s[6:7]
	s_cbranch_vccz .LBB4_39
	s_branch .LBB4_40
.LBB4_38:                               ;   in Loop: Header=BB4_33 Depth=2
                                        ; implicit-def: $vgpr4_vgpr5
                                        ; implicit-def: $sgpr16
	s_mov_b64 s[4:5], s[6:7]
.LBB4_39:                               ;   in Loop: Header=BB4_33 Depth=2
	global_load_dwordx2 v[4:5], v50, s[6:7]
	s_add_i32 s16, s10, -8
	s_add_u32 s4, s6, 8
	s_addc_u32 s5, s7, 0
.LBB4_40:                               ;   in Loop: Header=BB4_33 Depth=2
	s_cmp_gt_u32 s16, 7
	s_cbranch_scc1 .LBB4_44
; %bb.41:                               ;   in Loop: Header=BB4_33 Depth=2
	s_cmp_eq_u32 s16, 0
	s_cbranch_scc1 .LBB4_45
; %bb.42:                               ;   in Loop: Header=BB4_33 Depth=2
	v_mov_b32_e32 v6, 0
	s_mov_b64 s[12:13], 0
	v_mov_b32_e32 v7, 0
	s_mov_b64 s[14:15], 0
.LBB4_43:                               ;   Parent Loop BB4_2 Depth=1
                                        ;     Parent Loop BB4_33 Depth=2
                                        ; =>    This Inner Loop Header: Depth=3
	s_add_u32 s18, s4, s14
	s_addc_u32 s19, s5, s15
	global_load_ubyte v8, v50, s[18:19]
	s_add_u32 s14, s14, 1
	s_addc_u32 s15, s15, 0
	s_waitcnt vmcnt(0)
	v_and_b32_e32 v49, 0xffff, v8
	v_lshlrev_b64 v[8:9], s12, v[49:50]
	s_add_u32 s12, s12, 8
	s_addc_u32 s13, s13, 0
	v_or_b32_e32 v6, v8, v6
	s_cmp_lg_u32 s16, s14
	v_or_b32_e32 v7, v9, v7
	s_cbranch_scc1 .LBB4_43
	s_branch .LBB4_46
.LBB4_44:                               ;   in Loop: Header=BB4_33 Depth=2
                                        ; implicit-def: $vgpr6_vgpr7
                                        ; implicit-def: $sgpr17
	s_branch .LBB4_47
.LBB4_45:                               ;   in Loop: Header=BB4_33 Depth=2
	v_mov_b32_e32 v6, 0
	v_mov_b32_e32 v7, 0
.LBB4_46:                               ;   in Loop: Header=BB4_33 Depth=2
	s_mov_b32 s17, 0
	s_cbranch_execnz .LBB4_48
.LBB4_47:                               ;   in Loop: Header=BB4_33 Depth=2
	global_load_dwordx2 v[6:7], v50, s[4:5]
	s_add_i32 s17, s16, -8
	s_add_u32 s4, s4, 8
	s_addc_u32 s5, s5, 0
.LBB4_48:                               ;   in Loop: Header=BB4_33 Depth=2
	s_cmp_gt_u32 s17, 7
	s_cbranch_scc1 .LBB4_52
; %bb.49:                               ;   in Loop: Header=BB4_33 Depth=2
	s_cmp_eq_u32 s17, 0
	s_cbranch_scc1 .LBB4_53
; %bb.50:                               ;   in Loop: Header=BB4_33 Depth=2
	v_mov_b32_e32 v8, 0
	s_mov_b64 s[12:13], 0
	v_mov_b32_e32 v9, 0
	s_mov_b64 s[14:15], 0
.LBB4_51:                               ;   Parent Loop BB4_2 Depth=1
                                        ;     Parent Loop BB4_33 Depth=2
                                        ; =>    This Inner Loop Header: Depth=3
	s_add_u32 s18, s4, s14
	s_addc_u32 s19, s5, s15
	global_load_ubyte v10, v50, s[18:19]
	s_add_u32 s14, s14, 1
	s_addc_u32 s15, s15, 0
	s_waitcnt vmcnt(0)
	v_and_b32_e32 v49, 0xffff, v10
	v_lshlrev_b64 v[10:11], s12, v[49:50]
	s_add_u32 s12, s12, 8
	s_addc_u32 s13, s13, 0
	v_or_b32_e32 v8, v10, v8
	s_cmp_lg_u32 s17, s14
	v_or_b32_e32 v9, v11, v9
	s_cbranch_scc1 .LBB4_51
	s_branch .LBB4_54
.LBB4_52:                               ;   in Loop: Header=BB4_33 Depth=2
                                        ; implicit-def: $sgpr16
	s_branch .LBB4_55
.LBB4_53:                               ;   in Loop: Header=BB4_33 Depth=2
	v_mov_b32_e32 v8, 0
	v_mov_b32_e32 v9, 0
.LBB4_54:                               ;   in Loop: Header=BB4_33 Depth=2
	s_mov_b32 s16, 0
	s_cbranch_execnz .LBB4_56
.LBB4_55:                               ;   in Loop: Header=BB4_33 Depth=2
	global_load_dwordx2 v[8:9], v50, s[4:5]
	s_add_i32 s16, s17, -8
	s_add_u32 s4, s4, 8
	s_addc_u32 s5, s5, 0
.LBB4_56:                               ;   in Loop: Header=BB4_33 Depth=2
	s_cmp_gt_u32 s16, 7
	s_cbranch_scc1 .LBB4_60
; %bb.57:                               ;   in Loop: Header=BB4_33 Depth=2
	s_cmp_eq_u32 s16, 0
	s_cbranch_scc1 .LBB4_61
; %bb.58:                               ;   in Loop: Header=BB4_33 Depth=2
	v_mov_b32_e32 v10, 0
	s_mov_b64 s[12:13], 0
	v_mov_b32_e32 v11, 0
	s_mov_b64 s[14:15], 0
.LBB4_59:                               ;   Parent Loop BB4_2 Depth=1
                                        ;     Parent Loop BB4_33 Depth=2
                                        ; =>    This Inner Loop Header: Depth=3
	s_add_u32 s18, s4, s14
	s_addc_u32 s19, s5, s15
	global_load_ubyte v12, v50, s[18:19]
	s_add_u32 s14, s14, 1
	s_addc_u32 s15, s15, 0
	s_waitcnt vmcnt(0)
	v_and_b32_e32 v49, 0xffff, v12
	v_lshlrev_b64 v[12:13], s12, v[49:50]
	s_add_u32 s12, s12, 8
	s_addc_u32 s13, s13, 0
	v_or_b32_e32 v10, v12, v10
	s_cmp_lg_u32 s16, s14
	v_or_b32_e32 v11, v13, v11
	s_cbranch_scc1 .LBB4_59
	s_branch .LBB4_62
.LBB4_60:                               ;   in Loop: Header=BB4_33 Depth=2
                                        ; implicit-def: $vgpr10_vgpr11
                                        ; implicit-def: $sgpr17
	s_branch .LBB4_63
.LBB4_61:                               ;   in Loop: Header=BB4_33 Depth=2
	v_mov_b32_e32 v10, 0
	v_mov_b32_e32 v11, 0
.LBB4_62:                               ;   in Loop: Header=BB4_33 Depth=2
	s_mov_b32 s17, 0
	s_cbranch_execnz .LBB4_64
.LBB4_63:                               ;   in Loop: Header=BB4_33 Depth=2
	global_load_dwordx2 v[10:11], v50, s[4:5]
	s_add_i32 s17, s16, -8
	s_add_u32 s4, s4, 8
	s_addc_u32 s5, s5, 0
.LBB4_64:                               ;   in Loop: Header=BB4_33 Depth=2
	s_cmp_gt_u32 s17, 7
	s_cbranch_scc1 .LBB4_68
; %bb.65:                               ;   in Loop: Header=BB4_33 Depth=2
	s_cmp_eq_u32 s17, 0
	s_cbranch_scc1 .LBB4_69
; %bb.66:                               ;   in Loop: Header=BB4_33 Depth=2
	v_mov_b32_e32 v12, 0
	s_mov_b64 s[12:13], 0
	v_mov_b32_e32 v13, 0
	s_mov_b64 s[14:15], 0
.LBB4_67:                               ;   Parent Loop BB4_2 Depth=1
                                        ;     Parent Loop BB4_33 Depth=2
                                        ; =>    This Inner Loop Header: Depth=3
	s_add_u32 s18, s4, s14
	s_addc_u32 s19, s5, s15
	global_load_ubyte v14, v50, s[18:19]
	s_add_u32 s14, s14, 1
	s_addc_u32 s15, s15, 0
	s_waitcnt vmcnt(0)
	v_and_b32_e32 v49, 0xffff, v14
	v_lshlrev_b64 v[14:15], s12, v[49:50]
	s_add_u32 s12, s12, 8
	s_addc_u32 s13, s13, 0
	v_or_b32_e32 v12, v14, v12
	s_cmp_lg_u32 s17, s14
	v_or_b32_e32 v13, v15, v13
	s_cbranch_scc1 .LBB4_67
	s_branch .LBB4_70
.LBB4_68:                               ;   in Loop: Header=BB4_33 Depth=2
                                        ; implicit-def: $sgpr16
	s_branch .LBB4_71
.LBB4_69:                               ;   in Loop: Header=BB4_33 Depth=2
	v_mov_b32_e32 v12, 0
	v_mov_b32_e32 v13, 0
.LBB4_70:                               ;   in Loop: Header=BB4_33 Depth=2
	s_mov_b32 s16, 0
	s_cbranch_execnz .LBB4_72
.LBB4_71:                               ;   in Loop: Header=BB4_33 Depth=2
	global_load_dwordx2 v[12:13], v50, s[4:5]
	s_add_i32 s16, s17, -8
	s_add_u32 s4, s4, 8
	s_addc_u32 s5, s5, 0
.LBB4_72:                               ;   in Loop: Header=BB4_33 Depth=2
	s_cmp_gt_u32 s16, 7
	s_cbranch_scc1 .LBB4_76
; %bb.73:                               ;   in Loop: Header=BB4_33 Depth=2
	s_cmp_eq_u32 s16, 0
	s_cbranch_scc1 .LBB4_77
; %bb.74:                               ;   in Loop: Header=BB4_33 Depth=2
	v_mov_b32_e32 v14, 0
	s_mov_b64 s[12:13], 0
	v_mov_b32_e32 v15, 0
	s_mov_b64 s[14:15], 0
.LBB4_75:                               ;   Parent Loop BB4_2 Depth=1
                                        ;     Parent Loop BB4_33 Depth=2
                                        ; =>    This Inner Loop Header: Depth=3
	s_add_u32 s18, s4, s14
	s_addc_u32 s19, s5, s15
	global_load_ubyte v16, v50, s[18:19]
	s_add_u32 s14, s14, 1
	s_addc_u32 s15, s15, 0
	s_waitcnt vmcnt(0)
	v_and_b32_e32 v49, 0xffff, v16
	v_lshlrev_b64 v[16:17], s12, v[49:50]
	s_add_u32 s12, s12, 8
	s_addc_u32 s13, s13, 0
	v_or_b32_e32 v14, v16, v14
	s_cmp_lg_u32 s16, s14
	v_or_b32_e32 v15, v17, v15
	s_cbranch_scc1 .LBB4_75
	s_branch .LBB4_78
.LBB4_76:                               ;   in Loop: Header=BB4_33 Depth=2
                                        ; implicit-def: $vgpr14_vgpr15
                                        ; implicit-def: $sgpr17
	s_branch .LBB4_79
.LBB4_77:                               ;   in Loop: Header=BB4_33 Depth=2
	v_mov_b32_e32 v14, 0
	v_mov_b32_e32 v15, 0
.LBB4_78:                               ;   in Loop: Header=BB4_33 Depth=2
	s_mov_b32 s17, 0
	s_cbranch_execnz .LBB4_80
.LBB4_79:                               ;   in Loop: Header=BB4_33 Depth=2
	global_load_dwordx2 v[14:15], v50, s[4:5]
	s_add_i32 s17, s16, -8
	s_add_u32 s4, s4, 8
	s_addc_u32 s5, s5, 0
.LBB4_80:                               ;   in Loop: Header=BB4_33 Depth=2
	s_cmp_gt_u32 s17, 7
	s_cbranch_scc1 .LBB4_84
; %bb.81:                               ;   in Loop: Header=BB4_33 Depth=2
	s_cmp_eq_u32 s17, 0
	s_cbranch_scc1 .LBB4_85
; %bb.82:                               ;   in Loop: Header=BB4_33 Depth=2
	v_mov_b32_e32 v16, 0
	s_mov_b64 s[12:13], 0
	v_mov_b32_e32 v17, 0
	s_mov_b64 s[14:15], s[4:5]
.LBB4_83:                               ;   Parent Loop BB4_2 Depth=1
                                        ;     Parent Loop BB4_33 Depth=2
                                        ; =>    This Inner Loop Header: Depth=3
	global_load_ubyte v18, v50, s[14:15]
	s_add_i32 s17, s17, -1
	s_waitcnt vmcnt(0)
	v_and_b32_e32 v49, 0xffff, v18
	v_lshlrev_b64 v[18:19], s12, v[49:50]
	s_add_u32 s12, s12, 8
	s_addc_u32 s13, s13, 0
	s_add_u32 s14, s14, 1
	s_addc_u32 s15, s15, 0
	v_or_b32_e32 v16, v18, v16
	s_cmp_lg_u32 s17, 0
	v_or_b32_e32 v17, v19, v17
	s_cbranch_scc1 .LBB4_83
	s_branch .LBB4_86
.LBB4_84:                               ;   in Loop: Header=BB4_33 Depth=2
	s_branch .LBB4_87
.LBB4_85:                               ;   in Loop: Header=BB4_33 Depth=2
	v_mov_b32_e32 v16, 0
	v_mov_b32_e32 v17, 0
.LBB4_86:                               ;   in Loop: Header=BB4_33 Depth=2
	s_cbranch_execnz .LBB4_88
.LBB4_87:                               ;   in Loop: Header=BB4_33 Depth=2
	global_load_dwordx2 v[16:17], v50, s[4:5]
.LBB4_88:                               ;   in Loop: Header=BB4_33 Depth=2
	v_readfirstlane_b32 s4, v55
	v_mov_b32_e32 v22, 0
	v_mov_b32_e32 v23, 0
	v_cmp_eq_u32_e64 s[4:5], s4, v55
	s_and_saveexec_b64 s[12:13], s[4:5]
	s_cbranch_execz .LBB4_94
; %bb.89:                               ;   in Loop: Header=BB4_33 Depth=2
	global_load_dwordx2 v[20:21], v50, s[28:29] offset:24 glc
	s_waitcnt vmcnt(0)
	buffer_wbinvl1_vol
	global_load_dwordx2 v[18:19], v50, s[28:29] offset:40
	global_load_dwordx2 v[22:23], v50, s[28:29]
	s_waitcnt vmcnt(1)
	v_and_b32_e32 v18, v18, v20
	v_and_b32_e32 v19, v19, v21
	v_mul_lo_u32 v19, v19, 24
	v_mul_hi_u32 v26, v18, 24
	v_mul_lo_u32 v18, v18, 24
	v_add_u32_e32 v19, v26, v19
	s_waitcnt vmcnt(0)
	v_add_co_u32_e32 v18, vcc, v22, v18
	v_addc_co_u32_e32 v19, vcc, v23, v19, vcc
	global_load_dwordx2 v[18:19], v[18:19], off glc
	s_waitcnt vmcnt(0)
	global_atomic_cmpswap_x2 v[22:23], v50, v[18:21], s[28:29] offset:24 glc
	s_waitcnt vmcnt(0)
	buffer_wbinvl1_vol
	v_cmp_ne_u64_e32 vcc, v[22:23], v[20:21]
	s_and_saveexec_b64 s[14:15], vcc
	s_cbranch_execz .LBB4_93
; %bb.90:                               ;   in Loop: Header=BB4_33 Depth=2
	s_mov_b64 s[16:17], 0
.LBB4_91:                               ;   Parent Loop BB4_2 Depth=1
                                        ;     Parent Loop BB4_33 Depth=2
                                        ; =>    This Inner Loop Header: Depth=3
	s_sleep 1
	global_load_dwordx2 v[18:19], v50, s[28:29] offset:40
	global_load_dwordx2 v[26:27], v50, s[28:29]
	v_mov_b32_e32 v20, v22
	v_mov_b32_e32 v21, v23
	s_waitcnt vmcnt(1)
	v_and_b32_e32 v18, v18, v20
	s_waitcnt vmcnt(0)
	v_mad_u64_u32 v[22:23], s[18:19], v18, 24, v[26:27]
	v_and_b32_e32 v19, v19, v21
	v_mov_b32_e32 v18, v23
	v_mad_u64_u32 v[18:19], s[18:19], v19, 24, v[18:19]
	v_mov_b32_e32 v23, v18
	global_load_dwordx2 v[18:19], v[22:23], off glc
	s_waitcnt vmcnt(0)
	global_atomic_cmpswap_x2 v[22:23], v50, v[18:21], s[28:29] offset:24 glc
	s_waitcnt vmcnt(0)
	buffer_wbinvl1_vol
	v_cmp_eq_u64_e32 vcc, v[22:23], v[20:21]
	s_or_b64 s[16:17], vcc, s[16:17]
	s_andn2_b64 exec, exec, s[16:17]
	s_cbranch_execnz .LBB4_91
; %bb.92:                               ;   in Loop: Header=BB4_33 Depth=2
	s_or_b64 exec, exec, s[16:17]
.LBB4_93:                               ;   in Loop: Header=BB4_33 Depth=2
	s_or_b64 exec, exec, s[14:15]
.LBB4_94:                               ;   in Loop: Header=BB4_33 Depth=2
	s_or_b64 exec, exec, s[12:13]
	global_load_dwordx2 v[26:27], v50, s[28:29] offset:40
	global_load_dwordx4 v[18:21], v50, s[28:29]
	v_readfirstlane_b32 s12, v22
	v_readfirstlane_b32 s13, v23
	s_mov_b64 s[14:15], exec
	s_waitcnt vmcnt(1)
	v_readfirstlane_b32 s16, v26
	v_readfirstlane_b32 s17, v27
	s_and_b64 s[16:17], s[12:13], s[16:17]
	s_mul_i32 s18, s17, 24
	s_mul_hi_u32 s19, s16, 24
	s_mul_i32 s20, s16, 24
	s_add_i32 s18, s19, s18
	v_mov_b32_e32 v23, s18
	s_waitcnt vmcnt(0)
	v_add_co_u32_e32 v22, vcc, s20, v18
	v_addc_co_u32_e32 v23, vcc, v19, v23, vcc
	s_and_saveexec_b64 s[18:19], s[4:5]
	s_cbranch_execz .LBB4_96
; %bb.95:                               ;   in Loop: Header=BB4_33 Depth=2
	v_mov_b32_e32 v52, s15
	v_mov_b32_e32 v51, s14
	global_store_dwordx4 v[22:23], v[51:54], off offset:8
.LBB4_96:                               ;   in Loop: Header=BB4_33 Depth=2
	s_or_b64 exec, exec, s[18:19]
	s_lshl_b64 s[14:15], s[16:17], 12
	v_mov_b32_e32 v26, s15
	v_add_co_u32_e32 v20, vcc, s14, v20
	v_addc_co_u32_e32 v21, vcc, v21, v26, vcc
	v_cmp_gt_u64_e64 vcc, s[8:9], 56
	v_or_b32_e32 v27, v2, v25
	s_lshl_b32 s14, s10, 2
	v_cndmask_b32_e32 v2, v27, v2, vcc
	s_add_i32 s14, s14, 28
	v_or_b32_e32 v26, 0, v3
	s_and_b32 s14, s14, 0x1e0
	v_and_b32_e32 v2, 0xffffff1f, v2
	v_cndmask_b32_e32 v3, v26, v3, vcc
	v_or_b32_e32 v2, s14, v2
	v_lshlrev_b32_e32 v26, 6, v55
	v_readfirstlane_b32 s14, v20
	v_readfirstlane_b32 s15, v21
	s_nop 4
	global_store_dwordx4 v26, v[2:5], s[14:15]
	global_store_dwordx4 v26, v[6:9], s[14:15] offset:16
	global_store_dwordx4 v26, v[10:13], s[14:15] offset:32
	;; [unrolled: 1-line block ×3, first 2 shown]
	s_and_saveexec_b64 s[14:15], s[4:5]
	s_cbranch_execz .LBB4_104
; %bb.97:                               ;   in Loop: Header=BB4_33 Depth=2
	global_load_dwordx2 v[10:11], v50, s[28:29] offset:32 glc
	global_load_dwordx2 v[2:3], v50, s[28:29] offset:40
	v_mov_b32_e32 v8, s12
	v_mov_b32_e32 v9, s13
	s_waitcnt vmcnt(0)
	v_readfirstlane_b32 s16, v2
	v_readfirstlane_b32 s17, v3
	s_and_b64 s[16:17], s[16:17], s[12:13]
	s_mul_i32 s17, s17, 24
	s_mul_hi_u32 s18, s16, 24
	s_mul_i32 s16, s16, 24
	s_add_i32 s17, s18, s17
	v_mov_b32_e32 v2, s17
	v_add_co_u32_e32 v6, vcc, s16, v18
	v_addc_co_u32_e32 v7, vcc, v19, v2, vcc
	global_store_dwordx2 v[6:7], v[10:11], off
	s_waitcnt vmcnt(0)
	global_atomic_cmpswap_x2 v[4:5], v50, v[8:11], s[28:29] offset:32 glc
	s_waitcnt vmcnt(0)
	v_cmp_ne_u64_e32 vcc, v[4:5], v[10:11]
	s_and_saveexec_b64 s[16:17], vcc
	s_cbranch_execz .LBB4_100
; %bb.98:                               ;   in Loop: Header=BB4_33 Depth=2
	s_mov_b64 s[18:19], 0
.LBB4_99:                               ;   Parent Loop BB4_2 Depth=1
                                        ;     Parent Loop BB4_33 Depth=2
                                        ; =>    This Inner Loop Header: Depth=3
	s_sleep 1
	global_store_dwordx2 v[6:7], v[4:5], off
	v_mov_b32_e32 v2, s12
	v_mov_b32_e32 v3, s13
	s_waitcnt vmcnt(0)
	global_atomic_cmpswap_x2 v[2:3], v50, v[2:5], s[28:29] offset:32 glc
	s_waitcnt vmcnt(0)
	v_cmp_eq_u64_e32 vcc, v[2:3], v[4:5]
	v_mov_b32_e32 v5, v3
	s_or_b64 s[18:19], vcc, s[18:19]
	v_mov_b32_e32 v4, v2
	s_andn2_b64 exec, exec, s[18:19]
	s_cbranch_execnz .LBB4_99
.LBB4_100:                              ;   in Loop: Header=BB4_33 Depth=2
	s_or_b64 exec, exec, s[16:17]
	global_load_dwordx2 v[2:3], v50, s[28:29] offset:16
	s_mov_b64 s[18:19], exec
	v_mbcnt_lo_u32_b32 v4, s18, 0
	v_mbcnt_hi_u32_b32 v4, s19, v4
	v_cmp_eq_u32_e32 vcc, 0, v4
	s_and_saveexec_b64 s[16:17], vcc
	s_cbranch_execz .LBB4_102
; %bb.101:                              ;   in Loop: Header=BB4_33 Depth=2
	s_bcnt1_i32_b64 s18, s[18:19]
	v_mov_b32_e32 v49, s18
	s_waitcnt vmcnt(0)
	global_atomic_add_x2 v[2:3], v[49:50], off offset:8
.LBB4_102:                              ;   in Loop: Header=BB4_33 Depth=2
	s_or_b64 exec, exec, s[16:17]
	s_waitcnt vmcnt(0)
	global_load_dwordx2 v[4:5], v[2:3], off offset:16
	s_waitcnt vmcnt(0)
	v_cmp_eq_u64_e32 vcc, 0, v[4:5]
	s_cbranch_vccnz .LBB4_104
; %bb.103:                              ;   in Loop: Header=BB4_33 Depth=2
	global_load_dword v49, v[2:3], off offset:24
	s_waitcnt vmcnt(0)
	v_and_b32_e32 v2, 0xffffff, v49
	v_readfirstlane_b32 m0, v2
	global_store_dwordx2 v[4:5], v[49:50], off
	s_sendmsg sendmsg(MSG_INTERRUPT)
.LBB4_104:                              ;   in Loop: Header=BB4_33 Depth=2
	s_or_b64 exec, exec, s[14:15]
	v_add_co_u32_e32 v2, vcc, v20, v26
	v_addc_co_u32_e32 v3, vcc, 0, v21, vcc
	s_branch .LBB4_108
.LBB4_105:                              ;   in Loop: Header=BB4_108 Depth=3
	s_or_b64 exec, exec, s[14:15]
	v_readfirstlane_b32 s14, v4
	s_cmp_eq_u32 s14, 0
	s_cbranch_scc1 .LBB4_107
; %bb.106:                              ;   in Loop: Header=BB4_108 Depth=3
	s_sleep 1
	s_cbranch_execnz .LBB4_108
	s_branch .LBB4_110
.LBB4_107:                              ;   in Loop: Header=BB4_33 Depth=2
	s_branch .LBB4_110
.LBB4_108:                              ;   Parent Loop BB4_2 Depth=1
                                        ;     Parent Loop BB4_33 Depth=2
                                        ; =>    This Inner Loop Header: Depth=3
	v_mov_b32_e32 v4, 1
	s_and_saveexec_b64 s[14:15], s[4:5]
	s_cbranch_execz .LBB4_105
; %bb.109:                              ;   in Loop: Header=BB4_108 Depth=3
	global_load_dword v4, v[22:23], off offset:20 glc
	s_waitcnt vmcnt(0)
	buffer_wbinvl1_vol
	v_and_b32_e32 v4, 1, v4
	s_branch .LBB4_105
.LBB4_110:                              ;   in Loop: Header=BB4_33 Depth=2
	global_load_dwordx4 v[2:5], v[2:3], off
	s_and_saveexec_b64 s[14:15], s[4:5]
	s_cbranch_execz .LBB4_32
; %bb.111:                              ;   in Loop: Header=BB4_33 Depth=2
	global_load_dwordx2 v[6:7], v50, s[28:29] offset:40
	global_load_dwordx2 v[10:11], v50, s[28:29] offset:24 glc
	global_load_dwordx2 v[8:9], v50, s[28:29]
	s_waitcnt vmcnt(3)
	v_mov_b32_e32 v5, s13
	s_waitcnt vmcnt(2)
	v_add_co_u32_e32 v12, vcc, 1, v6
	v_addc_co_u32_e32 v13, vcc, 0, v7, vcc
	v_add_co_u32_e32 v4, vcc, s12, v12
	v_addc_co_u32_e32 v5, vcc, v13, v5, vcc
	v_cmp_eq_u64_e32 vcc, 0, v[4:5]
	v_cndmask_b32_e32 v5, v5, v13, vcc
	v_cndmask_b32_e32 v4, v4, v12, vcc
	v_and_b32_e32 v7, v5, v7
	v_and_b32_e32 v6, v4, v6
	v_mul_lo_u32 v7, v7, 24
	v_mul_hi_u32 v12, v6, 24
	v_mul_lo_u32 v13, v6, 24
	s_waitcnt vmcnt(1)
	v_mov_b32_e32 v6, v10
	v_add_u32_e32 v7, v12, v7
	s_waitcnt vmcnt(0)
	v_add_co_u32_e32 v8, vcc, v8, v13
	v_addc_co_u32_e32 v9, vcc, v9, v7, vcc
	global_store_dwordx2 v[8:9], v[10:11], off
	v_mov_b32_e32 v7, v11
	s_waitcnt vmcnt(0)
	global_atomic_cmpswap_x2 v[6:7], v50, v[4:7], s[28:29] offset:24 glc
	s_waitcnt vmcnt(0)
	v_cmp_ne_u64_e32 vcc, v[6:7], v[10:11]
	s_and_b64 exec, exec, vcc
	s_cbranch_execz .LBB4_32
; %bb.112:                              ;   in Loop: Header=BB4_33 Depth=2
	s_mov_b64 s[4:5], 0
.LBB4_113:                              ;   Parent Loop BB4_2 Depth=1
                                        ;     Parent Loop BB4_33 Depth=2
                                        ; =>    This Inner Loop Header: Depth=3
	s_sleep 1
	global_store_dwordx2 v[8:9], v[6:7], off
	s_waitcnt vmcnt(0)
	global_atomic_cmpswap_x2 v[10:11], v50, v[4:7], s[28:29] offset:24 glc
	s_waitcnt vmcnt(0)
	v_cmp_eq_u64_e32 vcc, v[10:11], v[6:7]
	v_mov_b32_e32 v6, v10
	s_or_b64 s[4:5], vcc, s[4:5]
	v_mov_b32_e32 v7, v11
	s_andn2_b64 exec, exec, s[4:5]
	s_cbranch_execnz .LBB4_113
	s_branch .LBB4_32
.LBB4_114:                              ;   in Loop: Header=BB4_2 Depth=1
	s_branch .LBB4_143
.LBB4_115:                              ;   in Loop: Header=BB4_2 Depth=1
                                        ; implicit-def: $vgpr2_vgpr3
	s_cbranch_execz .LBB4_143
; %bb.116:                              ;   in Loop: Header=BB4_2 Depth=1
	v_readfirstlane_b32 s4, v55
	s_waitcnt vmcnt(0)
	v_mov_b32_e32 v2, 0
	v_mov_b32_e32 v3, 0
	v_cmp_eq_u32_e64 s[4:5], s4, v55
	s_and_saveexec_b64 s[6:7], s[4:5]
	s_cbranch_execz .LBB4_122
; %bb.117:                              ;   in Loop: Header=BB4_2 Depth=1
	global_load_dwordx2 v[4:5], v50, s[28:29] offset:24 glc
	s_waitcnt vmcnt(0)
	buffer_wbinvl1_vol
	global_load_dwordx2 v[2:3], v50, s[28:29] offset:40
	global_load_dwordx2 v[6:7], v50, s[28:29]
	s_waitcnt vmcnt(1)
	v_and_b32_e32 v2, v2, v4
	v_and_b32_e32 v3, v3, v5
	v_mul_lo_u32 v3, v3, 24
	v_mul_hi_u32 v8, v2, 24
	v_mul_lo_u32 v2, v2, 24
	v_add_u32_e32 v3, v8, v3
	s_waitcnt vmcnt(0)
	v_add_co_u32_e32 v2, vcc, v6, v2
	v_addc_co_u32_e32 v3, vcc, v7, v3, vcc
	global_load_dwordx2 v[2:3], v[2:3], off glc
	s_waitcnt vmcnt(0)
	global_atomic_cmpswap_x2 v[2:3], v50, v[2:5], s[28:29] offset:24 glc
	s_waitcnt vmcnt(0)
	buffer_wbinvl1_vol
	v_cmp_ne_u64_e32 vcc, v[2:3], v[4:5]
	s_and_saveexec_b64 s[8:9], vcc
	s_cbranch_execz .LBB4_121
; %bb.118:                              ;   in Loop: Header=BB4_2 Depth=1
	s_mov_b64 s[10:11], 0
.LBB4_119:                              ;   Parent Loop BB4_2 Depth=1
                                        ; =>  This Inner Loop Header: Depth=2
	s_sleep 1
	global_load_dwordx2 v[6:7], v50, s[28:29] offset:40
	global_load_dwordx2 v[8:9], v50, s[28:29]
	v_mov_b32_e32 v5, v3
	v_mov_b32_e32 v4, v2
	s_waitcnt vmcnt(1)
	v_and_b32_e32 v2, v6, v4
	s_waitcnt vmcnt(0)
	v_mad_u64_u32 v[2:3], s[12:13], v2, 24, v[8:9]
	v_and_b32_e32 v6, v7, v5
	v_mad_u64_u32 v[6:7], s[12:13], v6, 24, v[3:4]
	v_mov_b32_e32 v3, v6
	global_load_dwordx2 v[2:3], v[2:3], off glc
	s_waitcnt vmcnt(0)
	global_atomic_cmpswap_x2 v[2:3], v50, v[2:5], s[28:29] offset:24 glc
	s_waitcnt vmcnt(0)
	buffer_wbinvl1_vol
	v_cmp_eq_u64_e32 vcc, v[2:3], v[4:5]
	s_or_b64 s[10:11], vcc, s[10:11]
	s_andn2_b64 exec, exec, s[10:11]
	s_cbranch_execnz .LBB4_119
; %bb.120:                              ;   in Loop: Header=BB4_2 Depth=1
	s_or_b64 exec, exec, s[10:11]
.LBB4_121:                              ;   in Loop: Header=BB4_2 Depth=1
	s_or_b64 exec, exec, s[8:9]
.LBB4_122:                              ;   in Loop: Header=BB4_2 Depth=1
	s_or_b64 exec, exec, s[6:7]
	global_load_dwordx2 v[8:9], v50, s[28:29] offset:40
	global_load_dwordx4 v[4:7], v50, s[28:29]
	v_readfirstlane_b32 s6, v2
	v_readfirstlane_b32 s7, v3
	s_mov_b64 s[8:9], exec
	s_waitcnt vmcnt(1)
	v_readfirstlane_b32 s10, v8
	v_readfirstlane_b32 s11, v9
	s_and_b64 s[10:11], s[6:7], s[10:11]
	s_mul_i32 s12, s11, 24
	s_mul_hi_u32 s13, s10, 24
	s_mul_i32 s14, s10, 24
	s_add_i32 s12, s13, s12
	v_mov_b32_e32 v2, s12
	s_waitcnt vmcnt(0)
	v_add_co_u32_e32 v8, vcc, s14, v4
	v_addc_co_u32_e32 v9, vcc, v5, v2, vcc
	s_and_saveexec_b64 s[12:13], s[4:5]
	s_cbranch_execz .LBB4_124
; %bb.123:                              ;   in Loop: Header=BB4_2 Depth=1
	v_mov_b32_e32 v52, s9
	v_mov_b32_e32 v51, s8
	global_store_dwordx4 v[8:9], v[51:54], off offset:8
.LBB4_124:                              ;   in Loop: Header=BB4_2 Depth=1
	s_or_b64 exec, exec, s[12:13]
	s_lshl_b64 s[8:9], s[10:11], 12
	v_mov_b32_e32 v2, s9
	v_add_co_u32_e32 v6, vcc, s8, v6
	v_addc_co_u32_e32 v7, vcc, v7, v2, vcc
	v_and_or_b32 v0, v0, s23, 32
	v_lshlrev_b32_e32 v10, 6, v55
	v_mov_b32_e32 v2, v50
	v_mov_b32_e32 v3, v50
	v_readfirstlane_b32 s8, v6
	v_readfirstlane_b32 s9, v7
	s_nop 4
	global_store_dwordx4 v10, v[0:3], s[8:9]
	s_nop 0
	v_mov_b32_e32 v0, s36
	v_mov_b32_e32 v1, s37
	v_mov_b32_e32 v2, s38
	v_mov_b32_e32 v3, s39
	global_store_dwordx4 v10, v[0:3], s[8:9] offset:16
	global_store_dwordx4 v10, v[0:3], s[8:9] offset:32
	;; [unrolled: 1-line block ×3, first 2 shown]
	s_and_saveexec_b64 s[8:9], s[4:5]
	s_cbranch_execz .LBB4_132
; %bb.125:                              ;   in Loop: Header=BB4_2 Depth=1
	global_load_dwordx2 v[13:14], v50, s[28:29] offset:32 glc
	global_load_dwordx2 v[0:1], v50, s[28:29] offset:40
	v_mov_b32_e32 v11, s6
	v_mov_b32_e32 v12, s7
	s_waitcnt vmcnt(0)
	v_readfirstlane_b32 s10, v0
	v_readfirstlane_b32 s11, v1
	s_and_b64 s[10:11], s[10:11], s[6:7]
	s_mul_i32 s11, s11, 24
	s_mul_hi_u32 s12, s10, 24
	s_mul_i32 s10, s10, 24
	s_add_i32 s11, s12, s11
	v_mov_b32_e32 v0, s11
	v_add_co_u32_e32 v4, vcc, s10, v4
	v_addc_co_u32_e32 v5, vcc, v5, v0, vcc
	global_store_dwordx2 v[4:5], v[13:14], off
	s_waitcnt vmcnt(0)
	global_atomic_cmpswap_x2 v[2:3], v50, v[11:14], s[28:29] offset:32 glc
	s_waitcnt vmcnt(0)
	v_cmp_ne_u64_e32 vcc, v[2:3], v[13:14]
	s_and_saveexec_b64 s[10:11], vcc
	s_cbranch_execz .LBB4_128
; %bb.126:                              ;   in Loop: Header=BB4_2 Depth=1
	s_mov_b64 s[12:13], 0
.LBB4_127:                              ;   Parent Loop BB4_2 Depth=1
                                        ; =>  This Inner Loop Header: Depth=2
	s_sleep 1
	global_store_dwordx2 v[4:5], v[2:3], off
	v_mov_b32_e32 v0, s6
	v_mov_b32_e32 v1, s7
	s_waitcnt vmcnt(0)
	global_atomic_cmpswap_x2 v[0:1], v50, v[0:3], s[28:29] offset:32 glc
	s_waitcnt vmcnt(0)
	v_cmp_eq_u64_e32 vcc, v[0:1], v[2:3]
	v_mov_b32_e32 v3, v1
	s_or_b64 s[12:13], vcc, s[12:13]
	v_mov_b32_e32 v2, v0
	s_andn2_b64 exec, exec, s[12:13]
	s_cbranch_execnz .LBB4_127
.LBB4_128:                              ;   in Loop: Header=BB4_2 Depth=1
	s_or_b64 exec, exec, s[10:11]
	global_load_dwordx2 v[0:1], v50, s[28:29] offset:16
	s_mov_b64 s[12:13], exec
	v_mbcnt_lo_u32_b32 v2, s12, 0
	v_mbcnt_hi_u32_b32 v2, s13, v2
	v_cmp_eq_u32_e32 vcc, 0, v2
	s_and_saveexec_b64 s[10:11], vcc
	s_cbranch_execz .LBB4_130
; %bb.129:                              ;   in Loop: Header=BB4_2 Depth=1
	s_bcnt1_i32_b64 s12, s[12:13]
	v_mov_b32_e32 v49, s12
	s_waitcnt vmcnt(0)
	global_atomic_add_x2 v[0:1], v[49:50], off offset:8
.LBB4_130:                              ;   in Loop: Header=BB4_2 Depth=1
	s_or_b64 exec, exec, s[10:11]
	s_waitcnt vmcnt(0)
	global_load_dwordx2 v[2:3], v[0:1], off offset:16
	s_waitcnt vmcnt(0)
	v_cmp_eq_u64_e32 vcc, 0, v[2:3]
	s_cbranch_vccnz .LBB4_132
; %bb.131:                              ;   in Loop: Header=BB4_2 Depth=1
	global_load_dword v49, v[0:1], off offset:24
	s_waitcnt vmcnt(0)
	v_and_b32_e32 v0, 0xffffff, v49
	v_readfirstlane_b32 m0, v0
	global_store_dwordx2 v[2:3], v[49:50], off
	s_sendmsg sendmsg(MSG_INTERRUPT)
.LBB4_132:                              ;   in Loop: Header=BB4_2 Depth=1
	s_or_b64 exec, exec, s[8:9]
	v_add_co_u32_e32 v0, vcc, v6, v10
	v_addc_co_u32_e32 v1, vcc, 0, v7, vcc
	s_branch .LBB4_136
.LBB4_133:                              ;   in Loop: Header=BB4_136 Depth=2
	s_or_b64 exec, exec, s[8:9]
	v_readfirstlane_b32 s8, v2
	s_cmp_eq_u32 s8, 0
	s_cbranch_scc1 .LBB4_135
; %bb.134:                              ;   in Loop: Header=BB4_136 Depth=2
	s_sleep 1
	s_cbranch_execnz .LBB4_136
	s_branch .LBB4_138
.LBB4_135:                              ;   in Loop: Header=BB4_2 Depth=1
	s_branch .LBB4_138
.LBB4_136:                              ;   Parent Loop BB4_2 Depth=1
                                        ; =>  This Inner Loop Header: Depth=2
	v_mov_b32_e32 v2, 1
	s_and_saveexec_b64 s[8:9], s[4:5]
	s_cbranch_execz .LBB4_133
; %bb.137:                              ;   in Loop: Header=BB4_136 Depth=2
	global_load_dword v2, v[8:9], off offset:20 glc
	s_waitcnt vmcnt(0)
	buffer_wbinvl1_vol
	v_and_b32_e32 v2, 1, v2
	s_branch .LBB4_133
.LBB4_138:                              ;   in Loop: Header=BB4_2 Depth=1
	global_load_dwordx2 v[2:3], v[0:1], off
	s_and_saveexec_b64 s[8:9], s[4:5]
	s_cbranch_execz .LBB4_142
; %bb.139:                              ;   in Loop: Header=BB4_2 Depth=1
	global_load_dwordx2 v[0:1], v50, s[28:29] offset:40
	global_load_dwordx2 v[8:9], v50, s[28:29] offset:24 glc
	global_load_dwordx2 v[10:11], v50, s[28:29]
	v_mov_b32_e32 v5, s7
	s_waitcnt vmcnt(2)
	v_add_co_u32_e32 v6, vcc, 1, v0
	v_addc_co_u32_e32 v7, vcc, 0, v1, vcc
	v_add_co_u32_e32 v4, vcc, s6, v6
	v_addc_co_u32_e32 v5, vcc, v7, v5, vcc
	v_cmp_eq_u64_e32 vcc, 0, v[4:5]
	v_cndmask_b32_e32 v5, v5, v7, vcc
	v_cndmask_b32_e32 v4, v4, v6, vcc
	v_and_b32_e32 v1, v5, v1
	v_and_b32_e32 v0, v4, v0
	v_mul_lo_u32 v1, v1, 24
	v_mul_hi_u32 v7, v0, 24
	v_mul_lo_u32 v0, v0, 24
	s_waitcnt vmcnt(1)
	v_mov_b32_e32 v6, v8
	v_add_u32_e32 v1, v7, v1
	s_waitcnt vmcnt(0)
	v_add_co_u32_e32 v0, vcc, v10, v0
	v_addc_co_u32_e32 v1, vcc, v11, v1, vcc
	global_store_dwordx2 v[0:1], v[8:9], off
	v_mov_b32_e32 v7, v9
	s_waitcnt vmcnt(0)
	global_atomic_cmpswap_x2 v[6:7], v50, v[4:7], s[28:29] offset:24 glc
	s_waitcnt vmcnt(0)
	v_cmp_ne_u64_e32 vcc, v[6:7], v[8:9]
	s_and_b64 exec, exec, vcc
	s_cbranch_execz .LBB4_142
; %bb.140:                              ;   in Loop: Header=BB4_2 Depth=1
	s_mov_b64 s[4:5], 0
.LBB4_141:                              ;   Parent Loop BB4_2 Depth=1
                                        ; =>  This Inner Loop Header: Depth=2
	s_sleep 1
	global_store_dwordx2 v[0:1], v[6:7], off
	s_waitcnt vmcnt(0)
	global_atomic_cmpswap_x2 v[8:9], v50, v[4:7], s[28:29] offset:24 glc
	s_waitcnt vmcnt(0)
	v_cmp_eq_u64_e32 vcc, v[8:9], v[6:7]
	v_mov_b32_e32 v6, v8
	s_or_b64 s[4:5], vcc, s[4:5]
	v_mov_b32_e32 v7, v9
	s_andn2_b64 exec, exec, s[4:5]
	s_cbranch_execnz .LBB4_141
.LBB4_142:                              ;   in Loop: Header=BB4_2 Depth=1
	s_or_b64 exec, exec, s[8:9]
.LBB4_143:                              ;   in Loop: Header=BB4_2 Depth=1
	v_readfirstlane_b32 s4, v55
	s_waitcnt vmcnt(0)
	v_mov_b32_e32 v0, 0
	v_mov_b32_e32 v1, 0
	v_cmp_eq_u32_e64 s[4:5], s4, v55
	s_and_saveexec_b64 s[6:7], s[4:5]
	s_cbranch_execz .LBB4_149
; %bb.144:                              ;   in Loop: Header=BB4_2 Depth=1
	global_load_dwordx2 v[6:7], v50, s[28:29] offset:24 glc
	s_waitcnt vmcnt(0)
	buffer_wbinvl1_vol
	global_load_dwordx2 v[0:1], v50, s[28:29] offset:40
	global_load_dwordx2 v[4:5], v50, s[28:29]
	s_waitcnt vmcnt(1)
	v_and_b32_e32 v0, v0, v6
	v_and_b32_e32 v1, v1, v7
	v_mul_lo_u32 v1, v1, 24
	v_mul_hi_u32 v8, v0, 24
	v_mul_lo_u32 v0, v0, 24
	v_add_u32_e32 v1, v8, v1
	s_waitcnt vmcnt(0)
	v_add_co_u32_e32 v0, vcc, v4, v0
	v_addc_co_u32_e32 v1, vcc, v5, v1, vcc
	global_load_dwordx2 v[4:5], v[0:1], off glc
	s_waitcnt vmcnt(0)
	global_atomic_cmpswap_x2 v[0:1], v50, v[4:7], s[28:29] offset:24 glc
	s_waitcnt vmcnt(0)
	buffer_wbinvl1_vol
	v_cmp_ne_u64_e32 vcc, v[0:1], v[6:7]
	s_and_saveexec_b64 s[8:9], vcc
	s_cbranch_execz .LBB4_148
; %bb.145:                              ;   in Loop: Header=BB4_2 Depth=1
	s_mov_b64 s[10:11], 0
.LBB4_146:                              ;   Parent Loop BB4_2 Depth=1
                                        ; =>  This Inner Loop Header: Depth=2
	s_sleep 1
	global_load_dwordx2 v[4:5], v50, s[28:29] offset:40
	global_load_dwordx2 v[8:9], v50, s[28:29]
	v_mov_b32_e32 v7, v1
	v_mov_b32_e32 v6, v0
	s_waitcnt vmcnt(1)
	v_and_b32_e32 v0, v4, v6
	s_waitcnt vmcnt(0)
	v_mad_u64_u32 v[0:1], s[12:13], v0, 24, v[8:9]
	v_and_b32_e32 v4, v5, v7
	v_mad_u64_u32 v[4:5], s[12:13], v4, 24, v[1:2]
	v_mov_b32_e32 v1, v4
	global_load_dwordx2 v[4:5], v[0:1], off glc
	s_waitcnt vmcnt(0)
	global_atomic_cmpswap_x2 v[0:1], v50, v[4:7], s[28:29] offset:24 glc
	s_waitcnt vmcnt(0)
	buffer_wbinvl1_vol
	v_cmp_eq_u64_e32 vcc, v[0:1], v[6:7]
	s_or_b64 s[10:11], vcc, s[10:11]
	s_andn2_b64 exec, exec, s[10:11]
	s_cbranch_execnz .LBB4_146
; %bb.147:                              ;   in Loop: Header=BB4_2 Depth=1
	s_or_b64 exec, exec, s[10:11]
.LBB4_148:                              ;   in Loop: Header=BB4_2 Depth=1
	s_or_b64 exec, exec, s[8:9]
.LBB4_149:                              ;   in Loop: Header=BB4_2 Depth=1
	s_or_b64 exec, exec, s[6:7]
	global_load_dwordx2 v[4:5], v50, s[28:29] offset:40
	global_load_dwordx4 v[6:9], v50, s[28:29]
	v_readfirstlane_b32 s6, v0
	v_readfirstlane_b32 s7, v1
	s_mov_b64 s[8:9], exec
	s_waitcnt vmcnt(1)
	v_readfirstlane_b32 s10, v4
	v_readfirstlane_b32 s11, v5
	s_and_b64 s[10:11], s[6:7], s[10:11]
	s_mul_i32 s12, s11, 24
	s_mul_hi_u32 s13, s10, 24
	s_mul_i32 s14, s10, 24
	s_add_i32 s12, s13, s12
	v_mov_b32_e32 v0, s12
	s_waitcnt vmcnt(0)
	v_add_co_u32_e32 v10, vcc, s14, v6
	v_addc_co_u32_e32 v11, vcc, v7, v0, vcc
	s_and_saveexec_b64 s[12:13], s[4:5]
	s_cbranch_execz .LBB4_151
; %bb.150:                              ;   in Loop: Header=BB4_2 Depth=1
	v_mov_b32_e32 v52, s9
	v_mov_b32_e32 v51, s8
	global_store_dwordx4 v[10:11], v[51:54], off offset:8
.LBB4_151:                              ;   in Loop: Header=BB4_2 Depth=1
	s_or_b64 exec, exec, s[12:13]
	s_lshl_b64 s[8:9], s[10:11], 12
	v_mov_b32_e32 v0, s9
	v_add_co_u32_e32 v1, vcc, s8, v8
	v_addc_co_u32_e32 v0, vcc, v9, v0, vcc
	v_and_or_b32 v2, v2, s40, 34
	v_ashrrev_i32_e32 v5, 31, v24
	v_lshlrev_b32_e32 v8, 6, v55
	v_mov_b32_e32 v4, v24
	v_readfirstlane_b32 s8, v1
	v_readfirstlane_b32 s9, v0
	s_nop 4
	global_store_dwordx4 v8, v[2:5], s[8:9]
	v_mov_b32_e32 v0, s36
	v_mov_b32_e32 v1, s37
	v_mov_b32_e32 v2, s38
	v_mov_b32_e32 v3, s39
	global_store_dwordx4 v8, v[0:3], s[8:9] offset:16
	global_store_dwordx4 v8, v[0:3], s[8:9] offset:32
	;; [unrolled: 1-line block ×3, first 2 shown]
	s_and_saveexec_b64 s[8:9], s[4:5]
	s_cbranch_execz .LBB4_159
; %bb.152:                              ;   in Loop: Header=BB4_2 Depth=1
	global_load_dwordx2 v[14:15], v50, s[28:29] offset:32 glc
	global_load_dwordx2 v[0:1], v50, s[28:29] offset:40
	v_mov_b32_e32 v12, s6
	v_mov_b32_e32 v13, s7
	s_waitcnt vmcnt(0)
	v_readfirstlane_b32 s10, v0
	v_readfirstlane_b32 s11, v1
	s_and_b64 s[10:11], s[10:11], s[6:7]
	s_mul_i32 s11, s11, 24
	s_mul_hi_u32 s12, s10, 24
	s_mul_i32 s10, s10, 24
	s_add_i32 s11, s12, s11
	v_mov_b32_e32 v0, s11
	v_add_co_u32_e32 v4, vcc, s10, v6
	v_addc_co_u32_e32 v5, vcc, v7, v0, vcc
	global_store_dwordx2 v[4:5], v[14:15], off
	s_waitcnt vmcnt(0)
	global_atomic_cmpswap_x2 v[2:3], v50, v[12:15], s[28:29] offset:32 glc
	s_waitcnt vmcnt(0)
	v_cmp_ne_u64_e32 vcc, v[2:3], v[14:15]
	s_and_saveexec_b64 s[10:11], vcc
	s_cbranch_execz .LBB4_155
; %bb.153:                              ;   in Loop: Header=BB4_2 Depth=1
	s_mov_b64 s[12:13], 0
.LBB4_154:                              ;   Parent Loop BB4_2 Depth=1
                                        ; =>  This Inner Loop Header: Depth=2
	s_sleep 1
	global_store_dwordx2 v[4:5], v[2:3], off
	v_mov_b32_e32 v0, s6
	v_mov_b32_e32 v1, s7
	s_waitcnt vmcnt(0)
	global_atomic_cmpswap_x2 v[0:1], v50, v[0:3], s[28:29] offset:32 glc
	s_waitcnt vmcnt(0)
	v_cmp_eq_u64_e32 vcc, v[0:1], v[2:3]
	v_mov_b32_e32 v3, v1
	s_or_b64 s[12:13], vcc, s[12:13]
	v_mov_b32_e32 v2, v0
	s_andn2_b64 exec, exec, s[12:13]
	s_cbranch_execnz .LBB4_154
.LBB4_155:                              ;   in Loop: Header=BB4_2 Depth=1
	s_or_b64 exec, exec, s[10:11]
	global_load_dwordx2 v[0:1], v50, s[28:29] offset:16
	s_mov_b64 s[12:13], exec
	v_mbcnt_lo_u32_b32 v2, s12, 0
	v_mbcnt_hi_u32_b32 v2, s13, v2
	v_cmp_eq_u32_e32 vcc, 0, v2
	s_and_saveexec_b64 s[10:11], vcc
	s_cbranch_execz .LBB4_157
; %bb.156:                              ;   in Loop: Header=BB4_2 Depth=1
	s_bcnt1_i32_b64 s12, s[12:13]
	v_mov_b32_e32 v49, s12
	s_waitcnt vmcnt(0)
	global_atomic_add_x2 v[0:1], v[49:50], off offset:8
.LBB4_157:                              ;   in Loop: Header=BB4_2 Depth=1
	s_or_b64 exec, exec, s[10:11]
	s_waitcnt vmcnt(0)
	global_load_dwordx2 v[2:3], v[0:1], off offset:16
	s_waitcnt vmcnt(0)
	v_cmp_eq_u64_e32 vcc, 0, v[2:3]
	s_cbranch_vccnz .LBB4_159
; %bb.158:                              ;   in Loop: Header=BB4_2 Depth=1
	global_load_dword v49, v[0:1], off offset:24
	s_waitcnt vmcnt(0)
	v_and_b32_e32 v0, 0xffffff, v49
	v_readfirstlane_b32 m0, v0
	global_store_dwordx2 v[2:3], v[49:50], off
	s_sendmsg sendmsg(MSG_INTERRUPT)
.LBB4_159:                              ;   in Loop: Header=BB4_2 Depth=1
	s_or_b64 exec, exec, s[8:9]
	s_branch .LBB4_163
.LBB4_160:                              ;   in Loop: Header=BB4_163 Depth=2
	s_or_b64 exec, exec, s[8:9]
	v_readfirstlane_b32 s8, v0
	s_cmp_eq_u32 s8, 0
	s_cbranch_scc1 .LBB4_162
; %bb.161:                              ;   in Loop: Header=BB4_163 Depth=2
	s_sleep 1
	s_cbranch_execnz .LBB4_163
	s_branch .LBB4_165
.LBB4_162:                              ;   in Loop: Header=BB4_2 Depth=1
	s_branch .LBB4_165
.LBB4_163:                              ;   Parent Loop BB4_2 Depth=1
                                        ; =>  This Inner Loop Header: Depth=2
	v_mov_b32_e32 v0, 1
	s_and_saveexec_b64 s[8:9], s[4:5]
	s_cbranch_execz .LBB4_160
; %bb.164:                              ;   in Loop: Header=BB4_163 Depth=2
	global_load_dword v0, v[10:11], off offset:20 glc
	s_waitcnt vmcnt(0)
	buffer_wbinvl1_vol
	v_and_b32_e32 v0, 1, v0
	s_branch .LBB4_160
.LBB4_165:                              ;   in Loop: Header=BB4_2 Depth=1
	s_and_saveexec_b64 s[8:9], s[4:5]
	s_cbranch_execz .LBB4_1
; %bb.166:                              ;   in Loop: Header=BB4_2 Depth=1
	global_load_dwordx2 v[2:3], v50, s[28:29] offset:40
	global_load_dwordx2 v[6:7], v50, s[28:29] offset:24 glc
	global_load_dwordx2 v[4:5], v50, s[28:29]
	v_mov_b32_e32 v1, s7
	s_waitcnt vmcnt(2)
	v_add_co_u32_e32 v8, vcc, 1, v2
	v_addc_co_u32_e32 v9, vcc, 0, v3, vcc
	v_add_co_u32_e32 v0, vcc, s6, v8
	v_addc_co_u32_e32 v1, vcc, v9, v1, vcc
	v_cmp_eq_u64_e32 vcc, 0, v[0:1]
	v_cndmask_b32_e32 v1, v1, v9, vcc
	v_cndmask_b32_e32 v0, v0, v8, vcc
	v_and_b32_e32 v3, v1, v3
	v_and_b32_e32 v2, v0, v2
	v_mul_lo_u32 v3, v3, 24
	v_mul_hi_u32 v8, v2, 24
	v_mul_lo_u32 v9, v2, 24
	s_waitcnt vmcnt(1)
	v_mov_b32_e32 v2, v6
	v_add_u32_e32 v3, v8, v3
	s_waitcnt vmcnt(0)
	v_add_co_u32_e32 v4, vcc, v4, v9
	v_addc_co_u32_e32 v5, vcc, v5, v3, vcc
	global_store_dwordx2 v[4:5], v[6:7], off
	v_mov_b32_e32 v3, v7
	s_waitcnt vmcnt(0)
	global_atomic_cmpswap_x2 v[2:3], v50, v[0:3], s[28:29] offset:24 glc
	s_waitcnt vmcnt(0)
	v_cmp_ne_u64_e32 vcc, v[2:3], v[6:7]
	s_and_b64 exec, exec, vcc
	s_cbranch_execz .LBB4_1
; %bb.167:                              ;   in Loop: Header=BB4_2 Depth=1
	s_mov_b64 s[4:5], 0
.LBB4_168:                              ;   Parent Loop BB4_2 Depth=1
                                        ; =>  This Inner Loop Header: Depth=2
	s_sleep 1
	global_store_dwordx2 v[4:5], v[2:3], off
	s_waitcnt vmcnt(0)
	global_atomic_cmpswap_x2 v[6:7], v50, v[0:3], s[28:29] offset:24 glc
	s_waitcnt vmcnt(0)
	v_cmp_eq_u64_e32 vcc, v[6:7], v[2:3]
	v_mov_b32_e32 v2, v6
	s_or_b64 s[4:5], vcc, s[4:5]
	v_mov_b32_e32 v3, v7
	s_andn2_b64 exec, exec, s[4:5]
	s_cbranch_execnz .LBB4_168
	s_branch .LBB4_1
.LBB4_169:
	s_getpc_b64 s[34:35]
	s_add_u32 s34, s34, .str.8@rel32@lo+4
	s_addc_u32 s35, s35, .str.8@rel32@hi+12
	s_mov_b64 s[8:9], s[24:25]
	v_mov_b32_e32 v0, s34
	v_mov_b32_e32 v1, s35
	s_getpc_b64 s[36:37]
	s_add_u32 s36, s36, _ZNK8migraphx13basic_printerIZNS_4coutEvEUlT_E_ElsEPKc@rel32@lo+4
	s_addc_u32 s37, s37, _ZNK8migraphx13basic_printerIZNS_4coutEvEUlT_E_ElsEPKc@rel32@hi+12
	s_swappc_b64 s[30:31], s[36:37]
	s_getpc_b64 s[4:5]
	s_add_u32 s4, s4, .str.10@rel32@lo+4
	s_addc_u32 s5, s5, .str.10@rel32@hi+12
	s_mov_b64 s[8:9], s[24:25]
	v_mov_b32_e32 v0, s4
	v_mov_b32_e32 v1, s5
	s_swappc_b64 s[30:31], s[36:37]
	s_mov_b64 s[8:9], s[24:25]
	v_mov_b32_e32 v0, s34
	v_mov_b32_e32 v1, s35
	s_swappc_b64 s[30:31], s[36:37]
	flat_load_dwordx2 v[52:53], v[36:37] offset:8
	s_mov_b32 s35, 0
	v_mov_b32_e32 v38, 0
	s_mov_b32 s36, s35
	s_mov_b32 s37, s35
	;; [unrolled: 1-line block ×4, first 2 shown]
	s_movk_i32 s23, 0xff1f
	s_movk_i32 s40, 0xff1d
	v_mov_b32_e32 v50, 2
	v_mov_b32_e32 v51, 1
	;; [unrolled: 1-line block ×3, first 2 shown]
	s_mov_b32 s34, s35
	s_branch .LBB4_171
.LBB4_170:                              ;   in Loop: Header=BB4_171 Depth=1
	s_or_b64 exec, exec, s[8:9]
	s_add_i32 s34, s34, 1
	s_cmp_lg_u32 s34, 6
	s_cbranch_scc0 .LBB4_338
.LBB4_171:                              ; =>This Loop Header: Depth=1
                                        ;     Child Loop BB4_176 Depth 2
                                        ;     Child Loop BB4_184 Depth 2
	;; [unrolled: 1-line block ×9, first 2 shown]
                                        ;       Child Loop BB4_205 Depth 3
                                        ;       Child Loop BB4_212 Depth 3
	;; [unrolled: 1-line block ×11, first 2 shown]
                                        ;     Child Loop BB4_315 Depth 2
                                        ;     Child Loop BB4_323 Depth 2
	;; [unrolled: 1-line block ×4, first 2 shown]
	s_cmp_eq_u32 s34, 0
	s_cbranch_scc1 .LBB4_173
; %bb.172:                              ;   in Loop: Header=BB4_171 Depth=1
	s_getpc_b64 s[4:5]
	s_add_u32 s4, s4, .str.11@rel32@lo+4
	s_addc_u32 s5, s5, .str.11@rel32@hi+12
	s_mov_b64 s[8:9], s[24:25]
	v_mov_b32_e32 v0, s4
	v_mov_b32_e32 v1, s5
	s_getpc_b64 s[6:7]
	s_add_u32 s6, s6, _ZNK8migraphx13basic_printerIZNS_4coutEvEUlT_E_ElsEPKc@rel32@lo+4
	s_addc_u32 s7, s7, _ZNK8migraphx13basic_printerIZNS_4coutEvEUlT_E_ElsEPKc@rel32@hi+12
	s_swappc_b64 s[30:31], s[6:7]
.LBB4_173:                              ;   in Loop: Header=BB4_171 Depth=1
	s_lshl_b64 s[4:5], s[34:35], 2
	v_mov_b32_e32 v1, s5
	s_waitcnt vmcnt(0) lgkmcnt(0)
	v_add_co_u32_e32 v0, vcc, s4, v52
	v_addc_co_u32_e32 v1, vcc, v53, v1, vcc
	flat_load_dword v24, v[0:1]
	v_readfirstlane_b32 s4, v55
	v_mov_b32_e32 v4, 0
	v_mov_b32_e32 v5, 0
	v_cmp_eq_u32_e64 s[4:5], s4, v55
	s_and_saveexec_b64 s[6:7], s[4:5]
	s_cbranch_execz .LBB4_179
; %bb.174:                              ;   in Loop: Header=BB4_171 Depth=1
	global_load_dwordx2 v[2:3], v38, s[28:29] offset:24 glc
	s_waitcnt vmcnt(0)
	buffer_wbinvl1_vol
	global_load_dwordx2 v[0:1], v38, s[28:29] offset:40
	global_load_dwordx2 v[4:5], v38, s[28:29]
	s_waitcnt vmcnt(0)
	v_and_b32_e32 v0, v0, v2
	v_and_b32_e32 v1, v1, v3
	v_mul_lo_u32 v1, v1, 24
	v_mul_hi_u32 v6, v0, 24
	v_mul_lo_u32 v0, v0, 24
	v_add_u32_e32 v1, v6, v1
	v_add_co_u32_e32 v0, vcc, v4, v0
	v_addc_co_u32_e32 v1, vcc, v5, v1, vcc
	global_load_dwordx2 v[0:1], v[0:1], off glc
	s_waitcnt vmcnt(0)
	global_atomic_cmpswap_x2 v[4:5], v38, v[0:3], s[28:29] offset:24 glc
	s_waitcnt vmcnt(0)
	buffer_wbinvl1_vol
	v_cmp_ne_u64_e32 vcc, v[4:5], v[2:3]
	s_and_saveexec_b64 s[8:9], vcc
	s_cbranch_execz .LBB4_178
; %bb.175:                              ;   in Loop: Header=BB4_171 Depth=1
	s_mov_b64 s[10:11], 0
.LBB4_176:                              ;   Parent Loop BB4_171 Depth=1
                                        ; =>  This Inner Loop Header: Depth=2
	s_sleep 1
	global_load_dwordx2 v[0:1], v38, s[28:29] offset:40
	global_load_dwordx2 v[6:7], v38, s[28:29]
	v_mov_b32_e32 v2, v4
	v_mov_b32_e32 v3, v5
	s_waitcnt vmcnt(0)
	v_and_b32_e32 v0, v0, v2
	v_mad_u64_u32 v[4:5], s[12:13], v0, 24, v[6:7]
	v_and_b32_e32 v1, v1, v3
	v_mov_b32_e32 v0, v5
	v_mad_u64_u32 v[0:1], s[12:13], v1, 24, v[0:1]
	v_mov_b32_e32 v5, v0
	global_load_dwordx2 v[0:1], v[4:5], off glc
	s_waitcnt vmcnt(0)
	global_atomic_cmpswap_x2 v[4:5], v38, v[0:3], s[28:29] offset:24 glc
	s_waitcnt vmcnt(0)
	buffer_wbinvl1_vol
	v_cmp_eq_u64_e32 vcc, v[4:5], v[2:3]
	s_or_b64 s[10:11], vcc, s[10:11]
	s_andn2_b64 exec, exec, s[10:11]
	s_cbranch_execnz .LBB4_176
; %bb.177:                              ;   in Loop: Header=BB4_171 Depth=1
	s_or_b64 exec, exec, s[10:11]
.LBB4_178:                              ;   in Loop: Header=BB4_171 Depth=1
	s_or_b64 exec, exec, s[8:9]
.LBB4_179:                              ;   in Loop: Header=BB4_171 Depth=1
	s_or_b64 exec, exec, s[6:7]
	global_load_dwordx2 v[6:7], v38, s[28:29] offset:40
	global_load_dwordx4 v[0:3], v38, s[28:29]
	v_readfirstlane_b32 s6, v4
	v_readfirstlane_b32 s7, v5
	s_mov_b64 s[8:9], exec
	s_waitcnt vmcnt(0)
	v_readfirstlane_b32 s10, v6
	v_readfirstlane_b32 s11, v7
	s_and_b64 s[10:11], s[6:7], s[10:11]
	s_mul_i32 s12, s11, 24
	s_mul_hi_u32 s13, s10, 24
	s_mul_i32 s14, s10, 24
	s_add_i32 s12, s13, s12
	v_mov_b32_e32 v5, s12
	v_add_co_u32_e32 v4, vcc, s14, v0
	v_addc_co_u32_e32 v5, vcc, v1, v5, vcc
	s_and_saveexec_b64 s[12:13], s[4:5]
	s_cbranch_execz .LBB4_181
; %bb.180:                              ;   in Loop: Header=BB4_171 Depth=1
	v_mov_b32_e32 v49, s9
	v_mov_b32_e32 v48, s8
	global_store_dwordx4 v[4:5], v[48:51], off offset:8
.LBB4_181:                              ;   in Loop: Header=BB4_171 Depth=1
	s_or_b64 exec, exec, s[12:13]
	s_lshl_b64 s[8:9], s[10:11], 12
	v_mov_b32_e32 v6, s9
	v_add_co_u32_e32 v8, vcc, s8, v2
	v_addc_co_u32_e32 v9, vcc, v3, v6, vcc
	v_mov_b32_e32 v10, s36
	v_mov_b32_e32 v37, v38
	;; [unrolled: 1-line block ×3, first 2 shown]
	v_readfirstlane_b32 s8, v8
	v_readfirstlane_b32 s9, v9
	v_mov_b32_e32 v11, s37
	v_mov_b32_e32 v12, s38
	;; [unrolled: 1-line block ×3, first 2 shown]
	s_nop 1
	global_store_dwordx4 v40, v[36:39], s[8:9]
	global_store_dwordx4 v40, v[10:13], s[8:9] offset:16
	global_store_dwordx4 v40, v[10:13], s[8:9] offset:32
	;; [unrolled: 1-line block ×3, first 2 shown]
	s_and_saveexec_b64 s[8:9], s[4:5]
	s_cbranch_execz .LBB4_189
; %bb.182:                              ;   in Loop: Header=BB4_171 Depth=1
	global_load_dwordx2 v[12:13], v38, s[28:29] offset:32 glc
	global_load_dwordx2 v[2:3], v38, s[28:29] offset:40
	v_mov_b32_e32 v10, s6
	v_mov_b32_e32 v11, s7
	s_waitcnt vmcnt(0)
	v_readfirstlane_b32 s10, v2
	v_readfirstlane_b32 s11, v3
	s_and_b64 s[10:11], s[10:11], s[6:7]
	s_mul_i32 s11, s11, 24
	s_mul_hi_u32 s12, s10, 24
	s_mul_i32 s10, s10, 24
	s_add_i32 s11, s12, s11
	v_mov_b32_e32 v2, s11
	v_add_co_u32_e32 v6, vcc, s10, v0
	v_addc_co_u32_e32 v7, vcc, v1, v2, vcc
	global_store_dwordx2 v[6:7], v[12:13], off
	s_waitcnt vmcnt(0)
	global_atomic_cmpswap_x2 v[2:3], v38, v[10:13], s[28:29] offset:32 glc
	s_waitcnt vmcnt(0)
	v_cmp_ne_u64_e32 vcc, v[2:3], v[12:13]
	s_and_saveexec_b64 s[10:11], vcc
	s_cbranch_execz .LBB4_185
; %bb.183:                              ;   in Loop: Header=BB4_171 Depth=1
	s_mov_b64 s[12:13], 0
.LBB4_184:                              ;   Parent Loop BB4_171 Depth=1
                                        ; =>  This Inner Loop Header: Depth=2
	s_sleep 1
	global_store_dwordx2 v[6:7], v[2:3], off
	v_mov_b32_e32 v0, s6
	v_mov_b32_e32 v1, s7
	s_waitcnt vmcnt(0)
	global_atomic_cmpswap_x2 v[0:1], v38, v[0:3], s[28:29] offset:32 glc
	s_waitcnt vmcnt(0)
	v_cmp_eq_u64_e32 vcc, v[0:1], v[2:3]
	v_mov_b32_e32 v3, v1
	s_or_b64 s[12:13], vcc, s[12:13]
	v_mov_b32_e32 v2, v0
	s_andn2_b64 exec, exec, s[12:13]
	s_cbranch_execnz .LBB4_184
.LBB4_185:                              ;   in Loop: Header=BB4_171 Depth=1
	s_or_b64 exec, exec, s[10:11]
	global_load_dwordx2 v[0:1], v38, s[28:29] offset:16
	s_mov_b64 s[12:13], exec
	v_mbcnt_lo_u32_b32 v2, s12, 0
	v_mbcnt_hi_u32_b32 v2, s13, v2
	v_cmp_eq_u32_e32 vcc, 0, v2
	s_and_saveexec_b64 s[10:11], vcc
	s_cbranch_execz .LBB4_187
; %bb.186:                              ;   in Loop: Header=BB4_171 Depth=1
	s_bcnt1_i32_b64 s12, s[12:13]
	v_mov_b32_e32 v37, s12
	s_waitcnt vmcnt(0)
	global_atomic_add_x2 v[0:1], v[37:38], off offset:8
.LBB4_187:                              ;   in Loop: Header=BB4_171 Depth=1
	s_or_b64 exec, exec, s[10:11]
	s_waitcnt vmcnt(0)
	global_load_dwordx2 v[2:3], v[0:1], off offset:16
	s_waitcnt vmcnt(0)
	v_cmp_eq_u64_e32 vcc, 0, v[2:3]
	s_cbranch_vccnz .LBB4_189
; %bb.188:                              ;   in Loop: Header=BB4_171 Depth=1
	global_load_dword v37, v[0:1], off offset:24
	s_waitcnt vmcnt(0)
	v_and_b32_e32 v0, 0xffffff, v37
	v_readfirstlane_b32 m0, v0
	global_store_dwordx2 v[2:3], v[37:38], off
	s_sendmsg sendmsg(MSG_INTERRUPT)
.LBB4_189:                              ;   in Loop: Header=BB4_171 Depth=1
	s_or_b64 exec, exec, s[8:9]
	v_add_co_u32_e32 v0, vcc, v8, v40
	v_addc_co_u32_e32 v1, vcc, 0, v9, vcc
	s_branch .LBB4_193
.LBB4_190:                              ;   in Loop: Header=BB4_193 Depth=2
	s_or_b64 exec, exec, s[8:9]
	v_readfirstlane_b32 s8, v2
	s_cmp_eq_u32 s8, 0
	s_cbranch_scc1 .LBB4_192
; %bb.191:                              ;   in Loop: Header=BB4_193 Depth=2
	s_sleep 1
	s_cbranch_execnz .LBB4_193
	s_branch .LBB4_195
.LBB4_192:                              ;   in Loop: Header=BB4_171 Depth=1
	s_branch .LBB4_195
.LBB4_193:                              ;   Parent Loop BB4_171 Depth=1
                                        ; =>  This Inner Loop Header: Depth=2
	v_mov_b32_e32 v2, 1
	s_and_saveexec_b64 s[8:9], s[4:5]
	s_cbranch_execz .LBB4_190
; %bb.194:                              ;   in Loop: Header=BB4_193 Depth=2
	global_load_dword v2, v[4:5], off offset:20 glc
	s_waitcnt vmcnt(0)
	buffer_wbinvl1_vol
	v_and_b32_e32 v2, 1, v2
	s_branch .LBB4_190
.LBB4_195:                              ;   in Loop: Header=BB4_171 Depth=1
	global_load_dwordx2 v[0:1], v[0:1], off
	s_and_saveexec_b64 s[8:9], s[4:5]
	s_cbranch_execz .LBB4_199
; %bb.196:                              ;   in Loop: Header=BB4_171 Depth=1
	global_load_dwordx2 v[4:5], v38, s[28:29] offset:40
	global_load_dwordx2 v[8:9], v38, s[28:29] offset:24 glc
	global_load_dwordx2 v[6:7], v38, s[28:29]
	v_mov_b32_e32 v3, s7
	s_waitcnt vmcnt(0)
	v_add_co_u32_e32 v10, vcc, 1, v4
	v_addc_co_u32_e32 v11, vcc, 0, v5, vcc
	v_add_co_u32_e32 v2, vcc, s6, v10
	v_addc_co_u32_e32 v3, vcc, v11, v3, vcc
	v_cmp_eq_u64_e32 vcc, 0, v[2:3]
	v_cndmask_b32_e32 v3, v3, v11, vcc
	v_cndmask_b32_e32 v2, v2, v10, vcc
	v_and_b32_e32 v5, v3, v5
	v_and_b32_e32 v4, v2, v4
	v_mul_lo_u32 v5, v5, 24
	v_mul_hi_u32 v10, v4, 24
	v_mul_lo_u32 v11, v4, 24
	v_mov_b32_e32 v4, v8
	v_add_u32_e32 v5, v10, v5
	v_add_co_u32_e32 v6, vcc, v6, v11
	v_addc_co_u32_e32 v7, vcc, v7, v5, vcc
	global_store_dwordx2 v[6:7], v[8:9], off
	v_mov_b32_e32 v5, v9
	s_waitcnt vmcnt(0)
	global_atomic_cmpswap_x2 v[4:5], v38, v[2:5], s[28:29] offset:24 glc
	s_waitcnt vmcnt(0)
	v_cmp_ne_u64_e32 vcc, v[4:5], v[8:9]
	s_and_b64 exec, exec, vcc
	s_cbranch_execz .LBB4_199
; %bb.197:                              ;   in Loop: Header=BB4_171 Depth=1
	s_mov_b64 s[4:5], 0
.LBB4_198:                              ;   Parent Loop BB4_171 Depth=1
                                        ; =>  This Inner Loop Header: Depth=2
	s_sleep 1
	global_store_dwordx2 v[6:7], v[4:5], off
	s_waitcnt vmcnt(0)
	global_atomic_cmpswap_x2 v[8:9], v38, v[2:5], s[28:29] offset:24 glc
	s_waitcnt vmcnt(0)
	v_cmp_eq_u64_e32 vcc, v[8:9], v[4:5]
	v_mov_b32_e32 v4, v8
	s_or_b64 s[4:5], vcc, s[4:5]
	v_mov_b32_e32 v5, v9
	s_andn2_b64 exec, exec, s[4:5]
	s_cbranch_execnz .LBB4_198
.LBB4_199:                              ;   in Loop: Header=BB4_171 Depth=1
	s_or_b64 exec, exec, s[8:9]
	s_and_b64 vcc, exec, s[26:27]
	s_cbranch_vccz .LBB4_284
; %bb.200:                              ;   in Loop: Header=BB4_171 Depth=1
	s_waitcnt vmcnt(0)
	v_and_b32_e32 v25, 2, v0
	v_and_b32_e32 v2, -3, v0
	v_mov_b32_e32 v3, v1
	s_mov_b64 s[8:9], 4
	s_getpc_b64 s[6:7]
	s_add_u32 s6, s6, .str.7@rel32@lo+4
	s_addc_u32 s7, s7, .str.7@rel32@hi+12
	s_branch .LBB4_202
.LBB4_201:                              ;   in Loop: Header=BB4_202 Depth=2
	s_or_b64 exec, exec, s[14:15]
	s_sub_u32 s8, s8, s10
	s_subb_u32 s9, s9, s11
	s_add_u32 s6, s6, s10
	s_addc_u32 s7, s7, s11
	s_cmp_lg_u64 s[8:9], 0
	s_cbranch_scc0 .LBB4_283
.LBB4_202:                              ;   Parent Loop BB4_171 Depth=1
                                        ; =>  This Loop Header: Depth=2
                                        ;       Child Loop BB4_205 Depth 3
                                        ;       Child Loop BB4_212 Depth 3
	;; [unrolled: 1-line block ×11, first 2 shown]
	v_cmp_lt_u64_e64 s[4:5], s[8:9], 56
	v_cmp_gt_u64_e64 s[12:13], s[8:9], 7
	s_and_b64 s[4:5], s[4:5], exec
	s_cselect_b32 s11, s9, 0
	s_cselect_b32 s10, s8, 56
	s_and_b64 vcc, exec, s[12:13]
	s_cbranch_vccnz .LBB4_207
; %bb.203:                              ;   in Loop: Header=BB4_202 Depth=2
	s_waitcnt vmcnt(0)
	v_mov_b32_e32 v4, 0
	s_cmp_eq_u64 s[8:9], 0
	v_mov_b32_e32 v5, 0
	s_mov_b64 s[4:5], 0
	s_cbranch_scc1 .LBB4_206
; %bb.204:                              ;   in Loop: Header=BB4_202 Depth=2
	v_mov_b32_e32 v4, 0
	s_lshl_b64 s[12:13], s[10:11], 3
	s_mov_b64 s[14:15], 0
	v_mov_b32_e32 v5, 0
	s_mov_b64 s[16:17], s[6:7]
.LBB4_205:                              ;   Parent Loop BB4_171 Depth=1
                                        ;     Parent Loop BB4_202 Depth=2
                                        ; =>    This Inner Loop Header: Depth=3
	global_load_ubyte v6, v38, s[16:17]
	s_waitcnt vmcnt(0)
	v_and_b32_e32 v37, 0xffff, v6
	v_lshlrev_b64 v[6:7], s14, v[37:38]
	s_add_u32 s14, s14, 8
	s_addc_u32 s15, s15, 0
	s_add_u32 s16, s16, 1
	s_addc_u32 s17, s17, 0
	v_or_b32_e32 v4, v6, v4
	s_cmp_lg_u32 s12, s14
	v_or_b32_e32 v5, v7, v5
	s_cbranch_scc1 .LBB4_205
.LBB4_206:                              ;   in Loop: Header=BB4_202 Depth=2
	s_mov_b32 s16, 0
	s_andn2_b64 vcc, exec, s[4:5]
	s_mov_b64 s[4:5], s[6:7]
	s_cbranch_vccz .LBB4_208
	s_branch .LBB4_209
.LBB4_207:                              ;   in Loop: Header=BB4_202 Depth=2
                                        ; implicit-def: $vgpr4_vgpr5
                                        ; implicit-def: $sgpr16
	s_mov_b64 s[4:5], s[6:7]
.LBB4_208:                              ;   in Loop: Header=BB4_202 Depth=2
	global_load_dwordx2 v[4:5], v38, s[6:7]
	s_add_i32 s16, s10, -8
	s_add_u32 s4, s6, 8
	s_addc_u32 s5, s7, 0
.LBB4_209:                              ;   in Loop: Header=BB4_202 Depth=2
	s_cmp_gt_u32 s16, 7
	s_cbranch_scc1 .LBB4_213
; %bb.210:                              ;   in Loop: Header=BB4_202 Depth=2
	s_cmp_eq_u32 s16, 0
	s_cbranch_scc1 .LBB4_214
; %bb.211:                              ;   in Loop: Header=BB4_202 Depth=2
	v_mov_b32_e32 v6, 0
	s_mov_b64 s[12:13], 0
	v_mov_b32_e32 v7, 0
	s_mov_b64 s[14:15], 0
.LBB4_212:                              ;   Parent Loop BB4_171 Depth=1
                                        ;     Parent Loop BB4_202 Depth=2
                                        ; =>    This Inner Loop Header: Depth=3
	s_add_u32 s18, s4, s14
	s_addc_u32 s19, s5, s15
	global_load_ubyte v8, v38, s[18:19]
	s_add_u32 s14, s14, 1
	s_addc_u32 s15, s15, 0
	s_waitcnt vmcnt(0)
	v_and_b32_e32 v37, 0xffff, v8
	v_lshlrev_b64 v[8:9], s12, v[37:38]
	s_add_u32 s12, s12, 8
	s_addc_u32 s13, s13, 0
	v_or_b32_e32 v6, v8, v6
	s_cmp_lg_u32 s16, s14
	v_or_b32_e32 v7, v9, v7
	s_cbranch_scc1 .LBB4_212
	s_branch .LBB4_215
.LBB4_213:                              ;   in Loop: Header=BB4_202 Depth=2
                                        ; implicit-def: $vgpr6_vgpr7
                                        ; implicit-def: $sgpr17
	s_branch .LBB4_216
.LBB4_214:                              ;   in Loop: Header=BB4_202 Depth=2
	v_mov_b32_e32 v6, 0
	v_mov_b32_e32 v7, 0
.LBB4_215:                              ;   in Loop: Header=BB4_202 Depth=2
	s_mov_b32 s17, 0
	s_cbranch_execnz .LBB4_217
.LBB4_216:                              ;   in Loop: Header=BB4_202 Depth=2
	global_load_dwordx2 v[6:7], v38, s[4:5]
	s_add_i32 s17, s16, -8
	s_add_u32 s4, s4, 8
	s_addc_u32 s5, s5, 0
.LBB4_217:                              ;   in Loop: Header=BB4_202 Depth=2
	s_cmp_gt_u32 s17, 7
	s_cbranch_scc1 .LBB4_221
; %bb.218:                              ;   in Loop: Header=BB4_202 Depth=2
	s_cmp_eq_u32 s17, 0
	s_cbranch_scc1 .LBB4_222
; %bb.219:                              ;   in Loop: Header=BB4_202 Depth=2
	v_mov_b32_e32 v8, 0
	s_mov_b64 s[12:13], 0
	v_mov_b32_e32 v9, 0
	s_mov_b64 s[14:15], 0
.LBB4_220:                              ;   Parent Loop BB4_171 Depth=1
                                        ;     Parent Loop BB4_202 Depth=2
                                        ; =>    This Inner Loop Header: Depth=3
	s_add_u32 s18, s4, s14
	s_addc_u32 s19, s5, s15
	global_load_ubyte v10, v38, s[18:19]
	s_add_u32 s14, s14, 1
	s_addc_u32 s15, s15, 0
	s_waitcnt vmcnt(0)
	v_and_b32_e32 v37, 0xffff, v10
	v_lshlrev_b64 v[10:11], s12, v[37:38]
	s_add_u32 s12, s12, 8
	s_addc_u32 s13, s13, 0
	v_or_b32_e32 v8, v10, v8
	s_cmp_lg_u32 s17, s14
	v_or_b32_e32 v9, v11, v9
	s_cbranch_scc1 .LBB4_220
	s_branch .LBB4_223
.LBB4_221:                              ;   in Loop: Header=BB4_202 Depth=2
                                        ; implicit-def: $sgpr16
	s_branch .LBB4_224
.LBB4_222:                              ;   in Loop: Header=BB4_202 Depth=2
	v_mov_b32_e32 v8, 0
	v_mov_b32_e32 v9, 0
.LBB4_223:                              ;   in Loop: Header=BB4_202 Depth=2
	s_mov_b32 s16, 0
	s_cbranch_execnz .LBB4_225
.LBB4_224:                              ;   in Loop: Header=BB4_202 Depth=2
	global_load_dwordx2 v[8:9], v38, s[4:5]
	s_add_i32 s16, s17, -8
	s_add_u32 s4, s4, 8
	s_addc_u32 s5, s5, 0
.LBB4_225:                              ;   in Loop: Header=BB4_202 Depth=2
	s_cmp_gt_u32 s16, 7
	s_cbranch_scc1 .LBB4_229
; %bb.226:                              ;   in Loop: Header=BB4_202 Depth=2
	s_cmp_eq_u32 s16, 0
	s_cbranch_scc1 .LBB4_230
; %bb.227:                              ;   in Loop: Header=BB4_202 Depth=2
	v_mov_b32_e32 v10, 0
	s_mov_b64 s[12:13], 0
	v_mov_b32_e32 v11, 0
	s_mov_b64 s[14:15], 0
.LBB4_228:                              ;   Parent Loop BB4_171 Depth=1
                                        ;     Parent Loop BB4_202 Depth=2
                                        ; =>    This Inner Loop Header: Depth=3
	s_add_u32 s18, s4, s14
	s_addc_u32 s19, s5, s15
	global_load_ubyte v12, v38, s[18:19]
	s_add_u32 s14, s14, 1
	s_addc_u32 s15, s15, 0
	s_waitcnt vmcnt(0)
	v_and_b32_e32 v37, 0xffff, v12
	v_lshlrev_b64 v[12:13], s12, v[37:38]
	s_add_u32 s12, s12, 8
	s_addc_u32 s13, s13, 0
	v_or_b32_e32 v10, v12, v10
	s_cmp_lg_u32 s16, s14
	v_or_b32_e32 v11, v13, v11
	s_cbranch_scc1 .LBB4_228
	s_branch .LBB4_231
.LBB4_229:                              ;   in Loop: Header=BB4_202 Depth=2
                                        ; implicit-def: $vgpr10_vgpr11
                                        ; implicit-def: $sgpr17
	s_branch .LBB4_232
.LBB4_230:                              ;   in Loop: Header=BB4_202 Depth=2
	v_mov_b32_e32 v10, 0
	v_mov_b32_e32 v11, 0
.LBB4_231:                              ;   in Loop: Header=BB4_202 Depth=2
	s_mov_b32 s17, 0
	s_cbranch_execnz .LBB4_233
.LBB4_232:                              ;   in Loop: Header=BB4_202 Depth=2
	global_load_dwordx2 v[10:11], v38, s[4:5]
	s_add_i32 s17, s16, -8
	s_add_u32 s4, s4, 8
	s_addc_u32 s5, s5, 0
.LBB4_233:                              ;   in Loop: Header=BB4_202 Depth=2
	s_cmp_gt_u32 s17, 7
	s_cbranch_scc1 .LBB4_237
; %bb.234:                              ;   in Loop: Header=BB4_202 Depth=2
	s_cmp_eq_u32 s17, 0
	s_cbranch_scc1 .LBB4_238
; %bb.235:                              ;   in Loop: Header=BB4_202 Depth=2
	v_mov_b32_e32 v12, 0
	s_mov_b64 s[12:13], 0
	v_mov_b32_e32 v13, 0
	s_mov_b64 s[14:15], 0
.LBB4_236:                              ;   Parent Loop BB4_171 Depth=1
                                        ;     Parent Loop BB4_202 Depth=2
                                        ; =>    This Inner Loop Header: Depth=3
	s_add_u32 s18, s4, s14
	s_addc_u32 s19, s5, s15
	global_load_ubyte v14, v38, s[18:19]
	s_add_u32 s14, s14, 1
	s_addc_u32 s15, s15, 0
	s_waitcnt vmcnt(0)
	v_and_b32_e32 v37, 0xffff, v14
	v_lshlrev_b64 v[14:15], s12, v[37:38]
	s_add_u32 s12, s12, 8
	s_addc_u32 s13, s13, 0
	v_or_b32_e32 v12, v14, v12
	s_cmp_lg_u32 s17, s14
	v_or_b32_e32 v13, v15, v13
	s_cbranch_scc1 .LBB4_236
	s_branch .LBB4_239
.LBB4_237:                              ;   in Loop: Header=BB4_202 Depth=2
                                        ; implicit-def: $sgpr16
	s_branch .LBB4_240
.LBB4_238:                              ;   in Loop: Header=BB4_202 Depth=2
	v_mov_b32_e32 v12, 0
	v_mov_b32_e32 v13, 0
.LBB4_239:                              ;   in Loop: Header=BB4_202 Depth=2
	s_mov_b32 s16, 0
	s_cbranch_execnz .LBB4_241
.LBB4_240:                              ;   in Loop: Header=BB4_202 Depth=2
	global_load_dwordx2 v[12:13], v38, s[4:5]
	s_add_i32 s16, s17, -8
	s_add_u32 s4, s4, 8
	s_addc_u32 s5, s5, 0
.LBB4_241:                              ;   in Loop: Header=BB4_202 Depth=2
	s_cmp_gt_u32 s16, 7
	s_cbranch_scc1 .LBB4_245
; %bb.242:                              ;   in Loop: Header=BB4_202 Depth=2
	s_cmp_eq_u32 s16, 0
	s_cbranch_scc1 .LBB4_246
; %bb.243:                              ;   in Loop: Header=BB4_202 Depth=2
	v_mov_b32_e32 v14, 0
	s_mov_b64 s[12:13], 0
	v_mov_b32_e32 v15, 0
	s_mov_b64 s[14:15], 0
.LBB4_244:                              ;   Parent Loop BB4_171 Depth=1
                                        ;     Parent Loop BB4_202 Depth=2
                                        ; =>    This Inner Loop Header: Depth=3
	s_add_u32 s18, s4, s14
	s_addc_u32 s19, s5, s15
	global_load_ubyte v16, v38, s[18:19]
	s_add_u32 s14, s14, 1
	s_addc_u32 s15, s15, 0
	s_waitcnt vmcnt(0)
	v_and_b32_e32 v37, 0xffff, v16
	v_lshlrev_b64 v[16:17], s12, v[37:38]
	s_add_u32 s12, s12, 8
	s_addc_u32 s13, s13, 0
	v_or_b32_e32 v14, v16, v14
	s_cmp_lg_u32 s16, s14
	v_or_b32_e32 v15, v17, v15
	s_cbranch_scc1 .LBB4_244
	s_branch .LBB4_247
.LBB4_245:                              ;   in Loop: Header=BB4_202 Depth=2
                                        ; implicit-def: $vgpr14_vgpr15
                                        ; implicit-def: $sgpr17
	s_branch .LBB4_248
.LBB4_246:                              ;   in Loop: Header=BB4_202 Depth=2
	v_mov_b32_e32 v14, 0
	v_mov_b32_e32 v15, 0
.LBB4_247:                              ;   in Loop: Header=BB4_202 Depth=2
	s_mov_b32 s17, 0
	s_cbranch_execnz .LBB4_249
.LBB4_248:                              ;   in Loop: Header=BB4_202 Depth=2
	global_load_dwordx2 v[14:15], v38, s[4:5]
	s_add_i32 s17, s16, -8
	s_add_u32 s4, s4, 8
	s_addc_u32 s5, s5, 0
.LBB4_249:                              ;   in Loop: Header=BB4_202 Depth=2
	s_cmp_gt_u32 s17, 7
	s_cbranch_scc1 .LBB4_253
; %bb.250:                              ;   in Loop: Header=BB4_202 Depth=2
	s_cmp_eq_u32 s17, 0
	s_cbranch_scc1 .LBB4_254
; %bb.251:                              ;   in Loop: Header=BB4_202 Depth=2
	v_mov_b32_e32 v16, 0
	s_mov_b64 s[12:13], 0
	v_mov_b32_e32 v17, 0
	s_mov_b64 s[14:15], s[4:5]
.LBB4_252:                              ;   Parent Loop BB4_171 Depth=1
                                        ;     Parent Loop BB4_202 Depth=2
                                        ; =>    This Inner Loop Header: Depth=3
	global_load_ubyte v18, v38, s[14:15]
	s_add_i32 s17, s17, -1
	s_waitcnt vmcnt(0)
	v_and_b32_e32 v37, 0xffff, v18
	v_lshlrev_b64 v[18:19], s12, v[37:38]
	s_add_u32 s12, s12, 8
	s_addc_u32 s13, s13, 0
	s_add_u32 s14, s14, 1
	s_addc_u32 s15, s15, 0
	v_or_b32_e32 v16, v18, v16
	s_cmp_lg_u32 s17, 0
	v_or_b32_e32 v17, v19, v17
	s_cbranch_scc1 .LBB4_252
	s_branch .LBB4_255
.LBB4_253:                              ;   in Loop: Header=BB4_202 Depth=2
	s_branch .LBB4_256
.LBB4_254:                              ;   in Loop: Header=BB4_202 Depth=2
	v_mov_b32_e32 v16, 0
	v_mov_b32_e32 v17, 0
.LBB4_255:                              ;   in Loop: Header=BB4_202 Depth=2
	s_cbranch_execnz .LBB4_257
.LBB4_256:                              ;   in Loop: Header=BB4_202 Depth=2
	global_load_dwordx2 v[16:17], v38, s[4:5]
.LBB4_257:                              ;   in Loop: Header=BB4_202 Depth=2
	v_readfirstlane_b32 s4, v55
	v_mov_b32_e32 v22, 0
	v_mov_b32_e32 v23, 0
	v_cmp_eq_u32_e64 s[4:5], s4, v55
	s_and_saveexec_b64 s[12:13], s[4:5]
	s_cbranch_execz .LBB4_263
; %bb.258:                              ;   in Loop: Header=BB4_202 Depth=2
	global_load_dwordx2 v[20:21], v38, s[28:29] offset:24 glc
	s_waitcnt vmcnt(0)
	buffer_wbinvl1_vol
	global_load_dwordx2 v[18:19], v38, s[28:29] offset:40
	global_load_dwordx2 v[22:23], v38, s[28:29]
	s_waitcnt vmcnt(0)
	v_and_b32_e32 v18, v18, v20
	v_and_b32_e32 v19, v19, v21
	v_mul_lo_u32 v19, v19, 24
	v_mul_hi_u32 v26, v18, 24
	v_mul_lo_u32 v18, v18, 24
	v_add_u32_e32 v19, v26, v19
	v_add_co_u32_e32 v18, vcc, v22, v18
	v_addc_co_u32_e32 v19, vcc, v23, v19, vcc
	global_load_dwordx2 v[18:19], v[18:19], off glc
	s_waitcnt vmcnt(0)
	global_atomic_cmpswap_x2 v[22:23], v38, v[18:21], s[28:29] offset:24 glc
	s_waitcnt vmcnt(0)
	buffer_wbinvl1_vol
	v_cmp_ne_u64_e32 vcc, v[22:23], v[20:21]
	s_and_saveexec_b64 s[14:15], vcc
	s_cbranch_execz .LBB4_262
; %bb.259:                              ;   in Loop: Header=BB4_202 Depth=2
	s_mov_b64 s[16:17], 0
.LBB4_260:                              ;   Parent Loop BB4_171 Depth=1
                                        ;     Parent Loop BB4_202 Depth=2
                                        ; =>    This Inner Loop Header: Depth=3
	s_sleep 1
	global_load_dwordx2 v[18:19], v38, s[28:29] offset:40
	global_load_dwordx2 v[26:27], v38, s[28:29]
	v_mov_b32_e32 v20, v22
	v_mov_b32_e32 v21, v23
	s_waitcnt vmcnt(0)
	v_and_b32_e32 v18, v18, v20
	v_mad_u64_u32 v[22:23], s[18:19], v18, 24, v[26:27]
	v_and_b32_e32 v19, v19, v21
	v_mov_b32_e32 v18, v23
	v_mad_u64_u32 v[18:19], s[18:19], v19, 24, v[18:19]
	v_mov_b32_e32 v23, v18
	global_load_dwordx2 v[18:19], v[22:23], off glc
	s_waitcnt vmcnt(0)
	global_atomic_cmpswap_x2 v[22:23], v38, v[18:21], s[28:29] offset:24 glc
	s_waitcnt vmcnt(0)
	buffer_wbinvl1_vol
	v_cmp_eq_u64_e32 vcc, v[22:23], v[20:21]
	s_or_b64 s[16:17], vcc, s[16:17]
	s_andn2_b64 exec, exec, s[16:17]
	s_cbranch_execnz .LBB4_260
; %bb.261:                              ;   in Loop: Header=BB4_202 Depth=2
	s_or_b64 exec, exec, s[16:17]
.LBB4_262:                              ;   in Loop: Header=BB4_202 Depth=2
	s_or_b64 exec, exec, s[14:15]
.LBB4_263:                              ;   in Loop: Header=BB4_202 Depth=2
	s_or_b64 exec, exec, s[12:13]
	global_load_dwordx2 v[26:27], v38, s[28:29] offset:40
	global_load_dwordx4 v[18:21], v38, s[28:29]
	v_readfirstlane_b32 s12, v22
	v_readfirstlane_b32 s13, v23
	s_mov_b64 s[14:15], exec
	s_waitcnt vmcnt(0)
	v_readfirstlane_b32 s16, v26
	v_readfirstlane_b32 s17, v27
	s_and_b64 s[16:17], s[12:13], s[16:17]
	s_mul_i32 s18, s17, 24
	s_mul_hi_u32 s19, s16, 24
	s_mul_i32 s20, s16, 24
	s_add_i32 s18, s19, s18
	v_mov_b32_e32 v23, s18
	v_add_co_u32_e32 v22, vcc, s20, v18
	v_addc_co_u32_e32 v23, vcc, v19, v23, vcc
	s_and_saveexec_b64 s[18:19], s[4:5]
	s_cbranch_execz .LBB4_265
; %bb.264:                              ;   in Loop: Header=BB4_202 Depth=2
	v_mov_b32_e32 v49, s15
	v_mov_b32_e32 v48, s14
	global_store_dwordx4 v[22:23], v[48:51], off offset:8
.LBB4_265:                              ;   in Loop: Header=BB4_202 Depth=2
	s_or_b64 exec, exec, s[18:19]
	s_lshl_b64 s[14:15], s[16:17], 12
	v_mov_b32_e32 v26, s15
	v_add_co_u32_e32 v20, vcc, s14, v20
	v_addc_co_u32_e32 v21, vcc, v21, v26, vcc
	v_cmp_gt_u64_e64 vcc, s[8:9], 56
	v_or_b32_e32 v27, v2, v25
	s_lshl_b32 s14, s10, 2
	v_cndmask_b32_e32 v2, v27, v2, vcc
	s_add_i32 s14, s14, 28
	v_or_b32_e32 v26, 0, v3
	s_and_b32 s14, s14, 0x1e0
	v_and_b32_e32 v2, 0xffffff1f, v2
	v_cndmask_b32_e32 v3, v26, v3, vcc
	v_or_b32_e32 v2, s14, v2
	v_readfirstlane_b32 s14, v20
	v_readfirstlane_b32 s15, v21
	s_nop 4
	global_store_dwordx4 v40, v[2:5], s[14:15]
	global_store_dwordx4 v40, v[6:9], s[14:15] offset:16
	global_store_dwordx4 v40, v[10:13], s[14:15] offset:32
	;; [unrolled: 1-line block ×3, first 2 shown]
	s_and_saveexec_b64 s[14:15], s[4:5]
	s_cbranch_execz .LBB4_273
; %bb.266:                              ;   in Loop: Header=BB4_202 Depth=2
	global_load_dwordx2 v[10:11], v38, s[28:29] offset:32 glc
	global_load_dwordx2 v[2:3], v38, s[28:29] offset:40
	v_mov_b32_e32 v8, s12
	v_mov_b32_e32 v9, s13
	s_waitcnt vmcnt(0)
	v_readfirstlane_b32 s16, v2
	v_readfirstlane_b32 s17, v3
	s_and_b64 s[16:17], s[16:17], s[12:13]
	s_mul_i32 s17, s17, 24
	s_mul_hi_u32 s18, s16, 24
	s_mul_i32 s16, s16, 24
	s_add_i32 s17, s18, s17
	v_mov_b32_e32 v2, s17
	v_add_co_u32_e32 v6, vcc, s16, v18
	v_addc_co_u32_e32 v7, vcc, v19, v2, vcc
	global_store_dwordx2 v[6:7], v[10:11], off
	s_waitcnt vmcnt(0)
	global_atomic_cmpswap_x2 v[4:5], v38, v[8:11], s[28:29] offset:32 glc
	s_waitcnt vmcnt(0)
	v_cmp_ne_u64_e32 vcc, v[4:5], v[10:11]
	s_and_saveexec_b64 s[16:17], vcc
	s_cbranch_execz .LBB4_269
; %bb.267:                              ;   in Loop: Header=BB4_202 Depth=2
	s_mov_b64 s[18:19], 0
.LBB4_268:                              ;   Parent Loop BB4_171 Depth=1
                                        ;     Parent Loop BB4_202 Depth=2
                                        ; =>    This Inner Loop Header: Depth=3
	s_sleep 1
	global_store_dwordx2 v[6:7], v[4:5], off
	v_mov_b32_e32 v2, s12
	v_mov_b32_e32 v3, s13
	s_waitcnt vmcnt(0)
	global_atomic_cmpswap_x2 v[2:3], v38, v[2:5], s[28:29] offset:32 glc
	s_waitcnt vmcnt(0)
	v_cmp_eq_u64_e32 vcc, v[2:3], v[4:5]
	v_mov_b32_e32 v5, v3
	s_or_b64 s[18:19], vcc, s[18:19]
	v_mov_b32_e32 v4, v2
	s_andn2_b64 exec, exec, s[18:19]
	s_cbranch_execnz .LBB4_268
.LBB4_269:                              ;   in Loop: Header=BB4_202 Depth=2
	s_or_b64 exec, exec, s[16:17]
	global_load_dwordx2 v[2:3], v38, s[28:29] offset:16
	s_mov_b64 s[18:19], exec
	v_mbcnt_lo_u32_b32 v4, s18, 0
	v_mbcnt_hi_u32_b32 v4, s19, v4
	v_cmp_eq_u32_e32 vcc, 0, v4
	s_and_saveexec_b64 s[16:17], vcc
	s_cbranch_execz .LBB4_271
; %bb.270:                              ;   in Loop: Header=BB4_202 Depth=2
	s_bcnt1_i32_b64 s18, s[18:19]
	v_mov_b32_e32 v37, s18
	s_waitcnt vmcnt(0)
	global_atomic_add_x2 v[2:3], v[37:38], off offset:8
.LBB4_271:                              ;   in Loop: Header=BB4_202 Depth=2
	s_or_b64 exec, exec, s[16:17]
	s_waitcnt vmcnt(0)
	global_load_dwordx2 v[4:5], v[2:3], off offset:16
	s_waitcnt vmcnt(0)
	v_cmp_eq_u64_e32 vcc, 0, v[4:5]
	s_cbranch_vccnz .LBB4_273
; %bb.272:                              ;   in Loop: Header=BB4_202 Depth=2
	global_load_dword v37, v[2:3], off offset:24
	s_waitcnt vmcnt(0)
	v_and_b32_e32 v2, 0xffffff, v37
	v_readfirstlane_b32 m0, v2
	global_store_dwordx2 v[4:5], v[37:38], off
	s_sendmsg sendmsg(MSG_INTERRUPT)
.LBB4_273:                              ;   in Loop: Header=BB4_202 Depth=2
	s_or_b64 exec, exec, s[14:15]
	v_add_co_u32_e32 v2, vcc, v20, v40
	v_addc_co_u32_e32 v3, vcc, 0, v21, vcc
	s_branch .LBB4_277
.LBB4_274:                              ;   in Loop: Header=BB4_277 Depth=3
	s_or_b64 exec, exec, s[14:15]
	v_readfirstlane_b32 s14, v4
	s_cmp_eq_u32 s14, 0
	s_cbranch_scc1 .LBB4_276
; %bb.275:                              ;   in Loop: Header=BB4_277 Depth=3
	s_sleep 1
	s_cbranch_execnz .LBB4_277
	s_branch .LBB4_279
.LBB4_276:                              ;   in Loop: Header=BB4_202 Depth=2
	s_branch .LBB4_279
.LBB4_277:                              ;   Parent Loop BB4_171 Depth=1
                                        ;     Parent Loop BB4_202 Depth=2
                                        ; =>    This Inner Loop Header: Depth=3
	v_mov_b32_e32 v4, 1
	s_and_saveexec_b64 s[14:15], s[4:5]
	s_cbranch_execz .LBB4_274
; %bb.278:                              ;   in Loop: Header=BB4_277 Depth=3
	global_load_dword v4, v[22:23], off offset:20 glc
	s_waitcnt vmcnt(0)
	buffer_wbinvl1_vol
	v_and_b32_e32 v4, 1, v4
	s_branch .LBB4_274
.LBB4_279:                              ;   in Loop: Header=BB4_202 Depth=2
	global_load_dwordx4 v[2:5], v[2:3], off
	s_and_saveexec_b64 s[14:15], s[4:5]
	s_cbranch_execz .LBB4_201
; %bb.280:                              ;   in Loop: Header=BB4_202 Depth=2
	global_load_dwordx2 v[6:7], v38, s[28:29] offset:40
	global_load_dwordx2 v[10:11], v38, s[28:29] offset:24 glc
	global_load_dwordx2 v[8:9], v38, s[28:29]
	s_waitcnt vmcnt(0)
	v_mov_b32_e32 v5, s13
	v_add_co_u32_e32 v12, vcc, 1, v6
	v_addc_co_u32_e32 v13, vcc, 0, v7, vcc
	v_add_co_u32_e32 v4, vcc, s12, v12
	v_addc_co_u32_e32 v5, vcc, v13, v5, vcc
	v_cmp_eq_u64_e32 vcc, 0, v[4:5]
	v_cndmask_b32_e32 v5, v5, v13, vcc
	v_cndmask_b32_e32 v4, v4, v12, vcc
	v_and_b32_e32 v7, v5, v7
	v_and_b32_e32 v6, v4, v6
	v_mul_lo_u32 v7, v7, 24
	v_mul_hi_u32 v12, v6, 24
	v_mul_lo_u32 v13, v6, 24
	v_mov_b32_e32 v6, v10
	v_add_u32_e32 v7, v12, v7
	v_add_co_u32_e32 v8, vcc, v8, v13
	v_addc_co_u32_e32 v9, vcc, v9, v7, vcc
	global_store_dwordx2 v[8:9], v[10:11], off
	v_mov_b32_e32 v7, v11
	s_waitcnt vmcnt(0)
	global_atomic_cmpswap_x2 v[6:7], v38, v[4:7], s[28:29] offset:24 glc
	s_waitcnt vmcnt(0)
	v_cmp_ne_u64_e32 vcc, v[6:7], v[10:11]
	s_and_b64 exec, exec, vcc
	s_cbranch_execz .LBB4_201
; %bb.281:                              ;   in Loop: Header=BB4_202 Depth=2
	s_mov_b64 s[4:5], 0
.LBB4_282:                              ;   Parent Loop BB4_171 Depth=1
                                        ;     Parent Loop BB4_202 Depth=2
                                        ; =>    This Inner Loop Header: Depth=3
	s_sleep 1
	global_store_dwordx2 v[8:9], v[6:7], off
	s_waitcnt vmcnt(0)
	global_atomic_cmpswap_x2 v[10:11], v38, v[4:7], s[28:29] offset:24 glc
	s_waitcnt vmcnt(0)
	v_cmp_eq_u64_e32 vcc, v[10:11], v[6:7]
	v_mov_b32_e32 v6, v10
	s_or_b64 s[4:5], vcc, s[4:5]
	v_mov_b32_e32 v7, v11
	s_andn2_b64 exec, exec, s[4:5]
	s_cbranch_execnz .LBB4_282
	s_branch .LBB4_201
.LBB4_283:                              ;   in Loop: Header=BB4_171 Depth=1
	s_branch .LBB4_312
.LBB4_284:                              ;   in Loop: Header=BB4_171 Depth=1
                                        ; implicit-def: $vgpr2_vgpr3
	s_cbranch_execz .LBB4_312
; %bb.285:                              ;   in Loop: Header=BB4_171 Depth=1
	v_readfirstlane_b32 s4, v55
	s_waitcnt vmcnt(0)
	v_mov_b32_e32 v2, 0
	v_mov_b32_e32 v3, 0
	v_cmp_eq_u32_e64 s[4:5], s4, v55
	s_and_saveexec_b64 s[6:7], s[4:5]
	s_cbranch_execz .LBB4_291
; %bb.286:                              ;   in Loop: Header=BB4_171 Depth=1
	global_load_dwordx2 v[4:5], v38, s[28:29] offset:24 glc
	s_waitcnt vmcnt(0)
	buffer_wbinvl1_vol
	global_load_dwordx2 v[2:3], v38, s[28:29] offset:40
	global_load_dwordx2 v[6:7], v38, s[28:29]
	s_waitcnt vmcnt(0)
	v_and_b32_e32 v2, v2, v4
	v_and_b32_e32 v3, v3, v5
	v_mul_lo_u32 v3, v3, 24
	v_mul_hi_u32 v8, v2, 24
	v_mul_lo_u32 v2, v2, 24
	v_add_u32_e32 v3, v8, v3
	v_add_co_u32_e32 v2, vcc, v6, v2
	v_addc_co_u32_e32 v3, vcc, v7, v3, vcc
	global_load_dwordx2 v[2:3], v[2:3], off glc
	s_waitcnt vmcnt(0)
	global_atomic_cmpswap_x2 v[2:3], v38, v[2:5], s[28:29] offset:24 glc
	s_waitcnt vmcnt(0)
	buffer_wbinvl1_vol
	v_cmp_ne_u64_e32 vcc, v[2:3], v[4:5]
	s_and_saveexec_b64 s[8:9], vcc
	s_cbranch_execz .LBB4_290
; %bb.287:                              ;   in Loop: Header=BB4_171 Depth=1
	s_mov_b64 s[10:11], 0
.LBB4_288:                              ;   Parent Loop BB4_171 Depth=1
                                        ; =>  This Inner Loop Header: Depth=2
	s_sleep 1
	global_load_dwordx2 v[6:7], v38, s[28:29] offset:40
	global_load_dwordx2 v[8:9], v38, s[28:29]
	v_mov_b32_e32 v5, v3
	v_mov_b32_e32 v4, v2
	s_waitcnt vmcnt(0)
	v_and_b32_e32 v2, v6, v4
	v_mad_u64_u32 v[2:3], s[12:13], v2, 24, v[8:9]
	v_and_b32_e32 v6, v7, v5
	v_mad_u64_u32 v[6:7], s[12:13], v6, 24, v[3:4]
	v_mov_b32_e32 v3, v6
	global_load_dwordx2 v[2:3], v[2:3], off glc
	s_waitcnt vmcnt(0)
	global_atomic_cmpswap_x2 v[2:3], v38, v[2:5], s[28:29] offset:24 glc
	s_waitcnt vmcnt(0)
	buffer_wbinvl1_vol
	v_cmp_eq_u64_e32 vcc, v[2:3], v[4:5]
	s_or_b64 s[10:11], vcc, s[10:11]
	s_andn2_b64 exec, exec, s[10:11]
	s_cbranch_execnz .LBB4_288
; %bb.289:                              ;   in Loop: Header=BB4_171 Depth=1
	s_or_b64 exec, exec, s[10:11]
.LBB4_290:                              ;   in Loop: Header=BB4_171 Depth=1
	s_or_b64 exec, exec, s[8:9]
.LBB4_291:                              ;   in Loop: Header=BB4_171 Depth=1
	s_or_b64 exec, exec, s[6:7]
	global_load_dwordx2 v[8:9], v38, s[28:29] offset:40
	global_load_dwordx4 v[4:7], v38, s[28:29]
	v_readfirstlane_b32 s6, v2
	v_readfirstlane_b32 s7, v3
	s_mov_b64 s[8:9], exec
	s_waitcnt vmcnt(0)
	v_readfirstlane_b32 s10, v8
	v_readfirstlane_b32 s11, v9
	s_and_b64 s[10:11], s[6:7], s[10:11]
	s_mul_i32 s12, s11, 24
	s_mul_hi_u32 s13, s10, 24
	s_mul_i32 s14, s10, 24
	s_add_i32 s12, s13, s12
	v_mov_b32_e32 v2, s12
	v_add_co_u32_e32 v8, vcc, s14, v4
	v_addc_co_u32_e32 v9, vcc, v5, v2, vcc
	s_and_saveexec_b64 s[12:13], s[4:5]
	s_cbranch_execz .LBB4_293
; %bb.292:                              ;   in Loop: Header=BB4_171 Depth=1
	v_mov_b32_e32 v49, s9
	v_mov_b32_e32 v48, s8
	global_store_dwordx4 v[8:9], v[48:51], off offset:8
.LBB4_293:                              ;   in Loop: Header=BB4_171 Depth=1
	s_or_b64 exec, exec, s[12:13]
	s_lshl_b64 s[8:9], s[10:11], 12
	v_mov_b32_e32 v2, s9
	v_add_co_u32_e32 v6, vcc, s8, v6
	v_addc_co_u32_e32 v7, vcc, v7, v2, vcc
	v_and_or_b32 v0, v0, s23, 32
	v_mov_b32_e32 v2, v38
	v_mov_b32_e32 v3, v38
	v_readfirstlane_b32 s8, v6
	v_readfirstlane_b32 s9, v7
	s_nop 4
	global_store_dwordx4 v40, v[0:3], s[8:9]
	s_nop 0
	v_mov_b32_e32 v0, s36
	v_mov_b32_e32 v1, s37
	;; [unrolled: 1-line block ×4, first 2 shown]
	global_store_dwordx4 v40, v[0:3], s[8:9] offset:16
	global_store_dwordx4 v40, v[0:3], s[8:9] offset:32
	;; [unrolled: 1-line block ×3, first 2 shown]
	s_and_saveexec_b64 s[8:9], s[4:5]
	s_cbranch_execz .LBB4_301
; %bb.294:                              ;   in Loop: Header=BB4_171 Depth=1
	global_load_dwordx2 v[12:13], v38, s[28:29] offset:32 glc
	global_load_dwordx2 v[0:1], v38, s[28:29] offset:40
	v_mov_b32_e32 v10, s6
	v_mov_b32_e32 v11, s7
	s_waitcnt vmcnt(0)
	v_readfirstlane_b32 s10, v0
	v_readfirstlane_b32 s11, v1
	s_and_b64 s[10:11], s[10:11], s[6:7]
	s_mul_i32 s11, s11, 24
	s_mul_hi_u32 s12, s10, 24
	s_mul_i32 s10, s10, 24
	s_add_i32 s11, s12, s11
	v_mov_b32_e32 v0, s11
	v_add_co_u32_e32 v4, vcc, s10, v4
	v_addc_co_u32_e32 v5, vcc, v5, v0, vcc
	global_store_dwordx2 v[4:5], v[12:13], off
	s_waitcnt vmcnt(0)
	global_atomic_cmpswap_x2 v[2:3], v38, v[10:13], s[28:29] offset:32 glc
	s_waitcnt vmcnt(0)
	v_cmp_ne_u64_e32 vcc, v[2:3], v[12:13]
	s_and_saveexec_b64 s[10:11], vcc
	s_cbranch_execz .LBB4_297
; %bb.295:                              ;   in Loop: Header=BB4_171 Depth=1
	s_mov_b64 s[12:13], 0
.LBB4_296:                              ;   Parent Loop BB4_171 Depth=1
                                        ; =>  This Inner Loop Header: Depth=2
	s_sleep 1
	global_store_dwordx2 v[4:5], v[2:3], off
	v_mov_b32_e32 v0, s6
	v_mov_b32_e32 v1, s7
	s_waitcnt vmcnt(0)
	global_atomic_cmpswap_x2 v[0:1], v38, v[0:3], s[28:29] offset:32 glc
	s_waitcnt vmcnt(0)
	v_cmp_eq_u64_e32 vcc, v[0:1], v[2:3]
	v_mov_b32_e32 v3, v1
	s_or_b64 s[12:13], vcc, s[12:13]
	v_mov_b32_e32 v2, v0
	s_andn2_b64 exec, exec, s[12:13]
	s_cbranch_execnz .LBB4_296
.LBB4_297:                              ;   in Loop: Header=BB4_171 Depth=1
	s_or_b64 exec, exec, s[10:11]
	global_load_dwordx2 v[0:1], v38, s[28:29] offset:16
	s_mov_b64 s[12:13], exec
	v_mbcnt_lo_u32_b32 v2, s12, 0
	v_mbcnt_hi_u32_b32 v2, s13, v2
	v_cmp_eq_u32_e32 vcc, 0, v2
	s_and_saveexec_b64 s[10:11], vcc
	s_cbranch_execz .LBB4_299
; %bb.298:                              ;   in Loop: Header=BB4_171 Depth=1
	s_bcnt1_i32_b64 s12, s[12:13]
	v_mov_b32_e32 v37, s12
	s_waitcnt vmcnt(0)
	global_atomic_add_x2 v[0:1], v[37:38], off offset:8
.LBB4_299:                              ;   in Loop: Header=BB4_171 Depth=1
	s_or_b64 exec, exec, s[10:11]
	s_waitcnt vmcnt(0)
	global_load_dwordx2 v[2:3], v[0:1], off offset:16
	s_waitcnt vmcnt(0)
	v_cmp_eq_u64_e32 vcc, 0, v[2:3]
	s_cbranch_vccnz .LBB4_301
; %bb.300:                              ;   in Loop: Header=BB4_171 Depth=1
	global_load_dword v37, v[0:1], off offset:24
	s_waitcnt vmcnt(0)
	v_and_b32_e32 v0, 0xffffff, v37
	v_readfirstlane_b32 m0, v0
	global_store_dwordx2 v[2:3], v[37:38], off
	s_sendmsg sendmsg(MSG_INTERRUPT)
.LBB4_301:                              ;   in Loop: Header=BB4_171 Depth=1
	s_or_b64 exec, exec, s[8:9]
	v_add_co_u32_e32 v0, vcc, v6, v40
	v_addc_co_u32_e32 v1, vcc, 0, v7, vcc
	s_branch .LBB4_305
.LBB4_302:                              ;   in Loop: Header=BB4_305 Depth=2
	s_or_b64 exec, exec, s[8:9]
	v_readfirstlane_b32 s8, v2
	s_cmp_eq_u32 s8, 0
	s_cbranch_scc1 .LBB4_304
; %bb.303:                              ;   in Loop: Header=BB4_305 Depth=2
	s_sleep 1
	s_cbranch_execnz .LBB4_305
	s_branch .LBB4_307
.LBB4_304:                              ;   in Loop: Header=BB4_171 Depth=1
	s_branch .LBB4_307
.LBB4_305:                              ;   Parent Loop BB4_171 Depth=1
                                        ; =>  This Inner Loop Header: Depth=2
	v_mov_b32_e32 v2, 1
	s_and_saveexec_b64 s[8:9], s[4:5]
	s_cbranch_execz .LBB4_302
; %bb.306:                              ;   in Loop: Header=BB4_305 Depth=2
	global_load_dword v2, v[8:9], off offset:20 glc
	s_waitcnt vmcnt(0)
	buffer_wbinvl1_vol
	v_and_b32_e32 v2, 1, v2
	s_branch .LBB4_302
.LBB4_307:                              ;   in Loop: Header=BB4_171 Depth=1
	global_load_dwordx2 v[2:3], v[0:1], off
	s_and_saveexec_b64 s[8:9], s[4:5]
	s_cbranch_execz .LBB4_311
; %bb.308:                              ;   in Loop: Header=BB4_171 Depth=1
	global_load_dwordx2 v[0:1], v38, s[28:29] offset:40
	global_load_dwordx2 v[8:9], v38, s[28:29] offset:24 glc
	global_load_dwordx2 v[10:11], v38, s[28:29]
	v_mov_b32_e32 v5, s7
	s_waitcnt vmcnt(0)
	v_add_co_u32_e32 v6, vcc, 1, v0
	v_addc_co_u32_e32 v7, vcc, 0, v1, vcc
	v_add_co_u32_e32 v4, vcc, s6, v6
	v_addc_co_u32_e32 v5, vcc, v7, v5, vcc
	v_cmp_eq_u64_e32 vcc, 0, v[4:5]
	v_cndmask_b32_e32 v5, v5, v7, vcc
	v_cndmask_b32_e32 v4, v4, v6, vcc
	v_and_b32_e32 v1, v5, v1
	v_and_b32_e32 v0, v4, v0
	v_mul_lo_u32 v1, v1, 24
	v_mul_hi_u32 v7, v0, 24
	v_mul_lo_u32 v0, v0, 24
	v_mov_b32_e32 v6, v8
	v_add_u32_e32 v1, v7, v1
	v_add_co_u32_e32 v0, vcc, v10, v0
	v_addc_co_u32_e32 v1, vcc, v11, v1, vcc
	global_store_dwordx2 v[0:1], v[8:9], off
	v_mov_b32_e32 v7, v9
	s_waitcnt vmcnt(0)
	global_atomic_cmpswap_x2 v[6:7], v38, v[4:7], s[28:29] offset:24 glc
	s_waitcnt vmcnt(0)
	v_cmp_ne_u64_e32 vcc, v[6:7], v[8:9]
	s_and_b64 exec, exec, vcc
	s_cbranch_execz .LBB4_311
; %bb.309:                              ;   in Loop: Header=BB4_171 Depth=1
	s_mov_b64 s[4:5], 0
.LBB4_310:                              ;   Parent Loop BB4_171 Depth=1
                                        ; =>  This Inner Loop Header: Depth=2
	s_sleep 1
	global_store_dwordx2 v[0:1], v[6:7], off
	s_waitcnt vmcnt(0)
	global_atomic_cmpswap_x2 v[8:9], v38, v[4:7], s[28:29] offset:24 glc
	s_waitcnt vmcnt(0)
	v_cmp_eq_u64_e32 vcc, v[8:9], v[6:7]
	v_mov_b32_e32 v6, v8
	s_or_b64 s[4:5], vcc, s[4:5]
	v_mov_b32_e32 v7, v9
	s_andn2_b64 exec, exec, s[4:5]
	s_cbranch_execnz .LBB4_310
.LBB4_311:                              ;   in Loop: Header=BB4_171 Depth=1
	s_or_b64 exec, exec, s[8:9]
.LBB4_312:                              ;   in Loop: Header=BB4_171 Depth=1
	v_readfirstlane_b32 s4, v55
	s_waitcnt vmcnt(0)
	v_mov_b32_e32 v0, 0
	v_mov_b32_e32 v1, 0
	v_cmp_eq_u32_e64 s[4:5], s4, v55
	s_and_saveexec_b64 s[6:7], s[4:5]
	s_cbranch_execz .LBB4_318
; %bb.313:                              ;   in Loop: Header=BB4_171 Depth=1
	global_load_dwordx2 v[6:7], v38, s[28:29] offset:24 glc
	s_waitcnt vmcnt(0)
	buffer_wbinvl1_vol
	global_load_dwordx2 v[0:1], v38, s[28:29] offset:40
	global_load_dwordx2 v[4:5], v38, s[28:29]
	s_waitcnt vmcnt(0)
	v_and_b32_e32 v0, v0, v6
	v_and_b32_e32 v1, v1, v7
	v_mul_lo_u32 v1, v1, 24
	v_mul_hi_u32 v8, v0, 24
	v_mul_lo_u32 v0, v0, 24
	v_add_u32_e32 v1, v8, v1
	v_add_co_u32_e32 v0, vcc, v4, v0
	v_addc_co_u32_e32 v1, vcc, v5, v1, vcc
	global_load_dwordx2 v[4:5], v[0:1], off glc
	s_waitcnt vmcnt(0)
	global_atomic_cmpswap_x2 v[0:1], v38, v[4:7], s[28:29] offset:24 glc
	s_waitcnt vmcnt(0)
	buffer_wbinvl1_vol
	v_cmp_ne_u64_e32 vcc, v[0:1], v[6:7]
	s_and_saveexec_b64 s[8:9], vcc
	s_cbranch_execz .LBB4_317
; %bb.314:                              ;   in Loop: Header=BB4_171 Depth=1
	s_mov_b64 s[10:11], 0
.LBB4_315:                              ;   Parent Loop BB4_171 Depth=1
                                        ; =>  This Inner Loop Header: Depth=2
	s_sleep 1
	global_load_dwordx2 v[4:5], v38, s[28:29] offset:40
	global_load_dwordx2 v[8:9], v38, s[28:29]
	v_mov_b32_e32 v7, v1
	v_mov_b32_e32 v6, v0
	s_waitcnt vmcnt(0)
	v_and_b32_e32 v0, v4, v6
	v_mad_u64_u32 v[0:1], s[12:13], v0, 24, v[8:9]
	v_and_b32_e32 v4, v5, v7
	v_mad_u64_u32 v[4:5], s[12:13], v4, 24, v[1:2]
	v_mov_b32_e32 v1, v4
	global_load_dwordx2 v[4:5], v[0:1], off glc
	s_waitcnt vmcnt(0)
	global_atomic_cmpswap_x2 v[0:1], v38, v[4:7], s[28:29] offset:24 glc
	s_waitcnt vmcnt(0)
	buffer_wbinvl1_vol
	v_cmp_eq_u64_e32 vcc, v[0:1], v[6:7]
	s_or_b64 s[10:11], vcc, s[10:11]
	s_andn2_b64 exec, exec, s[10:11]
	s_cbranch_execnz .LBB4_315
; %bb.316:                              ;   in Loop: Header=BB4_171 Depth=1
	s_or_b64 exec, exec, s[10:11]
.LBB4_317:                              ;   in Loop: Header=BB4_171 Depth=1
	s_or_b64 exec, exec, s[8:9]
.LBB4_318:                              ;   in Loop: Header=BB4_171 Depth=1
	s_or_b64 exec, exec, s[6:7]
	global_load_dwordx2 v[4:5], v38, s[28:29] offset:40
	global_load_dwordx4 v[6:9], v38, s[28:29]
	v_readfirstlane_b32 s6, v0
	v_readfirstlane_b32 s7, v1
	s_mov_b64 s[8:9], exec
	s_waitcnt vmcnt(0)
	v_readfirstlane_b32 s10, v4
	v_readfirstlane_b32 s11, v5
	s_and_b64 s[10:11], s[6:7], s[10:11]
	s_mul_i32 s12, s11, 24
	s_mul_hi_u32 s13, s10, 24
	s_mul_i32 s14, s10, 24
	s_add_i32 s12, s13, s12
	v_mov_b32_e32 v0, s12
	v_add_co_u32_e32 v10, vcc, s14, v6
	v_addc_co_u32_e32 v11, vcc, v7, v0, vcc
	s_and_saveexec_b64 s[12:13], s[4:5]
	s_cbranch_execz .LBB4_320
; %bb.319:                              ;   in Loop: Header=BB4_171 Depth=1
	v_mov_b32_e32 v49, s9
	v_mov_b32_e32 v48, s8
	global_store_dwordx4 v[10:11], v[48:51], off offset:8
.LBB4_320:                              ;   in Loop: Header=BB4_171 Depth=1
	s_or_b64 exec, exec, s[12:13]
	s_lshl_b64 s[8:9], s[10:11], 12
	v_mov_b32_e32 v0, s9
	v_add_co_u32_e32 v1, vcc, s8, v8
	v_addc_co_u32_e32 v0, vcc, v9, v0, vcc
	v_and_or_b32 v2, v2, s40, 34
	s_waitcnt lgkmcnt(0)
	v_ashrrev_i32_e32 v5, 31, v24
	v_mov_b32_e32 v4, v24
	v_readfirstlane_b32 s8, v1
	v_readfirstlane_b32 s9, v0
	s_nop 4
	global_store_dwordx4 v40, v[2:5], s[8:9]
	v_mov_b32_e32 v0, s36
	v_mov_b32_e32 v1, s37
	;; [unrolled: 1-line block ×4, first 2 shown]
	global_store_dwordx4 v40, v[0:3], s[8:9] offset:16
	global_store_dwordx4 v40, v[0:3], s[8:9] offset:32
	global_store_dwordx4 v40, v[0:3], s[8:9] offset:48
	s_and_saveexec_b64 s[8:9], s[4:5]
	s_cbranch_execz .LBB4_328
; %bb.321:                              ;   in Loop: Header=BB4_171 Depth=1
	global_load_dwordx2 v[14:15], v38, s[28:29] offset:32 glc
	global_load_dwordx2 v[0:1], v38, s[28:29] offset:40
	v_mov_b32_e32 v12, s6
	v_mov_b32_e32 v13, s7
	s_waitcnt vmcnt(0)
	v_readfirstlane_b32 s10, v0
	v_readfirstlane_b32 s11, v1
	s_and_b64 s[10:11], s[10:11], s[6:7]
	s_mul_i32 s11, s11, 24
	s_mul_hi_u32 s12, s10, 24
	s_mul_i32 s10, s10, 24
	s_add_i32 s11, s12, s11
	v_mov_b32_e32 v0, s11
	v_add_co_u32_e32 v4, vcc, s10, v6
	v_addc_co_u32_e32 v5, vcc, v7, v0, vcc
	global_store_dwordx2 v[4:5], v[14:15], off
	s_waitcnt vmcnt(0)
	global_atomic_cmpswap_x2 v[2:3], v38, v[12:15], s[28:29] offset:32 glc
	s_waitcnt vmcnt(0)
	v_cmp_ne_u64_e32 vcc, v[2:3], v[14:15]
	s_and_saveexec_b64 s[10:11], vcc
	s_cbranch_execz .LBB4_324
; %bb.322:                              ;   in Loop: Header=BB4_171 Depth=1
	s_mov_b64 s[12:13], 0
.LBB4_323:                              ;   Parent Loop BB4_171 Depth=1
                                        ; =>  This Inner Loop Header: Depth=2
	s_sleep 1
	global_store_dwordx2 v[4:5], v[2:3], off
	v_mov_b32_e32 v0, s6
	v_mov_b32_e32 v1, s7
	s_waitcnt vmcnt(0)
	global_atomic_cmpswap_x2 v[0:1], v38, v[0:3], s[28:29] offset:32 glc
	s_waitcnt vmcnt(0)
	v_cmp_eq_u64_e32 vcc, v[0:1], v[2:3]
	v_mov_b32_e32 v3, v1
	s_or_b64 s[12:13], vcc, s[12:13]
	v_mov_b32_e32 v2, v0
	s_andn2_b64 exec, exec, s[12:13]
	s_cbranch_execnz .LBB4_323
.LBB4_324:                              ;   in Loop: Header=BB4_171 Depth=1
	s_or_b64 exec, exec, s[10:11]
	global_load_dwordx2 v[0:1], v38, s[28:29] offset:16
	s_mov_b64 s[12:13], exec
	v_mbcnt_lo_u32_b32 v2, s12, 0
	v_mbcnt_hi_u32_b32 v2, s13, v2
	v_cmp_eq_u32_e32 vcc, 0, v2
	s_and_saveexec_b64 s[10:11], vcc
	s_cbranch_execz .LBB4_326
; %bb.325:                              ;   in Loop: Header=BB4_171 Depth=1
	s_bcnt1_i32_b64 s12, s[12:13]
	v_mov_b32_e32 v37, s12
	s_waitcnt vmcnt(0)
	global_atomic_add_x2 v[0:1], v[37:38], off offset:8
.LBB4_326:                              ;   in Loop: Header=BB4_171 Depth=1
	s_or_b64 exec, exec, s[10:11]
	s_waitcnt vmcnt(0)
	global_load_dwordx2 v[2:3], v[0:1], off offset:16
	s_waitcnt vmcnt(0)
	v_cmp_eq_u64_e32 vcc, 0, v[2:3]
	s_cbranch_vccnz .LBB4_328
; %bb.327:                              ;   in Loop: Header=BB4_171 Depth=1
	global_load_dword v37, v[0:1], off offset:24
	s_waitcnt vmcnt(0)
	v_and_b32_e32 v0, 0xffffff, v37
	v_readfirstlane_b32 m0, v0
	global_store_dwordx2 v[2:3], v[37:38], off
	s_sendmsg sendmsg(MSG_INTERRUPT)
.LBB4_328:                              ;   in Loop: Header=BB4_171 Depth=1
	s_or_b64 exec, exec, s[8:9]
	s_branch .LBB4_332
.LBB4_329:                              ;   in Loop: Header=BB4_332 Depth=2
	s_or_b64 exec, exec, s[8:9]
	v_readfirstlane_b32 s8, v0
	s_cmp_eq_u32 s8, 0
	s_cbranch_scc1 .LBB4_331
; %bb.330:                              ;   in Loop: Header=BB4_332 Depth=2
	s_sleep 1
	s_cbranch_execnz .LBB4_332
	s_branch .LBB4_334
.LBB4_331:                              ;   in Loop: Header=BB4_171 Depth=1
	s_branch .LBB4_334
.LBB4_332:                              ;   Parent Loop BB4_171 Depth=1
                                        ; =>  This Inner Loop Header: Depth=2
	v_mov_b32_e32 v0, 1
	s_and_saveexec_b64 s[8:9], s[4:5]
	s_cbranch_execz .LBB4_329
; %bb.333:                              ;   in Loop: Header=BB4_332 Depth=2
	global_load_dword v0, v[10:11], off offset:20 glc
	s_waitcnt vmcnt(0)
	buffer_wbinvl1_vol
	v_and_b32_e32 v0, 1, v0
	s_branch .LBB4_329
.LBB4_334:                              ;   in Loop: Header=BB4_171 Depth=1
	s_and_saveexec_b64 s[8:9], s[4:5]
	s_cbranch_execz .LBB4_170
; %bb.335:                              ;   in Loop: Header=BB4_171 Depth=1
	global_load_dwordx2 v[2:3], v38, s[28:29] offset:40
	global_load_dwordx2 v[6:7], v38, s[28:29] offset:24 glc
	global_load_dwordx2 v[4:5], v38, s[28:29]
	v_mov_b32_e32 v1, s7
	s_waitcnt vmcnt(2)
	v_add_co_u32_e32 v8, vcc, 1, v2
	v_addc_co_u32_e32 v9, vcc, 0, v3, vcc
	v_add_co_u32_e32 v0, vcc, s6, v8
	v_addc_co_u32_e32 v1, vcc, v9, v1, vcc
	v_cmp_eq_u64_e32 vcc, 0, v[0:1]
	v_cndmask_b32_e32 v1, v1, v9, vcc
	v_cndmask_b32_e32 v0, v0, v8, vcc
	v_and_b32_e32 v3, v1, v3
	v_and_b32_e32 v2, v0, v2
	v_mul_lo_u32 v3, v3, 24
	v_mul_hi_u32 v8, v2, 24
	v_mul_lo_u32 v9, v2, 24
	s_waitcnt vmcnt(1)
	v_mov_b32_e32 v2, v6
	v_add_u32_e32 v3, v8, v3
	s_waitcnt vmcnt(0)
	v_add_co_u32_e32 v4, vcc, v4, v9
	v_addc_co_u32_e32 v5, vcc, v5, v3, vcc
	global_store_dwordx2 v[4:5], v[6:7], off
	v_mov_b32_e32 v3, v7
	s_waitcnt vmcnt(0)
	global_atomic_cmpswap_x2 v[2:3], v38, v[0:3], s[28:29] offset:24 glc
	s_waitcnt vmcnt(0)
	v_cmp_ne_u64_e32 vcc, v[2:3], v[6:7]
	s_and_b64 exec, exec, vcc
	s_cbranch_execz .LBB4_170
; %bb.336:                              ;   in Loop: Header=BB4_171 Depth=1
	s_mov_b64 s[4:5], 0
.LBB4_337:                              ;   Parent Loop BB4_171 Depth=1
                                        ; =>  This Inner Loop Header: Depth=2
	s_sleep 1
	global_store_dwordx2 v[4:5], v[2:3], off
	s_waitcnt vmcnt(0)
	global_atomic_cmpswap_x2 v[6:7], v38, v[0:3], s[28:29] offset:24 glc
	s_waitcnt vmcnt(0)
	v_cmp_eq_u64_e32 vcc, v[6:7], v[2:3]
	v_mov_b32_e32 v2, v6
	s_or_b64 s[4:5], vcc, s[4:5]
	v_mov_b32_e32 v3, v7
	s_andn2_b64 exec, exec, s[4:5]
	s_cbranch_execnz .LBB4_337
	s_branch .LBB4_170
.LBB4_338:
	v_readlane_b32 s30, v41, 0
	v_readlane_b32 s31, v41, 1
	;; [unrolled: 1-line block ×3, first 2 shown]
	s_or_saveexec_b64 s[6:7], -1
	buffer_load_dword v41, off, s[0:3], s33 ; 4-byte Folded Reload
	s_mov_b64 exec, s[6:7]
	s_addk_i32 s32, 0xfc00
	s_mov_b32 s33, s4
	s_waitcnt vmcnt(0) lgkmcnt(0)
	s_setpc_b64 s[30:31]
.Lfunc_end4:
	.size	_ZN8migraphx4testlsIKNS_13basic_printerIZNS_4coutEvEUlT_E_EEEERS3_S7_RKNS0_10expressionINS0_14lhs_expressionIRNS_5arrayIiLj6EEENS0_3nopEEESC_NS0_5equalEEE, .Lfunc_end4-_ZN8migraphx4testlsIKNS_13basic_printerIZNS_4coutEvEUlT_E_EEEERS3_S7_RKNS0_10expressionINS0_14lhs_expressionIRNS_5arrayIiLj6EEENS0_3nopEEESC_NS0_5equalEEE
                                        ; -- End function
	.section	.AMDGPU.csdata,"",@progbits
; Function info:
; codeLenInByte = 11708
; NumSgprs: 45
; NumVgprs: 56
; ScratchSize: 16
; MemoryBound: 0
	.text
	.p2align	2                               ; -- Begin function _ZL19merge_reverse_orderRN8migraphx4test12test_managerE
	.type	_ZL19merge_reverse_orderRN8migraphx4test12test_managerE,@function
_ZL19merge_reverse_orderRN8migraphx4test12test_managerE: ; @_ZL19merge_reverse_orderRN8migraphx4test12test_managerE
; %bb.0:
	s_waitcnt vmcnt(0) expcnt(0) lgkmcnt(0)
	s_mov_b32 s4, s33
	s_mov_b32 s33, s32
	s_or_saveexec_b64 s[6:7], -1
	buffer_store_dword v44, off, s[0:3], s33 offset:88 ; 4-byte Folded Spill
	s_mov_b64 exec, s[6:7]
	v_writelane_b32 v44, s4, 2
	v_writelane_b32 v44, s30, 0
	s_addk_i32 s32, 0x1800
	v_writelane_b32 v44, s31, 1
	v_mov_b32_e32 v42, v0
	v_mov_b32_e32 v0, 6
	buffer_store_dword v0, off, s[0:3], s33
	v_mov_b32_e32 v0, 4
	buffer_store_dword v0, off, s[0:3], s33 offset:4
	v_mov_b32_e32 v0, 2
	buffer_store_dword v0, off, s[0:3], s33 offset:8
	;; [unrolled: 2-line block ×3, first 2 shown]
	v_mov_b32_e32 v0, 3
	v_lshrrev_b32_e64 v3, 6, s33
	v_mov_b32_e32 v43, v1
	buffer_store_dword v0, off, s[0:3], s33 offset:16
	v_mov_b32_e32 v0, 1
	v_mov_b32_e32 v2, 0
	v_add_u32_e32 v3, 24, v3
	s_mov_b64 s[4:5], 0
	v_mov_b32_e32 v4, 0
	buffer_store_dword v0, off, s[0:3], s33 offset:20
	buffer_store_dword v2, off, s[0:3], s33 offset:24
	;; [unrolled: 1-line block ×7, first 2 shown]
                                        ; implicit-def: $sgpr6_sgpr7
                                        ; implicit-def: $sgpr16_sgpr17
                                        ; implicit-def: $sgpr10_sgpr11
	s_branch .LBB5_2
.LBB5_1:                                ;   in Loop: Header=BB5_2 Depth=1
	s_or_b64 exec, exec, s[18:19]
	s_and_b64 s[18:19], exec, s[16:17]
	s_or_b64 s[4:5], s[18:19], s[4:5]
	s_andn2_b64 s[6:7], s[6:7], exec
	s_and_b64 s[18:19], s[10:11], exec
	s_or_b64 s[6:7], s[6:7], s[18:19]
	s_andn2_b64 exec, exec, s[4:5]
	s_cbranch_execz .LBB5_4
.LBB5_2:                                ; =>This Inner Loop Header: Depth=1
	v_mov_b32_e32 v1, v4
	v_mov_b32_e32 v0, v3
	v_cmp_ne_u32_e32 vcc, 12, v2
	s_or_b64 s[10:11], s[10:11], exec
	s_or_b64 s[16:17], s[16:17], exec
                                        ; implicit-def: $vgpr4
                                        ; implicit-def: $vgpr3
	s_and_saveexec_b64 s[18:19], vcc
	s_cbranch_execz .LBB5_1
; %bb.3:                                ;   in Loop: Header=BB5_2 Depth=1
	v_lshrrev_b32_e64 v5, 6, s33
	v_lshrrev_b32_e64 v4, 6, s33
	v_add_u32_e32 v5, 12, v5
	v_add_u32_e32 v3, v4, v1
	;; [unrolled: 1-line block ×3, first 2 shown]
	buffer_load_dword v5, v4, s[0:3], 0 offen
	buffer_load_dword v6, v3, s[0:3], 0 offen
	s_andn2_b64 s[16:17], s[16:17], exec
	v_add_u32_e32 v3, 4, v0
	s_andn2_b64 s[10:11], s[10:11], exec
	s_waitcnt vmcnt(0)
	v_cmp_le_i32_e32 vcc, v5, v6
	v_cndmask_b32_e64 v4, 0, 1, vcc
	v_cmp_gt_i32_e32 vcc, v5, v6
	v_lshl_add_u32 v4, v4, 2, v1
	v_max_i32_e32 v7, v5, v6
	v_cndmask_b32_e64 v5, 0, 1, vcc
	v_cmp_eq_u32_e32 vcc, 12, v4
	s_and_b64 s[20:21], vcc, exec
	v_lshl_add_u32 v2, v5, 2, v2
	s_or_b64 s[16:17], s[16:17], s[20:21]
	buffer_store_dword v7, v0, s[0:3], 0 offen
	s_branch .LBB5_1
.LBB5_4:
	s_or_b64 exec, exec, s[4:5]
	s_xor_b64 s[4:5], s[6:7], -1
	s_and_saveexec_b64 s[6:7], s[4:5]
	s_xor_b64 s[4:5], exec, s[6:7]
	s_cbranch_execz .LBB5_9
; %bb.5:
	v_cmp_ne_u32_e32 vcc, 12, v2
	s_and_saveexec_b64 s[6:7], vcc
	s_cbranch_execz .LBB5_8
; %bb.6:
	v_lshrrev_b32_e64 v5, 6, s33
	v_add_u32_e32 v5, 12, v5
	v_add_u32_e32 v4, v5, v2
	v_sub_u32_e32 v2, 12, v2
	s_mov_b32 s15, 0
	s_mov_b64 s[10:11], 0
.LBB5_7:                                ; =>This Inner Loop Header: Depth=1
	v_add_u32_e32 v5, s15, v4
	buffer_load_dword v5, v5, s[0:3], 0 offen
	v_add_u32_e32 v6, s15, v3
	s_add_i32 s15, s15, 4
	v_cmp_eq_u32_e32 vcc, s15, v2
	s_or_b64 s[10:11], vcc, s[10:11]
	s_waitcnt vmcnt(0)
	buffer_store_dword v5, v6, s[0:3], 0 offen
	s_andn2_b64 exec, exec, s[10:11]
	s_cbranch_execnz .LBB5_7
.LBB5_8:
	s_or_b64 exec, exec, s[6:7]
.LBB5_9:
	s_andn2_saveexec_b64 s[4:5], s[4:5]
	s_cbranch_execz .LBB5_13
; %bb.10:
	v_lshrrev_b32_e64 v3, 6, s33
	v_add_u32_e32 v2, v3, v1
	v_sub_u32_e32 v1, 12, v1
	s_mov_b32 s10, 0
	s_mov_b64 s[6:7], 0
.LBB5_11:                               ; =>This Inner Loop Header: Depth=1
	v_add_u32_e32 v3, s10, v2
	buffer_load_dword v3, v3, s[0:3], 0 offen
	v_add_u32_e32 v4, s10, v0
	s_add_i32 s10, s10, 4
	v_cmp_eq_u32_e32 vcc, s10, v1
	s_or_b64 s[6:7], vcc, s[6:7]
	s_waitcnt vmcnt(0)
	buffer_store_dword v3, v4, s[0:3], 0 offen
	s_andn2_b64 exec, exec, s[6:7]
	s_cbranch_execnz .LBB5_11
; %bb.12:
	s_or_b64 exec, exec, s[6:7]
.LBB5_13:
	s_or_b64 exec, exec, s[4:5]
	buffer_load_dword v0, off, s[0:3], s33 offset:40
	buffer_load_dword v1, off, s[0:3], s33 offset:44
	;; [unrolled: 1-line block ×6, first 2 shown]
	s_mov_b64 s[4:5], src_private_base
	v_mov_b32_e32 v6, 6
	v_mov_b32_e32 v7, 5
	v_mov_b32_e32 v8, 4
	v_mov_b32_e32 v9, 3
	v_mov_b32_e32 v10, 2
	v_mov_b32_e32 v11, 1
	buffer_store_dword v6, off, s[0:3], s33 offset:48
	buffer_store_dword v7, off, s[0:3], s33 offset:52
	;; [unrolled: 1-line block ×6, first 2 shown]
	v_mov_b32_e32 v6, s5
	v_lshrrev_b32_e64 v12, 6, s33
	v_add_u32_e32 v12, 24, v12
	v_lshrrev_b32_e64 v13, 6, s33
	v_add_u32_e32 v13, 48, v13
	buffer_store_dword v12, off, s[0:3], s33 offset:72
	buffer_store_dword v13, off, s[0:3], s33 offset:80
	;; [unrolled: 1-line block ×4, first 2 shown]
	s_waitcnt vmcnt(15)
	v_cmp_ne_u32_e32 vcc, 2, v0
	s_waitcnt vmcnt(14)
	v_cmp_ne_u32_e64 s[4:5], 1, v1
	s_waitcnt vmcnt(13)
	v_cmp_ne_u32_e64 s[6:7], 4, v2
	v_cndmask_b32_e64 v0, 0, 1, s[6:7]
	s_waitcnt vmcnt(12)
	v_cmp_ne_u32_e64 s[6:7], 3, v3
	v_cndmask_b32_e64 v1, 0, 1, s[6:7]
	;; [unrolled: 3-line block ×4, first 2 shown]
	v_lshlrev_b16_e32 v0, 2, v0
	v_lshlrev_b16_e32 v1, 3, v1
	;; [unrolled: 1-line block ×3, first 2 shown]
	v_or_b32_e32 v0, v1, v0
	v_or_b32_e32 v1, v3, v2
	v_and_b32_e32 v1, 3, v1
	v_or_b32_e32 v0, v1, v0
	v_and_b32_e32 v0, 15, v0
	v_cmp_ne_u16_e64 s[6:7], 0, v0
	s_or_b64 s[6:7], s[6:7], vcc
	s_or_b64 s[4:5], s[6:7], s[4:5]
	s_and_saveexec_b64 s[6:7], s[4:5]
	s_xor_b64 s[44:45], exec, s[6:7]
	s_cbranch_execz .LBB5_1575
; %bb.14:
	v_and_b32_e32 v0, 0x3ff, v31
	v_cmp_eq_u32_e32 vcc, 0, v0
	s_and_saveexec_b64 s[46:47], vcc
	s_cbranch_execz .LBB5_1574
; %bb.15:
	s_load_dwordx2 s[6:7], s[8:9], 0x50
	v_mbcnt_lo_u32_b32 v0, -1, 0
	v_mbcnt_hi_u32_b32 v32, -1, v0
	v_readfirstlane_b32 s4, v32
	v_mov_b32_e32 v5, 0
	v_mov_b32_e32 v6, 0
	v_cmp_eq_u32_e64 s[4:5], s4, v32
	s_and_saveexec_b64 s[10:11], s[4:5]
	s_cbranch_execz .LBB5_21
; %bb.16:
	v_mov_b32_e32 v0, 0
	s_waitcnt lgkmcnt(0)
	global_load_dwordx2 v[3:4], v0, s[6:7] offset:24 glc
	s_waitcnt vmcnt(0)
	buffer_wbinvl1_vol
	global_load_dwordx2 v[1:2], v0, s[6:7] offset:40
	global_load_dwordx2 v[5:6], v0, s[6:7]
	s_waitcnt vmcnt(1)
	v_and_b32_e32 v1, v1, v3
	v_and_b32_e32 v2, v2, v4
	v_mul_lo_u32 v2, v2, 24
	v_mul_hi_u32 v7, v1, 24
	v_mul_lo_u32 v1, v1, 24
	v_add_u32_e32 v2, v7, v2
	s_waitcnt vmcnt(0)
	v_add_co_u32_e32 v1, vcc, v5, v1
	v_addc_co_u32_e32 v2, vcc, v6, v2, vcc
	global_load_dwordx2 v[1:2], v[1:2], off glc
	s_waitcnt vmcnt(0)
	global_atomic_cmpswap_x2 v[5:6], v0, v[1:4], s[6:7] offset:24 glc
	s_waitcnt vmcnt(0)
	buffer_wbinvl1_vol
	v_cmp_ne_u64_e32 vcc, v[5:6], v[3:4]
	s_and_saveexec_b64 s[16:17], vcc
	s_cbranch_execz .LBB5_20
; %bb.17:
	s_mov_b64 s[18:19], 0
.LBB5_18:                               ; =>This Inner Loop Header: Depth=1
	s_sleep 1
	global_load_dwordx2 v[1:2], v0, s[6:7] offset:40
	global_load_dwordx2 v[7:8], v0, s[6:7]
	v_mov_b32_e32 v3, v5
	v_mov_b32_e32 v4, v6
	s_waitcnt vmcnt(1)
	v_and_b32_e32 v1, v1, v3
	s_waitcnt vmcnt(0)
	v_mad_u64_u32 v[5:6], s[20:21], v1, 24, v[7:8]
	v_and_b32_e32 v2, v2, v4
	v_mov_b32_e32 v1, v6
	v_mad_u64_u32 v[1:2], s[20:21], v2, 24, v[1:2]
	v_mov_b32_e32 v6, v1
	global_load_dwordx2 v[1:2], v[5:6], off glc
	s_waitcnt vmcnt(0)
	global_atomic_cmpswap_x2 v[5:6], v0, v[1:4], s[6:7] offset:24 glc
	s_waitcnt vmcnt(0)
	buffer_wbinvl1_vol
	v_cmp_eq_u64_e32 vcc, v[5:6], v[3:4]
	s_or_b64 s[18:19], vcc, s[18:19]
	s_andn2_b64 exec, exec, s[18:19]
	s_cbranch_execnz .LBB5_18
; %bb.19:
	s_or_b64 exec, exec, s[18:19]
.LBB5_20:
	s_or_b64 exec, exec, s[16:17]
.LBB5_21:
	s_or_b64 exec, exec, s[10:11]
	v_mov_b32_e32 v4, 0
	s_waitcnt lgkmcnt(0)
	global_load_dwordx2 v[7:8], v4, s[6:7] offset:40
	global_load_dwordx4 v[0:3], v4, s[6:7]
	v_readfirstlane_b32 s10, v5
	v_readfirstlane_b32 s11, v6
	s_mov_b64 s[16:17], exec
	s_waitcnt vmcnt(1)
	v_readfirstlane_b32 s18, v7
	v_readfirstlane_b32 s19, v8
	s_and_b64 s[18:19], s[10:11], s[18:19]
	s_mul_i32 s15, s19, 24
	s_mul_hi_u32 s20, s18, 24
	s_mul_i32 s21, s18, 24
	s_add_i32 s15, s20, s15
	v_mov_b32_e32 v5, s15
	s_waitcnt vmcnt(0)
	v_add_co_u32_e32 v7, vcc, s21, v0
	v_addc_co_u32_e32 v8, vcc, v1, v5, vcc
	s_and_saveexec_b64 s[20:21], s[4:5]
	s_cbranch_execz .LBB5_23
; %bb.22:
	v_mov_b32_e32 v9, s16
	v_mov_b32_e32 v10, s17
	;; [unrolled: 1-line block ×4, first 2 shown]
	global_store_dwordx4 v[7:8], v[9:12], off offset:8
.LBB5_23:
	s_or_b64 exec, exec, s[20:21]
	s_lshl_b64 s[16:17], s[18:19], 12
	v_mov_b32_e32 v5, s17
	v_add_co_u32_e32 v2, vcc, s16, v2
	v_addc_co_u32_e32 v11, vcc, v3, v5, vcc
	s_mov_b32 s16, 0
	v_lshlrev_b32_e32 v31, 6, v32
	v_mov_b32_e32 v3, 33
	v_mov_b32_e32 v5, v4
	;; [unrolled: 1-line block ×3, first 2 shown]
	v_readfirstlane_b32 s20, v2
	v_readfirstlane_b32 s21, v11
	v_add_co_u32_e32 v9, vcc, v2, v31
	s_mov_b32 s17, s16
	s_mov_b32 s18, s16
	s_mov_b32 s19, s16
	s_nop 0
	global_store_dwordx4 v31, v[3:6], s[20:21]
	v_mov_b32_e32 v2, s16
	v_addc_co_u32_e32 v10, vcc, 0, v11, vcc
	v_mov_b32_e32 v3, s17
	v_mov_b32_e32 v4, s18
	;; [unrolled: 1-line block ×3, first 2 shown]
	global_store_dwordx4 v31, v[2:5], s[20:21] offset:16
	global_store_dwordx4 v31, v[2:5], s[20:21] offset:32
	;; [unrolled: 1-line block ×3, first 2 shown]
	s_and_saveexec_b64 s[16:17], s[4:5]
	s_cbranch_execz .LBB5_31
; %bb.24:
	v_mov_b32_e32 v6, 0
	global_load_dwordx2 v[13:14], v6, s[6:7] offset:32 glc
	global_load_dwordx2 v[2:3], v6, s[6:7] offset:40
	v_mov_b32_e32 v11, s10
	v_mov_b32_e32 v12, s11
	s_waitcnt vmcnt(0)
	v_and_b32_e32 v2, s10, v2
	v_and_b32_e32 v3, s11, v3
	v_mul_lo_u32 v3, v3, 24
	v_mul_hi_u32 v4, v2, 24
	v_mul_lo_u32 v2, v2, 24
	v_add_u32_e32 v3, v4, v3
	v_add_co_u32_e32 v4, vcc, v0, v2
	v_addc_co_u32_e32 v5, vcc, v1, v3, vcc
	global_store_dwordx2 v[4:5], v[13:14], off
	s_waitcnt vmcnt(0)
	global_atomic_cmpswap_x2 v[2:3], v6, v[11:14], s[6:7] offset:32 glc
	s_waitcnt vmcnt(0)
	v_cmp_ne_u64_e32 vcc, v[2:3], v[13:14]
	s_and_saveexec_b64 s[18:19], vcc
	s_cbranch_execz .LBB5_27
; %bb.25:
	s_mov_b64 s[20:21], 0
.LBB5_26:                               ; =>This Inner Loop Header: Depth=1
	s_sleep 1
	global_store_dwordx2 v[4:5], v[2:3], off
	v_mov_b32_e32 v0, s10
	v_mov_b32_e32 v1, s11
	s_waitcnt vmcnt(0)
	global_atomic_cmpswap_x2 v[0:1], v6, v[0:3], s[6:7] offset:32 glc
	s_waitcnt vmcnt(0)
	v_cmp_eq_u64_e32 vcc, v[0:1], v[2:3]
	v_mov_b32_e32 v3, v1
	s_or_b64 s[20:21], vcc, s[20:21]
	v_mov_b32_e32 v2, v0
	s_andn2_b64 exec, exec, s[20:21]
	s_cbranch_execnz .LBB5_26
.LBB5_27:
	s_or_b64 exec, exec, s[18:19]
	v_mov_b32_e32 v3, 0
	global_load_dwordx2 v[0:1], v3, s[6:7] offset:16
	s_mov_b64 s[18:19], exec
	v_mbcnt_lo_u32_b32 v2, s18, 0
	v_mbcnt_hi_u32_b32 v2, s19, v2
	v_cmp_eq_u32_e32 vcc, 0, v2
	s_and_saveexec_b64 s[20:21], vcc
	s_cbranch_execz .LBB5_29
; %bb.28:
	s_bcnt1_i32_b64 s15, s[18:19]
	v_mov_b32_e32 v2, s15
	s_waitcnt vmcnt(0)
	global_atomic_add_x2 v[0:1], v[2:3], off offset:8
.LBB5_29:
	s_or_b64 exec, exec, s[20:21]
	s_waitcnt vmcnt(0)
	global_load_dwordx2 v[2:3], v[0:1], off offset:16
	s_waitcnt vmcnt(0)
	v_cmp_eq_u64_e32 vcc, 0, v[2:3]
	s_cbranch_vccnz .LBB5_31
; %bb.30:
	global_load_dword v0, v[0:1], off offset:24
	v_mov_b32_e32 v1, 0
	s_waitcnt vmcnt(0)
	global_store_dwordx2 v[2:3], v[0:1], off
	v_and_b32_e32 v0, 0xffffff, v0
	v_readfirstlane_b32 m0, v0
	s_sendmsg sendmsg(MSG_INTERRUPT)
.LBB5_31:
	s_or_b64 exec, exec, s[16:17]
	s_branch .LBB5_35
.LBB5_32:                               ;   in Loop: Header=BB5_35 Depth=1
	s_or_b64 exec, exec, s[16:17]
	v_readfirstlane_b32 s15, v0
	s_cmp_eq_u32 s15, 0
	s_cbranch_scc1 .LBB5_34
; %bb.33:                               ;   in Loop: Header=BB5_35 Depth=1
	s_sleep 1
	s_cbranch_execnz .LBB5_35
	s_branch .LBB5_37
.LBB5_34:
	s_branch .LBB5_37
.LBB5_35:                               ; =>This Inner Loop Header: Depth=1
	v_mov_b32_e32 v0, 1
	s_and_saveexec_b64 s[16:17], s[4:5]
	s_cbranch_execz .LBB5_32
; %bb.36:                               ;   in Loop: Header=BB5_35 Depth=1
	global_load_dword v0, v[7:8], off offset:20 glc
	s_waitcnt vmcnt(0)
	buffer_wbinvl1_vol
	v_and_b32_e32 v0, 1, v0
	s_branch .LBB5_32
.LBB5_37:
	global_load_dwordx2 v[4:5], v[9:10], off
	s_and_saveexec_b64 s[16:17], s[4:5]
	s_cbranch_execz .LBB5_40
; %bb.38:
	v_mov_b32_e32 v8, 0
	global_load_dwordx2 v[2:3], v8, s[6:7] offset:40
	global_load_dwordx2 v[9:10], v8, s[6:7] offset:24 glc
	global_load_dwordx2 v[6:7], v8, s[6:7]
	v_mov_b32_e32 v1, s11
	s_mov_b64 s[4:5], 0
	s_waitcnt vmcnt(2)
	v_add_co_u32_e32 v11, vcc, 1, v2
	v_addc_co_u32_e32 v12, vcc, 0, v3, vcc
	v_add_co_u32_e32 v0, vcc, s10, v11
	v_addc_co_u32_e32 v1, vcc, v12, v1, vcc
	v_cmp_eq_u64_e32 vcc, 0, v[0:1]
	v_cndmask_b32_e32 v1, v1, v12, vcc
	v_cndmask_b32_e32 v0, v0, v11, vcc
	v_and_b32_e32 v3, v1, v3
	v_and_b32_e32 v2, v0, v2
	v_mul_lo_u32 v3, v3, 24
	v_mul_hi_u32 v11, v2, 24
	v_mul_lo_u32 v12, v2, 24
	s_waitcnt vmcnt(1)
	v_mov_b32_e32 v2, v9
	v_add_u32_e32 v3, v11, v3
	s_waitcnt vmcnt(0)
	v_add_co_u32_e32 v6, vcc, v6, v12
	v_addc_co_u32_e32 v7, vcc, v7, v3, vcc
	global_store_dwordx2 v[6:7], v[9:10], off
	v_mov_b32_e32 v3, v10
	s_waitcnt vmcnt(0)
	global_atomic_cmpswap_x2 v[2:3], v8, v[0:3], s[6:7] offset:24 glc
	s_waitcnt vmcnt(0)
	v_cmp_ne_u64_e32 vcc, v[2:3], v[9:10]
	s_and_b64 exec, exec, vcc
	s_cbranch_execz .LBB5_40
.LBB5_39:                               ; =>This Inner Loop Header: Depth=1
	s_sleep 1
	global_store_dwordx2 v[6:7], v[2:3], off
	s_waitcnt vmcnt(0)
	global_atomic_cmpswap_x2 v[9:10], v8, v[0:3], s[6:7] offset:24 glc
	s_waitcnt vmcnt(0)
	v_cmp_eq_u64_e32 vcc, v[9:10], v[2:3]
	v_mov_b32_e32 v2, v9
	s_or_b64 s[4:5], vcc, s[4:5]
	v_mov_b32_e32 v3, v10
	s_andn2_b64 exec, exec, s[4:5]
	s_cbranch_execnz .LBB5_39
.LBB5_40:
	s_or_b64 exec, exec, s[16:17]
	s_getpc_b64 s[16:17]
	s_add_u32 s16, s16, .str.5@rel32@lo+4
	s_addc_u32 s17, s17, .str.5@rel32@hi+12
	s_cmp_lg_u64 s[16:17], 0
	s_cselect_b64 s[10:11], -1, 0
	s_and_b64 vcc, exec, s[10:11]
	s_cbranch_vccz .LBB5_125
; %bb.41:
	s_waitcnt vmcnt(0)
	v_and_b32_e32 v29, 2, v4
	v_mov_b32_e32 v26, 0
	v_and_b32_e32 v0, -3, v4
	v_mov_b32_e32 v1, v5
	s_mov_b64 s[18:19], 3
	v_mov_b32_e32 v8, 2
	v_mov_b32_e32 v9, 1
	s_branch .LBB5_43
.LBB5_42:                               ;   in Loop: Header=BB5_43 Depth=1
	s_or_b64 exec, exec, s[24:25]
	s_sub_u32 s18, s18, s20
	s_subb_u32 s19, s19, s21
	s_add_u32 s16, s16, s20
	s_addc_u32 s17, s17, s21
	s_cmp_lg_u64 s[18:19], 0
	s_cbranch_scc0 .LBB5_124
.LBB5_43:                               ; =>This Loop Header: Depth=1
                                        ;     Child Loop BB5_46 Depth 2
                                        ;     Child Loop BB5_53 Depth 2
	;; [unrolled: 1-line block ×11, first 2 shown]
	v_cmp_lt_u64_e64 s[4:5], s[18:19], 56
	v_cmp_gt_u64_e64 s[22:23], s[18:19], 7
	s_and_b64 s[4:5], s[4:5], exec
	s_cselect_b32 s21, s19, 0
	s_cselect_b32 s20, s18, 56
	s_and_b64 vcc, exec, s[22:23]
	s_cbranch_vccnz .LBB5_48
; %bb.44:                               ;   in Loop: Header=BB5_43 Depth=1
	s_waitcnt vmcnt(0)
	v_mov_b32_e32 v2, 0
	s_cmp_eq_u64 s[18:19], 0
	v_mov_b32_e32 v3, 0
	s_mov_b64 s[4:5], 0
	s_cbranch_scc1 .LBB5_47
; %bb.45:                               ;   in Loop: Header=BB5_43 Depth=1
	v_mov_b32_e32 v2, 0
	s_lshl_b64 s[22:23], s[20:21], 3
	s_mov_b64 s[24:25], 0
	v_mov_b32_e32 v3, 0
	s_mov_b64 s[26:27], s[16:17]
.LBB5_46:                               ;   Parent Loop BB5_43 Depth=1
                                        ; =>  This Inner Loop Header: Depth=2
	global_load_ubyte v6, v26, s[26:27]
	s_waitcnt vmcnt(0)
	v_and_b32_e32 v25, 0xffff, v6
	v_lshlrev_b64 v[6:7], s24, v[25:26]
	s_add_u32 s24, s24, 8
	s_addc_u32 s25, s25, 0
	s_add_u32 s26, s26, 1
	s_addc_u32 s27, s27, 0
	v_or_b32_e32 v2, v6, v2
	s_cmp_lg_u32 s22, s24
	v_or_b32_e32 v3, v7, v3
	s_cbranch_scc1 .LBB5_46
.LBB5_47:                               ;   in Loop: Header=BB5_43 Depth=1
	s_mov_b32 s15, 0
	s_andn2_b64 vcc, exec, s[4:5]
	s_mov_b64 s[4:5], s[16:17]
	s_cbranch_vccz .LBB5_49
	s_branch .LBB5_50
.LBB5_48:                               ;   in Loop: Header=BB5_43 Depth=1
                                        ; implicit-def: $vgpr2_vgpr3
                                        ; implicit-def: $sgpr15
	s_mov_b64 s[4:5], s[16:17]
.LBB5_49:                               ;   in Loop: Header=BB5_43 Depth=1
	global_load_dwordx2 v[2:3], v26, s[16:17]
	s_add_i32 s15, s20, -8
	s_add_u32 s4, s16, 8
	s_addc_u32 s5, s17, 0
.LBB5_50:                               ;   in Loop: Header=BB5_43 Depth=1
	s_cmp_gt_u32 s15, 7
	s_cbranch_scc1 .LBB5_54
; %bb.51:                               ;   in Loop: Header=BB5_43 Depth=1
	s_cmp_eq_u32 s15, 0
	s_cbranch_scc1 .LBB5_55
; %bb.52:                               ;   in Loop: Header=BB5_43 Depth=1
	v_mov_b32_e32 v10, 0
	s_mov_b64 s[22:23], 0
	v_mov_b32_e32 v11, 0
	s_mov_b64 s[24:25], 0
.LBB5_53:                               ;   Parent Loop BB5_43 Depth=1
                                        ; =>  This Inner Loop Header: Depth=2
	s_add_u32 s26, s4, s24
	s_addc_u32 s27, s5, s25
	global_load_ubyte v6, v26, s[26:27]
	s_add_u32 s24, s24, 1
	s_addc_u32 s25, s25, 0
	s_waitcnt vmcnt(0)
	v_and_b32_e32 v25, 0xffff, v6
	v_lshlrev_b64 v[6:7], s22, v[25:26]
	s_add_u32 s22, s22, 8
	s_addc_u32 s23, s23, 0
	v_or_b32_e32 v10, v6, v10
	s_cmp_lg_u32 s15, s24
	v_or_b32_e32 v11, v7, v11
	s_cbranch_scc1 .LBB5_53
	s_branch .LBB5_56
.LBB5_54:                               ;   in Loop: Header=BB5_43 Depth=1
                                        ; implicit-def: $vgpr10_vgpr11
                                        ; implicit-def: $sgpr26
	s_branch .LBB5_57
.LBB5_55:                               ;   in Loop: Header=BB5_43 Depth=1
	v_mov_b32_e32 v10, 0
	v_mov_b32_e32 v11, 0
.LBB5_56:                               ;   in Loop: Header=BB5_43 Depth=1
	s_mov_b32 s26, 0
	s_cbranch_execnz .LBB5_58
.LBB5_57:                               ;   in Loop: Header=BB5_43 Depth=1
	global_load_dwordx2 v[10:11], v26, s[4:5]
	s_add_i32 s26, s15, -8
	s_add_u32 s4, s4, 8
	s_addc_u32 s5, s5, 0
.LBB5_58:                               ;   in Loop: Header=BB5_43 Depth=1
	s_cmp_gt_u32 s26, 7
	s_cbranch_scc1 .LBB5_62
; %bb.59:                               ;   in Loop: Header=BB5_43 Depth=1
	s_cmp_eq_u32 s26, 0
	s_cbranch_scc1 .LBB5_63
; %bb.60:                               ;   in Loop: Header=BB5_43 Depth=1
	v_mov_b32_e32 v12, 0
	s_mov_b64 s[22:23], 0
	v_mov_b32_e32 v13, 0
	s_mov_b64 s[24:25], 0
.LBB5_61:                               ;   Parent Loop BB5_43 Depth=1
                                        ; =>  This Inner Loop Header: Depth=2
	s_add_u32 s28, s4, s24
	s_addc_u32 s29, s5, s25
	global_load_ubyte v6, v26, s[28:29]
	s_add_u32 s24, s24, 1
	s_addc_u32 s25, s25, 0
	s_waitcnt vmcnt(0)
	v_and_b32_e32 v25, 0xffff, v6
	v_lshlrev_b64 v[6:7], s22, v[25:26]
	s_add_u32 s22, s22, 8
	s_addc_u32 s23, s23, 0
	v_or_b32_e32 v12, v6, v12
	s_cmp_lg_u32 s26, s24
	v_or_b32_e32 v13, v7, v13
	s_cbranch_scc1 .LBB5_61
	s_branch .LBB5_64
.LBB5_62:                               ;   in Loop: Header=BB5_43 Depth=1
                                        ; implicit-def: $sgpr15
	s_branch .LBB5_65
.LBB5_63:                               ;   in Loop: Header=BB5_43 Depth=1
	v_mov_b32_e32 v12, 0
	v_mov_b32_e32 v13, 0
.LBB5_64:                               ;   in Loop: Header=BB5_43 Depth=1
	s_mov_b32 s15, 0
	s_cbranch_execnz .LBB5_66
.LBB5_65:                               ;   in Loop: Header=BB5_43 Depth=1
	global_load_dwordx2 v[12:13], v26, s[4:5]
	s_add_i32 s15, s26, -8
	s_add_u32 s4, s4, 8
	s_addc_u32 s5, s5, 0
.LBB5_66:                               ;   in Loop: Header=BB5_43 Depth=1
	s_cmp_gt_u32 s15, 7
	s_cbranch_scc1 .LBB5_70
; %bb.67:                               ;   in Loop: Header=BB5_43 Depth=1
	s_cmp_eq_u32 s15, 0
	s_cbranch_scc1 .LBB5_71
; %bb.68:                               ;   in Loop: Header=BB5_43 Depth=1
	v_mov_b32_e32 v14, 0
	s_mov_b64 s[22:23], 0
	v_mov_b32_e32 v15, 0
	s_mov_b64 s[24:25], 0
.LBB5_69:                               ;   Parent Loop BB5_43 Depth=1
                                        ; =>  This Inner Loop Header: Depth=2
	s_add_u32 s26, s4, s24
	s_addc_u32 s27, s5, s25
	global_load_ubyte v6, v26, s[26:27]
	s_add_u32 s24, s24, 1
	s_addc_u32 s25, s25, 0
	s_waitcnt vmcnt(0)
	v_and_b32_e32 v25, 0xffff, v6
	v_lshlrev_b64 v[6:7], s22, v[25:26]
	s_add_u32 s22, s22, 8
	s_addc_u32 s23, s23, 0
	v_or_b32_e32 v14, v6, v14
	s_cmp_lg_u32 s15, s24
	v_or_b32_e32 v15, v7, v15
	s_cbranch_scc1 .LBB5_69
	s_branch .LBB5_72
.LBB5_70:                               ;   in Loop: Header=BB5_43 Depth=1
                                        ; implicit-def: $vgpr14_vgpr15
                                        ; implicit-def: $sgpr26
	s_branch .LBB5_73
.LBB5_71:                               ;   in Loop: Header=BB5_43 Depth=1
	v_mov_b32_e32 v14, 0
	v_mov_b32_e32 v15, 0
.LBB5_72:                               ;   in Loop: Header=BB5_43 Depth=1
	s_mov_b32 s26, 0
	s_cbranch_execnz .LBB5_74
.LBB5_73:                               ;   in Loop: Header=BB5_43 Depth=1
	global_load_dwordx2 v[14:15], v26, s[4:5]
	s_add_i32 s26, s15, -8
	s_add_u32 s4, s4, 8
	s_addc_u32 s5, s5, 0
.LBB5_74:                               ;   in Loop: Header=BB5_43 Depth=1
	s_cmp_gt_u32 s26, 7
	s_cbranch_scc1 .LBB5_78
; %bb.75:                               ;   in Loop: Header=BB5_43 Depth=1
	s_cmp_eq_u32 s26, 0
	s_cbranch_scc1 .LBB5_79
; %bb.76:                               ;   in Loop: Header=BB5_43 Depth=1
	v_mov_b32_e32 v16, 0
	s_mov_b64 s[22:23], 0
	v_mov_b32_e32 v17, 0
	s_mov_b64 s[24:25], 0
.LBB5_77:                               ;   Parent Loop BB5_43 Depth=1
                                        ; =>  This Inner Loop Header: Depth=2
	s_add_u32 s28, s4, s24
	s_addc_u32 s29, s5, s25
	global_load_ubyte v6, v26, s[28:29]
	s_add_u32 s24, s24, 1
	s_addc_u32 s25, s25, 0
	s_waitcnt vmcnt(0)
	v_and_b32_e32 v25, 0xffff, v6
	v_lshlrev_b64 v[6:7], s22, v[25:26]
	s_add_u32 s22, s22, 8
	s_addc_u32 s23, s23, 0
	v_or_b32_e32 v16, v6, v16
	s_cmp_lg_u32 s26, s24
	v_or_b32_e32 v17, v7, v17
	s_cbranch_scc1 .LBB5_77
	s_branch .LBB5_80
.LBB5_78:                               ;   in Loop: Header=BB5_43 Depth=1
                                        ; implicit-def: $sgpr15
	s_branch .LBB5_81
.LBB5_79:                               ;   in Loop: Header=BB5_43 Depth=1
	v_mov_b32_e32 v16, 0
	v_mov_b32_e32 v17, 0
.LBB5_80:                               ;   in Loop: Header=BB5_43 Depth=1
	s_mov_b32 s15, 0
	s_cbranch_execnz .LBB5_82
.LBB5_81:                               ;   in Loop: Header=BB5_43 Depth=1
	global_load_dwordx2 v[16:17], v26, s[4:5]
	s_add_i32 s15, s26, -8
	s_add_u32 s4, s4, 8
	s_addc_u32 s5, s5, 0
.LBB5_82:                               ;   in Loop: Header=BB5_43 Depth=1
	s_cmp_gt_u32 s15, 7
	s_cbranch_scc1 .LBB5_86
; %bb.83:                               ;   in Loop: Header=BB5_43 Depth=1
	s_cmp_eq_u32 s15, 0
	s_cbranch_scc1 .LBB5_87
; %bb.84:                               ;   in Loop: Header=BB5_43 Depth=1
	v_mov_b32_e32 v18, 0
	s_mov_b64 s[22:23], 0
	v_mov_b32_e32 v19, 0
	s_mov_b64 s[24:25], 0
.LBB5_85:                               ;   Parent Loop BB5_43 Depth=1
                                        ; =>  This Inner Loop Header: Depth=2
	s_add_u32 s26, s4, s24
	s_addc_u32 s27, s5, s25
	global_load_ubyte v6, v26, s[26:27]
	s_add_u32 s24, s24, 1
	s_addc_u32 s25, s25, 0
	s_waitcnt vmcnt(0)
	v_and_b32_e32 v25, 0xffff, v6
	v_lshlrev_b64 v[6:7], s22, v[25:26]
	s_add_u32 s22, s22, 8
	s_addc_u32 s23, s23, 0
	v_or_b32_e32 v18, v6, v18
	s_cmp_lg_u32 s15, s24
	v_or_b32_e32 v19, v7, v19
	s_cbranch_scc1 .LBB5_85
	s_branch .LBB5_88
.LBB5_86:                               ;   in Loop: Header=BB5_43 Depth=1
                                        ; implicit-def: $vgpr18_vgpr19
                                        ; implicit-def: $sgpr26
	s_branch .LBB5_89
.LBB5_87:                               ;   in Loop: Header=BB5_43 Depth=1
	v_mov_b32_e32 v18, 0
	v_mov_b32_e32 v19, 0
.LBB5_88:                               ;   in Loop: Header=BB5_43 Depth=1
	s_mov_b32 s26, 0
	s_cbranch_execnz .LBB5_90
.LBB5_89:                               ;   in Loop: Header=BB5_43 Depth=1
	global_load_dwordx2 v[18:19], v26, s[4:5]
	s_add_i32 s26, s15, -8
	s_add_u32 s4, s4, 8
	s_addc_u32 s5, s5, 0
.LBB5_90:                               ;   in Loop: Header=BB5_43 Depth=1
	s_cmp_gt_u32 s26, 7
	s_cbranch_scc1 .LBB5_94
; %bb.91:                               ;   in Loop: Header=BB5_43 Depth=1
	s_cmp_eq_u32 s26, 0
	s_cbranch_scc1 .LBB5_95
; %bb.92:                               ;   in Loop: Header=BB5_43 Depth=1
	v_mov_b32_e32 v20, 0
	s_mov_b64 s[22:23], 0
	v_mov_b32_e32 v21, 0
	s_mov_b64 s[24:25], s[4:5]
.LBB5_93:                               ;   Parent Loop BB5_43 Depth=1
                                        ; =>  This Inner Loop Header: Depth=2
	global_load_ubyte v6, v26, s[24:25]
	s_add_i32 s26, s26, -1
	s_waitcnt vmcnt(0)
	v_and_b32_e32 v25, 0xffff, v6
	v_lshlrev_b64 v[6:7], s22, v[25:26]
	s_add_u32 s22, s22, 8
	s_addc_u32 s23, s23, 0
	s_add_u32 s24, s24, 1
	s_addc_u32 s25, s25, 0
	v_or_b32_e32 v20, v6, v20
	s_cmp_lg_u32 s26, 0
	v_or_b32_e32 v21, v7, v21
	s_cbranch_scc1 .LBB5_93
	s_branch .LBB5_96
.LBB5_94:                               ;   in Loop: Header=BB5_43 Depth=1
	s_branch .LBB5_97
.LBB5_95:                               ;   in Loop: Header=BB5_43 Depth=1
	v_mov_b32_e32 v20, 0
	v_mov_b32_e32 v21, 0
.LBB5_96:                               ;   in Loop: Header=BB5_43 Depth=1
	s_cbranch_execnz .LBB5_98
.LBB5_97:                               ;   in Loop: Header=BB5_43 Depth=1
	global_load_dwordx2 v[20:21], v26, s[4:5]
.LBB5_98:                               ;   in Loop: Header=BB5_43 Depth=1
	v_readfirstlane_b32 s4, v32
	v_mov_b32_e32 v6, 0
	v_mov_b32_e32 v7, 0
	v_cmp_eq_u32_e64 s[4:5], s4, v32
	s_and_saveexec_b64 s[22:23], s[4:5]
	s_cbranch_execz .LBB5_104
; %bb.99:                               ;   in Loop: Header=BB5_43 Depth=1
	global_load_dwordx2 v[24:25], v26, s[6:7] offset:24 glc
	s_waitcnt vmcnt(0)
	buffer_wbinvl1_vol
	global_load_dwordx2 v[6:7], v26, s[6:7] offset:40
	global_load_dwordx2 v[22:23], v26, s[6:7]
	s_waitcnt vmcnt(1)
	v_and_b32_e32 v6, v6, v24
	v_and_b32_e32 v7, v7, v25
	v_mul_lo_u32 v7, v7, 24
	v_mul_hi_u32 v27, v6, 24
	v_mul_lo_u32 v6, v6, 24
	v_add_u32_e32 v7, v27, v7
	s_waitcnt vmcnt(0)
	v_add_co_u32_e32 v6, vcc, v22, v6
	v_addc_co_u32_e32 v7, vcc, v23, v7, vcc
	global_load_dwordx2 v[22:23], v[6:7], off glc
	s_waitcnt vmcnt(0)
	global_atomic_cmpswap_x2 v[6:7], v26, v[22:25], s[6:7] offset:24 glc
	s_waitcnt vmcnt(0)
	buffer_wbinvl1_vol
	v_cmp_ne_u64_e32 vcc, v[6:7], v[24:25]
	s_and_saveexec_b64 s[24:25], vcc
	s_cbranch_execz .LBB5_103
; %bb.100:                              ;   in Loop: Header=BB5_43 Depth=1
	s_mov_b64 s[26:27], 0
.LBB5_101:                              ;   Parent Loop BB5_43 Depth=1
                                        ; =>  This Inner Loop Header: Depth=2
	s_sleep 1
	global_load_dwordx2 v[22:23], v26, s[6:7] offset:40
	global_load_dwordx2 v[27:28], v26, s[6:7]
	v_mov_b32_e32 v25, v7
	v_mov_b32_e32 v24, v6
	s_waitcnt vmcnt(1)
	v_and_b32_e32 v6, v22, v24
	s_waitcnt vmcnt(0)
	v_mad_u64_u32 v[6:7], s[28:29], v6, 24, v[27:28]
	v_and_b32_e32 v22, v23, v25
	v_mad_u64_u32 v[22:23], s[28:29], v22, 24, v[7:8]
	v_mov_b32_e32 v7, v22
	global_load_dwordx2 v[22:23], v[6:7], off glc
	s_waitcnt vmcnt(0)
	global_atomic_cmpswap_x2 v[6:7], v26, v[22:25], s[6:7] offset:24 glc
	s_waitcnt vmcnt(0)
	buffer_wbinvl1_vol
	v_cmp_eq_u64_e32 vcc, v[6:7], v[24:25]
	s_or_b64 s[26:27], vcc, s[26:27]
	s_andn2_b64 exec, exec, s[26:27]
	s_cbranch_execnz .LBB5_101
; %bb.102:                              ;   in Loop: Header=BB5_43 Depth=1
	s_or_b64 exec, exec, s[26:27]
.LBB5_103:                              ;   in Loop: Header=BB5_43 Depth=1
	s_or_b64 exec, exec, s[24:25]
.LBB5_104:                              ;   in Loop: Header=BB5_43 Depth=1
	s_or_b64 exec, exec, s[22:23]
	global_load_dwordx2 v[27:28], v26, s[6:7] offset:40
	global_load_dwordx4 v[22:25], v26, s[6:7]
	v_readfirstlane_b32 s22, v6
	v_readfirstlane_b32 s23, v7
	s_mov_b64 s[24:25], exec
	s_waitcnt vmcnt(1)
	v_readfirstlane_b32 s26, v27
	v_readfirstlane_b32 s27, v28
	s_and_b64 s[26:27], s[22:23], s[26:27]
	s_mul_i32 s15, s27, 24
	s_mul_hi_u32 s28, s26, 24
	s_mul_i32 s29, s26, 24
	s_add_i32 s15, s28, s15
	v_mov_b32_e32 v6, s15
	s_waitcnt vmcnt(0)
	v_add_co_u32_e32 v27, vcc, s29, v22
	v_addc_co_u32_e32 v28, vcc, v23, v6, vcc
	s_and_saveexec_b64 s[28:29], s[4:5]
	s_cbranch_execz .LBB5_106
; %bb.105:                              ;   in Loop: Header=BB5_43 Depth=1
	v_mov_b32_e32 v6, s24
	v_mov_b32_e32 v7, s25
	global_store_dwordx4 v[27:28], v[6:9], off offset:8
.LBB5_106:                              ;   in Loop: Header=BB5_43 Depth=1
	s_or_b64 exec, exec, s[28:29]
	s_lshl_b64 s[24:25], s[26:27], 12
	v_mov_b32_e32 v6, s25
	v_add_co_u32_e32 v24, vcc, s24, v24
	v_addc_co_u32_e32 v30, vcc, v25, v6, vcc
	v_cmp_gt_u64_e64 vcc, s[18:19], 56
	v_or_b32_e32 v7, v0, v29
	s_lshl_b32 s15, s20, 2
	v_cndmask_b32_e32 v0, v7, v0, vcc
	s_add_i32 s15, s15, 28
	v_or_b32_e32 v6, 0, v1
	s_and_b32 s15, s15, 0x1e0
	v_and_b32_e32 v0, 0xffffff1f, v0
	v_cndmask_b32_e32 v1, v6, v1, vcc
	v_or_b32_e32 v0, s15, v0
	v_readfirstlane_b32 s24, v24
	v_readfirstlane_b32 s25, v30
	s_nop 4
	global_store_dwordx4 v31, v[0:3], s[24:25]
	global_store_dwordx4 v31, v[10:13], s[24:25] offset:16
	global_store_dwordx4 v31, v[14:17], s[24:25] offset:32
	;; [unrolled: 1-line block ×3, first 2 shown]
	s_and_saveexec_b64 s[24:25], s[4:5]
	s_cbranch_execz .LBB5_114
; %bb.107:                              ;   in Loop: Header=BB5_43 Depth=1
	global_load_dwordx2 v[12:13], v26, s[6:7] offset:32 glc
	global_load_dwordx2 v[0:1], v26, s[6:7] offset:40
	v_mov_b32_e32 v10, s22
	v_mov_b32_e32 v11, s23
	s_waitcnt vmcnt(0)
	v_readfirstlane_b32 s26, v0
	v_readfirstlane_b32 s27, v1
	s_and_b64 s[26:27], s[26:27], s[22:23]
	s_mul_i32 s15, s27, 24
	s_mul_hi_u32 s27, s26, 24
	s_mul_i32 s26, s26, 24
	s_add_i32 s15, s27, s15
	v_mov_b32_e32 v0, s15
	v_add_co_u32_e32 v6, vcc, s26, v22
	v_addc_co_u32_e32 v7, vcc, v23, v0, vcc
	global_store_dwordx2 v[6:7], v[12:13], off
	s_waitcnt vmcnt(0)
	global_atomic_cmpswap_x2 v[2:3], v26, v[10:13], s[6:7] offset:32 glc
	s_waitcnt vmcnt(0)
	v_cmp_ne_u64_e32 vcc, v[2:3], v[12:13]
	s_and_saveexec_b64 s[26:27], vcc
	s_cbranch_execz .LBB5_110
; %bb.108:                              ;   in Loop: Header=BB5_43 Depth=1
	s_mov_b64 s[28:29], 0
.LBB5_109:                              ;   Parent Loop BB5_43 Depth=1
                                        ; =>  This Inner Loop Header: Depth=2
	s_sleep 1
	global_store_dwordx2 v[6:7], v[2:3], off
	v_mov_b32_e32 v0, s22
	v_mov_b32_e32 v1, s23
	s_waitcnt vmcnt(0)
	global_atomic_cmpswap_x2 v[0:1], v26, v[0:3], s[6:7] offset:32 glc
	s_waitcnt vmcnt(0)
	v_cmp_eq_u64_e32 vcc, v[0:1], v[2:3]
	v_mov_b32_e32 v3, v1
	s_or_b64 s[28:29], vcc, s[28:29]
	v_mov_b32_e32 v2, v0
	s_andn2_b64 exec, exec, s[28:29]
	s_cbranch_execnz .LBB5_109
.LBB5_110:                              ;   in Loop: Header=BB5_43 Depth=1
	s_or_b64 exec, exec, s[26:27]
	global_load_dwordx2 v[0:1], v26, s[6:7] offset:16
	s_mov_b64 s[28:29], exec
	v_mbcnt_lo_u32_b32 v2, s28, 0
	v_mbcnt_hi_u32_b32 v2, s29, v2
	v_cmp_eq_u32_e32 vcc, 0, v2
	s_and_saveexec_b64 s[26:27], vcc
	s_cbranch_execz .LBB5_112
; %bb.111:                              ;   in Loop: Header=BB5_43 Depth=1
	s_bcnt1_i32_b64 s15, s[28:29]
	v_mov_b32_e32 v25, s15
	s_waitcnt vmcnt(0)
	global_atomic_add_x2 v[0:1], v[25:26], off offset:8
.LBB5_112:                              ;   in Loop: Header=BB5_43 Depth=1
	s_or_b64 exec, exec, s[26:27]
	s_waitcnt vmcnt(0)
	global_load_dwordx2 v[2:3], v[0:1], off offset:16
	s_waitcnt vmcnt(0)
	v_cmp_eq_u64_e32 vcc, 0, v[2:3]
	s_cbranch_vccnz .LBB5_114
; %bb.113:                              ;   in Loop: Header=BB5_43 Depth=1
	global_load_dword v25, v[0:1], off offset:24
	s_waitcnt vmcnt(0)
	v_and_b32_e32 v0, 0xffffff, v25
	v_readfirstlane_b32 m0, v0
	global_store_dwordx2 v[2:3], v[25:26], off
	s_sendmsg sendmsg(MSG_INTERRUPT)
.LBB5_114:                              ;   in Loop: Header=BB5_43 Depth=1
	s_or_b64 exec, exec, s[24:25]
	v_add_co_u32_e32 v0, vcc, v24, v31
	v_addc_co_u32_e32 v1, vcc, 0, v30, vcc
	s_branch .LBB5_118
.LBB5_115:                              ;   in Loop: Header=BB5_118 Depth=2
	s_or_b64 exec, exec, s[24:25]
	v_readfirstlane_b32 s15, v2
	s_cmp_eq_u32 s15, 0
	s_cbranch_scc1 .LBB5_117
; %bb.116:                              ;   in Loop: Header=BB5_118 Depth=2
	s_sleep 1
	s_cbranch_execnz .LBB5_118
	s_branch .LBB5_120
.LBB5_117:                              ;   in Loop: Header=BB5_43 Depth=1
	s_branch .LBB5_120
.LBB5_118:                              ;   Parent Loop BB5_43 Depth=1
                                        ; =>  This Inner Loop Header: Depth=2
	v_mov_b32_e32 v2, 1
	s_and_saveexec_b64 s[24:25], s[4:5]
	s_cbranch_execz .LBB5_115
; %bb.119:                              ;   in Loop: Header=BB5_118 Depth=2
	global_load_dword v2, v[27:28], off offset:20 glc
	s_waitcnt vmcnt(0)
	buffer_wbinvl1_vol
	v_and_b32_e32 v2, 1, v2
	s_branch .LBB5_115
.LBB5_120:                              ;   in Loop: Header=BB5_43 Depth=1
	global_load_dwordx4 v[0:3], v[0:1], off
	s_and_saveexec_b64 s[24:25], s[4:5]
	s_cbranch_execz .LBB5_42
; %bb.121:                              ;   in Loop: Header=BB5_43 Depth=1
	global_load_dwordx2 v[2:3], v26, s[6:7] offset:40
	global_load_dwordx2 v[6:7], v26, s[6:7] offset:24 glc
	global_load_dwordx2 v[13:14], v26, s[6:7]
	v_mov_b32_e32 v11, s23
	s_waitcnt vmcnt(2)
	v_add_co_u32_e32 v12, vcc, 1, v2
	v_addc_co_u32_e32 v15, vcc, 0, v3, vcc
	v_add_co_u32_e32 v10, vcc, s22, v12
	v_addc_co_u32_e32 v11, vcc, v15, v11, vcc
	v_cmp_eq_u64_e32 vcc, 0, v[10:11]
	v_cndmask_b32_e32 v11, v11, v15, vcc
	v_cndmask_b32_e32 v10, v10, v12, vcc
	v_and_b32_e32 v3, v11, v3
	v_and_b32_e32 v2, v10, v2
	v_mul_lo_u32 v3, v3, 24
	v_mul_hi_u32 v15, v2, 24
	v_mul_lo_u32 v2, v2, 24
	s_waitcnt vmcnt(1)
	v_mov_b32_e32 v12, v6
	v_add_u32_e32 v3, v15, v3
	s_waitcnt vmcnt(0)
	v_add_co_u32_e32 v2, vcc, v13, v2
	v_addc_co_u32_e32 v3, vcc, v14, v3, vcc
	global_store_dwordx2 v[2:3], v[6:7], off
	v_mov_b32_e32 v13, v7
	s_waitcnt vmcnt(0)
	global_atomic_cmpswap_x2 v[12:13], v26, v[10:13], s[6:7] offset:24 glc
	s_waitcnt vmcnt(0)
	v_cmp_ne_u64_e32 vcc, v[12:13], v[6:7]
	s_and_b64 exec, exec, vcc
	s_cbranch_execz .LBB5_42
; %bb.122:                              ;   in Loop: Header=BB5_43 Depth=1
	s_mov_b64 s[4:5], 0
.LBB5_123:                              ;   Parent Loop BB5_43 Depth=1
                                        ; =>  This Inner Loop Header: Depth=2
	s_sleep 1
	global_store_dwordx2 v[2:3], v[12:13], off
	s_waitcnt vmcnt(0)
	global_atomic_cmpswap_x2 v[6:7], v26, v[10:13], s[6:7] offset:24 glc
	s_waitcnt vmcnt(0)
	v_cmp_eq_u64_e32 vcc, v[6:7], v[12:13]
	v_mov_b32_e32 v13, v7
	s_or_b64 s[4:5], vcc, s[4:5]
	v_mov_b32_e32 v12, v6
	s_andn2_b64 exec, exec, s[4:5]
	s_cbranch_execnz .LBB5_123
	s_branch .LBB5_42
.LBB5_124:
	s_branch .LBB5_152
.LBB5_125:
                                        ; implicit-def: $vgpr0_vgpr1
	s_cbranch_execz .LBB5_152
; %bb.126:
	v_readfirstlane_b32 s4, v32
	v_mov_b32_e32 v7, 0
	v_mov_b32_e32 v8, 0
	v_cmp_eq_u32_e64 s[4:5], s4, v32
	s_and_saveexec_b64 s[16:17], s[4:5]
	s_cbranch_execz .LBB5_132
; %bb.127:
	s_waitcnt vmcnt(0)
	v_mov_b32_e32 v0, 0
	global_load_dwordx2 v[9:10], v0, s[6:7] offset:24 glc
	s_waitcnt vmcnt(0)
	buffer_wbinvl1_vol
	global_load_dwordx2 v[1:2], v0, s[6:7] offset:40
	global_load_dwordx2 v[6:7], v0, s[6:7]
	s_waitcnt vmcnt(1)
	v_and_b32_e32 v1, v1, v9
	v_and_b32_e32 v2, v2, v10
	v_mul_lo_u32 v2, v2, 24
	v_mul_hi_u32 v3, v1, 24
	v_mul_lo_u32 v1, v1, 24
	v_add_u32_e32 v2, v3, v2
	s_waitcnt vmcnt(0)
	v_add_co_u32_e32 v1, vcc, v6, v1
	v_addc_co_u32_e32 v2, vcc, v7, v2, vcc
	global_load_dwordx2 v[7:8], v[1:2], off glc
	s_waitcnt vmcnt(0)
	global_atomic_cmpswap_x2 v[7:8], v0, v[7:10], s[6:7] offset:24 glc
	s_waitcnt vmcnt(0)
	buffer_wbinvl1_vol
	v_cmp_ne_u64_e32 vcc, v[7:8], v[9:10]
	s_and_saveexec_b64 s[18:19], vcc
	s_cbranch_execz .LBB5_131
; %bb.128:
	s_mov_b64 s[20:21], 0
.LBB5_129:                              ; =>This Inner Loop Header: Depth=1
	s_sleep 1
	global_load_dwordx2 v[1:2], v0, s[6:7] offset:40
	global_load_dwordx2 v[11:12], v0, s[6:7]
	v_mov_b32_e32 v10, v8
	v_mov_b32_e32 v9, v7
	s_waitcnt vmcnt(1)
	v_and_b32_e32 v1, v1, v9
	s_waitcnt vmcnt(0)
	v_mad_u64_u32 v[6:7], s[22:23], v1, 24, v[11:12]
	v_and_b32_e32 v2, v2, v10
	v_mov_b32_e32 v1, v7
	v_mad_u64_u32 v[1:2], s[22:23], v2, 24, v[1:2]
	v_mov_b32_e32 v7, v1
	global_load_dwordx2 v[7:8], v[6:7], off glc
	s_waitcnt vmcnt(0)
	global_atomic_cmpswap_x2 v[7:8], v0, v[7:10], s[6:7] offset:24 glc
	s_waitcnt vmcnt(0)
	buffer_wbinvl1_vol
	v_cmp_eq_u64_e32 vcc, v[7:8], v[9:10]
	s_or_b64 s[20:21], vcc, s[20:21]
	s_andn2_b64 exec, exec, s[20:21]
	s_cbranch_execnz .LBB5_129
; %bb.130:
	s_or_b64 exec, exec, s[20:21]
.LBB5_131:
	s_or_b64 exec, exec, s[18:19]
.LBB5_132:
	s_or_b64 exec, exec, s[16:17]
	v_mov_b32_e32 v6, 0
	global_load_dwordx2 v[9:10], v6, s[6:7] offset:40
	global_load_dwordx4 v[0:3], v6, s[6:7]
	v_readfirstlane_b32 s16, v7
	v_readfirstlane_b32 s17, v8
	s_mov_b64 s[18:19], exec
	s_waitcnt vmcnt(1)
	v_readfirstlane_b32 s20, v9
	v_readfirstlane_b32 s21, v10
	s_and_b64 s[20:21], s[16:17], s[20:21]
	s_mul_i32 s15, s21, 24
	s_mul_hi_u32 s22, s20, 24
	s_mul_i32 s23, s20, 24
	s_add_i32 s15, s22, s15
	v_mov_b32_e32 v7, s15
	s_waitcnt vmcnt(0)
	v_add_co_u32_e32 v8, vcc, s23, v0
	v_addc_co_u32_e32 v9, vcc, v1, v7, vcc
	s_and_saveexec_b64 s[22:23], s[4:5]
	s_cbranch_execz .LBB5_134
; %bb.133:
	v_mov_b32_e32 v10, s18
	v_mov_b32_e32 v11, s19
	;; [unrolled: 1-line block ×4, first 2 shown]
	global_store_dwordx4 v[8:9], v[10:13], off offset:8
.LBB5_134:
	s_or_b64 exec, exec, s[22:23]
	s_lshl_b64 s[18:19], s[20:21], 12
	v_mov_b32_e32 v7, s19
	v_add_co_u32_e32 v2, vcc, s18, v2
	v_addc_co_u32_e32 v3, vcc, v3, v7, vcc
	s_movk_i32 s15, 0xff1f
	v_and_or_b32 v4, v4, s15, 32
	v_add_co_u32_e32 v10, vcc, v2, v31
	s_mov_b32 s20, 0
	v_mov_b32_e32 v7, v6
	v_readfirstlane_b32 s18, v2
	v_readfirstlane_b32 s19, v3
	v_addc_co_u32_e32 v11, vcc, 0, v3, vcc
	s_mov_b32 s21, s20
	s_mov_b32 s22, s20
	;; [unrolled: 1-line block ×3, first 2 shown]
	s_nop 0
	global_store_dwordx4 v31, v[4:7], s[18:19]
	v_mov_b32_e32 v2, s20
	v_mov_b32_e32 v3, s21
	;; [unrolled: 1-line block ×4, first 2 shown]
	global_store_dwordx4 v31, v[2:5], s[18:19] offset:16
	global_store_dwordx4 v31, v[2:5], s[18:19] offset:32
	;; [unrolled: 1-line block ×3, first 2 shown]
	s_and_saveexec_b64 s[18:19], s[4:5]
	s_cbranch_execz .LBB5_142
; %bb.135:
	v_mov_b32_e32 v6, 0
	global_load_dwordx2 v[14:15], v6, s[6:7] offset:32 glc
	global_load_dwordx2 v[2:3], v6, s[6:7] offset:40
	v_mov_b32_e32 v12, s16
	v_mov_b32_e32 v13, s17
	s_waitcnt vmcnt(0)
	v_readfirstlane_b32 s20, v2
	v_readfirstlane_b32 s21, v3
	s_and_b64 s[20:21], s[20:21], s[16:17]
	s_mul_i32 s15, s21, 24
	s_mul_hi_u32 s21, s20, 24
	s_mul_i32 s20, s20, 24
	s_add_i32 s15, s21, s15
	v_mov_b32_e32 v2, s15
	v_add_co_u32_e32 v4, vcc, s20, v0
	v_addc_co_u32_e32 v5, vcc, v1, v2, vcc
	global_store_dwordx2 v[4:5], v[14:15], off
	s_waitcnt vmcnt(0)
	global_atomic_cmpswap_x2 v[2:3], v6, v[12:15], s[6:7] offset:32 glc
	s_waitcnt vmcnt(0)
	v_cmp_ne_u64_e32 vcc, v[2:3], v[14:15]
	s_and_saveexec_b64 s[20:21], vcc
	s_cbranch_execz .LBB5_138
; %bb.136:
	s_mov_b64 s[22:23], 0
.LBB5_137:                              ; =>This Inner Loop Header: Depth=1
	s_sleep 1
	global_store_dwordx2 v[4:5], v[2:3], off
	v_mov_b32_e32 v0, s16
	v_mov_b32_e32 v1, s17
	s_waitcnt vmcnt(0)
	global_atomic_cmpswap_x2 v[0:1], v6, v[0:3], s[6:7] offset:32 glc
	s_waitcnt vmcnt(0)
	v_cmp_eq_u64_e32 vcc, v[0:1], v[2:3]
	v_mov_b32_e32 v3, v1
	s_or_b64 s[22:23], vcc, s[22:23]
	v_mov_b32_e32 v2, v0
	s_andn2_b64 exec, exec, s[22:23]
	s_cbranch_execnz .LBB5_137
.LBB5_138:
	s_or_b64 exec, exec, s[20:21]
	v_mov_b32_e32 v3, 0
	global_load_dwordx2 v[0:1], v3, s[6:7] offset:16
	s_mov_b64 s[20:21], exec
	v_mbcnt_lo_u32_b32 v2, s20, 0
	v_mbcnt_hi_u32_b32 v2, s21, v2
	v_cmp_eq_u32_e32 vcc, 0, v2
	s_and_saveexec_b64 s[22:23], vcc
	s_cbranch_execz .LBB5_140
; %bb.139:
	s_bcnt1_i32_b64 s15, s[20:21]
	v_mov_b32_e32 v2, s15
	s_waitcnt vmcnt(0)
	global_atomic_add_x2 v[0:1], v[2:3], off offset:8
.LBB5_140:
	s_or_b64 exec, exec, s[22:23]
	s_waitcnt vmcnt(0)
	global_load_dwordx2 v[2:3], v[0:1], off offset:16
	s_waitcnt vmcnt(0)
	v_cmp_eq_u64_e32 vcc, 0, v[2:3]
	s_cbranch_vccnz .LBB5_142
; %bb.141:
	global_load_dword v0, v[0:1], off offset:24
	v_mov_b32_e32 v1, 0
	s_waitcnt vmcnt(0)
	global_store_dwordx2 v[2:3], v[0:1], off
	v_and_b32_e32 v0, 0xffffff, v0
	v_readfirstlane_b32 m0, v0
	s_sendmsg sendmsg(MSG_INTERRUPT)
.LBB5_142:
	s_or_b64 exec, exec, s[18:19]
	s_branch .LBB5_146
.LBB5_143:                              ;   in Loop: Header=BB5_146 Depth=1
	s_or_b64 exec, exec, s[18:19]
	v_readfirstlane_b32 s15, v0
	s_cmp_eq_u32 s15, 0
	s_cbranch_scc1 .LBB5_145
; %bb.144:                              ;   in Loop: Header=BB5_146 Depth=1
	s_sleep 1
	s_cbranch_execnz .LBB5_146
	s_branch .LBB5_148
.LBB5_145:
	s_branch .LBB5_148
.LBB5_146:                              ; =>This Inner Loop Header: Depth=1
	v_mov_b32_e32 v0, 1
	s_and_saveexec_b64 s[18:19], s[4:5]
	s_cbranch_execz .LBB5_143
; %bb.147:                              ;   in Loop: Header=BB5_146 Depth=1
	global_load_dword v0, v[8:9], off offset:20 glc
	s_waitcnt vmcnt(0)
	buffer_wbinvl1_vol
	v_and_b32_e32 v0, 1, v0
	s_branch .LBB5_143
.LBB5_148:
	global_load_dwordx2 v[0:1], v[10:11], off
	s_and_saveexec_b64 s[18:19], s[4:5]
	s_cbranch_execz .LBB5_151
; %bb.149:
	v_mov_b32_e32 v8, 0
	global_load_dwordx2 v[4:5], v8, s[6:7] offset:40
	global_load_dwordx2 v[9:10], v8, s[6:7] offset:24 glc
	global_load_dwordx2 v[6:7], v8, s[6:7]
	v_mov_b32_e32 v3, s17
	s_mov_b64 s[4:5], 0
	s_waitcnt vmcnt(2)
	v_add_co_u32_e32 v11, vcc, 1, v4
	v_addc_co_u32_e32 v12, vcc, 0, v5, vcc
	v_add_co_u32_e32 v2, vcc, s16, v11
	v_addc_co_u32_e32 v3, vcc, v12, v3, vcc
	v_cmp_eq_u64_e32 vcc, 0, v[2:3]
	v_cndmask_b32_e32 v3, v3, v12, vcc
	v_cndmask_b32_e32 v2, v2, v11, vcc
	v_and_b32_e32 v5, v3, v5
	v_and_b32_e32 v4, v2, v4
	v_mul_lo_u32 v5, v5, 24
	v_mul_hi_u32 v11, v4, 24
	v_mul_lo_u32 v12, v4, 24
	s_waitcnt vmcnt(1)
	v_mov_b32_e32 v4, v9
	v_add_u32_e32 v5, v11, v5
	s_waitcnt vmcnt(0)
	v_add_co_u32_e32 v6, vcc, v6, v12
	v_addc_co_u32_e32 v7, vcc, v7, v5, vcc
	global_store_dwordx2 v[6:7], v[9:10], off
	v_mov_b32_e32 v5, v10
	s_waitcnt vmcnt(0)
	global_atomic_cmpswap_x2 v[4:5], v8, v[2:5], s[6:7] offset:24 glc
	s_waitcnt vmcnt(0)
	v_cmp_ne_u64_e32 vcc, v[4:5], v[9:10]
	s_and_b64 exec, exec, vcc
	s_cbranch_execz .LBB5_151
.LBB5_150:                              ; =>This Inner Loop Header: Depth=1
	s_sleep 1
	global_store_dwordx2 v[6:7], v[4:5], off
	s_waitcnt vmcnt(0)
	global_atomic_cmpswap_x2 v[9:10], v8, v[2:5], s[6:7] offset:24 glc
	s_waitcnt vmcnt(0)
	v_cmp_eq_u64_e32 vcc, v[9:10], v[4:5]
	v_mov_b32_e32 v4, v9
	s_or_b64 s[4:5], vcc, s[4:5]
	v_mov_b32_e32 v5, v10
	s_andn2_b64 exec, exec, s[4:5]
	s_cbranch_execnz .LBB5_150
.LBB5_151:
	s_or_b64 exec, exec, s[18:19]
.LBB5_152:
	s_getpc_b64 s[16:17]
	s_add_u32 s16, s16, __PRETTY_FUNCTION__._ZL19merge_reverse_orderRN8migraphx4test12test_managerE@rel32@lo+4
	s_addc_u32 s17, s17, __PRETTY_FUNCTION__._ZL19merge_reverse_orderRN8migraphx4test12test_managerE@rel32@hi+12
	s_cmp_lg_u64 s[16:17], 0
	s_cbranch_scc0 .LBB5_237
; %bb.153:
	s_waitcnt vmcnt(0)
	v_and_b32_e32 v6, -3, v0
	v_mov_b32_e32 v7, v1
	s_mov_b64 s[18:19], 57
	v_mov_b32_e32 v26, 0
	v_mov_b32_e32 v4, 2
	;; [unrolled: 1-line block ×3, first 2 shown]
	s_branch .LBB5_155
.LBB5_154:                              ;   in Loop: Header=BB5_155 Depth=1
	s_or_b64 exec, exec, s[24:25]
	s_sub_u32 s18, s18, s20
	s_subb_u32 s19, s19, s21
	s_add_u32 s16, s16, s20
	s_addc_u32 s17, s17, s21
	s_cmp_lg_u64 s[18:19], 0
	s_cbranch_scc0 .LBB5_236
.LBB5_155:                              ; =>This Loop Header: Depth=1
                                        ;     Child Loop BB5_158 Depth 2
                                        ;     Child Loop BB5_165 Depth 2
	;; [unrolled: 1-line block ×11, first 2 shown]
	v_cmp_lt_u64_e64 s[4:5], s[18:19], 56
	v_cmp_gt_u64_e64 s[22:23], s[18:19], 7
	s_and_b64 s[4:5], s[4:5], exec
	s_cselect_b32 s21, s19, 0
	s_cselect_b32 s20, s18, 56
	s_and_b64 vcc, exec, s[22:23]
	s_cbranch_vccnz .LBB5_160
; %bb.156:                              ;   in Loop: Header=BB5_155 Depth=1
	s_waitcnt vmcnt(0)
	v_mov_b32_e32 v8, 0
	s_cmp_eq_u64 s[18:19], 0
	v_mov_b32_e32 v9, 0
	s_mov_b64 s[4:5], 0
	s_cbranch_scc1 .LBB5_159
; %bb.157:                              ;   in Loop: Header=BB5_155 Depth=1
	v_mov_b32_e32 v8, 0
	s_lshl_b64 s[22:23], s[20:21], 3
	s_mov_b64 s[24:25], 0
	v_mov_b32_e32 v9, 0
	s_mov_b64 s[26:27], s[16:17]
.LBB5_158:                              ;   Parent Loop BB5_155 Depth=1
                                        ; =>  This Inner Loop Header: Depth=2
	global_load_ubyte v2, v26, s[26:27]
	s_waitcnt vmcnt(0)
	v_and_b32_e32 v25, 0xffff, v2
	v_lshlrev_b64 v[2:3], s24, v[25:26]
	s_add_u32 s24, s24, 8
	s_addc_u32 s25, s25, 0
	s_add_u32 s26, s26, 1
	s_addc_u32 s27, s27, 0
	v_or_b32_e32 v8, v2, v8
	s_cmp_lg_u32 s22, s24
	v_or_b32_e32 v9, v3, v9
	s_cbranch_scc1 .LBB5_158
.LBB5_159:                              ;   in Loop: Header=BB5_155 Depth=1
	s_mov_b32 s15, 0
	s_andn2_b64 vcc, exec, s[4:5]
	s_mov_b64 s[4:5], s[16:17]
	s_cbranch_vccz .LBB5_161
	s_branch .LBB5_162
.LBB5_160:                              ;   in Loop: Header=BB5_155 Depth=1
                                        ; implicit-def: $sgpr15
	s_mov_b64 s[4:5], s[16:17]
.LBB5_161:                              ;   in Loop: Header=BB5_155 Depth=1
	global_load_dwordx2 v[8:9], v26, s[16:17]
	s_add_i32 s15, s20, -8
	s_add_u32 s4, s16, 8
	s_addc_u32 s5, s17, 0
.LBB5_162:                              ;   in Loop: Header=BB5_155 Depth=1
	s_cmp_gt_u32 s15, 7
	s_cbranch_scc1 .LBB5_166
; %bb.163:                              ;   in Loop: Header=BB5_155 Depth=1
	s_cmp_eq_u32 s15, 0
	s_cbranch_scc1 .LBB5_167
; %bb.164:                              ;   in Loop: Header=BB5_155 Depth=1
	v_mov_b32_e32 v10, 0
	s_mov_b64 s[22:23], 0
	v_mov_b32_e32 v11, 0
	s_mov_b64 s[24:25], 0
.LBB5_165:                              ;   Parent Loop BB5_155 Depth=1
                                        ; =>  This Inner Loop Header: Depth=2
	s_add_u32 s26, s4, s24
	s_addc_u32 s27, s5, s25
	global_load_ubyte v2, v26, s[26:27]
	s_add_u32 s24, s24, 1
	s_addc_u32 s25, s25, 0
	s_waitcnt vmcnt(0)
	v_and_b32_e32 v25, 0xffff, v2
	v_lshlrev_b64 v[2:3], s22, v[25:26]
	s_add_u32 s22, s22, 8
	s_addc_u32 s23, s23, 0
	v_or_b32_e32 v10, v2, v10
	s_cmp_lg_u32 s15, s24
	v_or_b32_e32 v11, v3, v11
	s_cbranch_scc1 .LBB5_165
	s_branch .LBB5_168
.LBB5_166:                              ;   in Loop: Header=BB5_155 Depth=1
                                        ; implicit-def: $vgpr10_vgpr11
                                        ; implicit-def: $sgpr26
	s_branch .LBB5_169
.LBB5_167:                              ;   in Loop: Header=BB5_155 Depth=1
	v_mov_b32_e32 v10, 0
	v_mov_b32_e32 v11, 0
.LBB5_168:                              ;   in Loop: Header=BB5_155 Depth=1
	s_mov_b32 s26, 0
	s_cbranch_execnz .LBB5_170
.LBB5_169:                              ;   in Loop: Header=BB5_155 Depth=1
	global_load_dwordx2 v[10:11], v26, s[4:5]
	s_add_i32 s26, s15, -8
	s_add_u32 s4, s4, 8
	s_addc_u32 s5, s5, 0
.LBB5_170:                              ;   in Loop: Header=BB5_155 Depth=1
	s_cmp_gt_u32 s26, 7
	s_cbranch_scc1 .LBB5_174
; %bb.171:                              ;   in Loop: Header=BB5_155 Depth=1
	s_cmp_eq_u32 s26, 0
	s_cbranch_scc1 .LBB5_175
; %bb.172:                              ;   in Loop: Header=BB5_155 Depth=1
	v_mov_b32_e32 v12, 0
	s_mov_b64 s[22:23], 0
	v_mov_b32_e32 v13, 0
	s_mov_b64 s[24:25], 0
.LBB5_173:                              ;   Parent Loop BB5_155 Depth=1
                                        ; =>  This Inner Loop Header: Depth=2
	s_add_u32 s28, s4, s24
	s_addc_u32 s29, s5, s25
	global_load_ubyte v2, v26, s[28:29]
	s_add_u32 s24, s24, 1
	s_addc_u32 s25, s25, 0
	s_waitcnt vmcnt(0)
	v_and_b32_e32 v25, 0xffff, v2
	v_lshlrev_b64 v[2:3], s22, v[25:26]
	s_add_u32 s22, s22, 8
	s_addc_u32 s23, s23, 0
	v_or_b32_e32 v12, v2, v12
	s_cmp_lg_u32 s26, s24
	v_or_b32_e32 v13, v3, v13
	s_cbranch_scc1 .LBB5_173
	s_branch .LBB5_176
.LBB5_174:                              ;   in Loop: Header=BB5_155 Depth=1
                                        ; implicit-def: $sgpr15
	s_branch .LBB5_177
.LBB5_175:                              ;   in Loop: Header=BB5_155 Depth=1
	v_mov_b32_e32 v12, 0
	v_mov_b32_e32 v13, 0
.LBB5_176:                              ;   in Loop: Header=BB5_155 Depth=1
	s_mov_b32 s15, 0
	s_cbranch_execnz .LBB5_178
.LBB5_177:                              ;   in Loop: Header=BB5_155 Depth=1
	global_load_dwordx2 v[12:13], v26, s[4:5]
	s_add_i32 s15, s26, -8
	s_add_u32 s4, s4, 8
	s_addc_u32 s5, s5, 0
.LBB5_178:                              ;   in Loop: Header=BB5_155 Depth=1
	s_cmp_gt_u32 s15, 7
	s_cbranch_scc1 .LBB5_182
; %bb.179:                              ;   in Loop: Header=BB5_155 Depth=1
	s_cmp_eq_u32 s15, 0
	s_cbranch_scc1 .LBB5_183
; %bb.180:                              ;   in Loop: Header=BB5_155 Depth=1
	v_mov_b32_e32 v14, 0
	s_mov_b64 s[22:23], 0
	v_mov_b32_e32 v15, 0
	s_mov_b64 s[24:25], 0
.LBB5_181:                              ;   Parent Loop BB5_155 Depth=1
                                        ; =>  This Inner Loop Header: Depth=2
	s_add_u32 s26, s4, s24
	s_addc_u32 s27, s5, s25
	global_load_ubyte v2, v26, s[26:27]
	s_add_u32 s24, s24, 1
	s_addc_u32 s25, s25, 0
	s_waitcnt vmcnt(0)
	v_and_b32_e32 v25, 0xffff, v2
	v_lshlrev_b64 v[2:3], s22, v[25:26]
	s_add_u32 s22, s22, 8
	s_addc_u32 s23, s23, 0
	v_or_b32_e32 v14, v2, v14
	s_cmp_lg_u32 s15, s24
	v_or_b32_e32 v15, v3, v15
	s_cbranch_scc1 .LBB5_181
	s_branch .LBB5_184
.LBB5_182:                              ;   in Loop: Header=BB5_155 Depth=1
                                        ; implicit-def: $vgpr14_vgpr15
                                        ; implicit-def: $sgpr26
	s_branch .LBB5_185
.LBB5_183:                              ;   in Loop: Header=BB5_155 Depth=1
	v_mov_b32_e32 v14, 0
	v_mov_b32_e32 v15, 0
.LBB5_184:                              ;   in Loop: Header=BB5_155 Depth=1
	s_mov_b32 s26, 0
	s_cbranch_execnz .LBB5_186
.LBB5_185:                              ;   in Loop: Header=BB5_155 Depth=1
	global_load_dwordx2 v[14:15], v26, s[4:5]
	s_add_i32 s26, s15, -8
	s_add_u32 s4, s4, 8
	s_addc_u32 s5, s5, 0
.LBB5_186:                              ;   in Loop: Header=BB5_155 Depth=1
	s_cmp_gt_u32 s26, 7
	s_cbranch_scc1 .LBB5_190
; %bb.187:                              ;   in Loop: Header=BB5_155 Depth=1
	s_cmp_eq_u32 s26, 0
	s_cbranch_scc1 .LBB5_191
; %bb.188:                              ;   in Loop: Header=BB5_155 Depth=1
	v_mov_b32_e32 v16, 0
	s_mov_b64 s[22:23], 0
	v_mov_b32_e32 v17, 0
	s_mov_b64 s[24:25], 0
.LBB5_189:                              ;   Parent Loop BB5_155 Depth=1
                                        ; =>  This Inner Loop Header: Depth=2
	s_add_u32 s28, s4, s24
	s_addc_u32 s29, s5, s25
	global_load_ubyte v2, v26, s[28:29]
	s_add_u32 s24, s24, 1
	s_addc_u32 s25, s25, 0
	s_waitcnt vmcnt(0)
	v_and_b32_e32 v25, 0xffff, v2
	v_lshlrev_b64 v[2:3], s22, v[25:26]
	s_add_u32 s22, s22, 8
	s_addc_u32 s23, s23, 0
	v_or_b32_e32 v16, v2, v16
	s_cmp_lg_u32 s26, s24
	v_or_b32_e32 v17, v3, v17
	s_cbranch_scc1 .LBB5_189
	s_branch .LBB5_192
.LBB5_190:                              ;   in Loop: Header=BB5_155 Depth=1
                                        ; implicit-def: $sgpr15
	s_branch .LBB5_193
.LBB5_191:                              ;   in Loop: Header=BB5_155 Depth=1
	v_mov_b32_e32 v16, 0
	v_mov_b32_e32 v17, 0
.LBB5_192:                              ;   in Loop: Header=BB5_155 Depth=1
	s_mov_b32 s15, 0
	s_cbranch_execnz .LBB5_194
.LBB5_193:                              ;   in Loop: Header=BB5_155 Depth=1
	global_load_dwordx2 v[16:17], v26, s[4:5]
	s_add_i32 s15, s26, -8
	s_add_u32 s4, s4, 8
	s_addc_u32 s5, s5, 0
.LBB5_194:                              ;   in Loop: Header=BB5_155 Depth=1
	s_cmp_gt_u32 s15, 7
	s_cbranch_scc1 .LBB5_198
; %bb.195:                              ;   in Loop: Header=BB5_155 Depth=1
	s_cmp_eq_u32 s15, 0
	s_cbranch_scc1 .LBB5_199
; %bb.196:                              ;   in Loop: Header=BB5_155 Depth=1
	v_mov_b32_e32 v18, 0
	s_mov_b64 s[22:23], 0
	v_mov_b32_e32 v19, 0
	s_mov_b64 s[24:25], 0
.LBB5_197:                              ;   Parent Loop BB5_155 Depth=1
                                        ; =>  This Inner Loop Header: Depth=2
	s_add_u32 s26, s4, s24
	s_addc_u32 s27, s5, s25
	global_load_ubyte v2, v26, s[26:27]
	s_add_u32 s24, s24, 1
	s_addc_u32 s25, s25, 0
	s_waitcnt vmcnt(0)
	v_and_b32_e32 v25, 0xffff, v2
	v_lshlrev_b64 v[2:3], s22, v[25:26]
	s_add_u32 s22, s22, 8
	s_addc_u32 s23, s23, 0
	v_or_b32_e32 v18, v2, v18
	s_cmp_lg_u32 s15, s24
	v_or_b32_e32 v19, v3, v19
	s_cbranch_scc1 .LBB5_197
	s_branch .LBB5_200
.LBB5_198:                              ;   in Loop: Header=BB5_155 Depth=1
                                        ; implicit-def: $vgpr18_vgpr19
                                        ; implicit-def: $sgpr26
	s_branch .LBB5_201
.LBB5_199:                              ;   in Loop: Header=BB5_155 Depth=1
	v_mov_b32_e32 v18, 0
	v_mov_b32_e32 v19, 0
.LBB5_200:                              ;   in Loop: Header=BB5_155 Depth=1
	s_mov_b32 s26, 0
	s_cbranch_execnz .LBB5_202
.LBB5_201:                              ;   in Loop: Header=BB5_155 Depth=1
	global_load_dwordx2 v[18:19], v26, s[4:5]
	s_add_i32 s26, s15, -8
	s_add_u32 s4, s4, 8
	s_addc_u32 s5, s5, 0
.LBB5_202:                              ;   in Loop: Header=BB5_155 Depth=1
	s_cmp_gt_u32 s26, 7
	s_cbranch_scc1 .LBB5_206
; %bb.203:                              ;   in Loop: Header=BB5_155 Depth=1
	s_cmp_eq_u32 s26, 0
	s_cbranch_scc1 .LBB5_207
; %bb.204:                              ;   in Loop: Header=BB5_155 Depth=1
	v_mov_b32_e32 v20, 0
	s_mov_b64 s[22:23], 0
	v_mov_b32_e32 v21, 0
	s_mov_b64 s[24:25], s[4:5]
.LBB5_205:                              ;   Parent Loop BB5_155 Depth=1
                                        ; =>  This Inner Loop Header: Depth=2
	global_load_ubyte v2, v26, s[24:25]
	s_add_i32 s26, s26, -1
	s_waitcnt vmcnt(0)
	v_and_b32_e32 v25, 0xffff, v2
	v_lshlrev_b64 v[2:3], s22, v[25:26]
	s_add_u32 s22, s22, 8
	s_addc_u32 s23, s23, 0
	s_add_u32 s24, s24, 1
	s_addc_u32 s25, s25, 0
	v_or_b32_e32 v20, v2, v20
	s_cmp_lg_u32 s26, 0
	v_or_b32_e32 v21, v3, v21
	s_cbranch_scc1 .LBB5_205
	s_branch .LBB5_208
.LBB5_206:                              ;   in Loop: Header=BB5_155 Depth=1
	s_branch .LBB5_209
.LBB5_207:                              ;   in Loop: Header=BB5_155 Depth=1
	v_mov_b32_e32 v20, 0
	v_mov_b32_e32 v21, 0
.LBB5_208:                              ;   in Loop: Header=BB5_155 Depth=1
	s_cbranch_execnz .LBB5_210
.LBB5_209:                              ;   in Loop: Header=BB5_155 Depth=1
	global_load_dwordx2 v[20:21], v26, s[4:5]
.LBB5_210:                              ;   in Loop: Header=BB5_155 Depth=1
	v_readfirstlane_b32 s4, v32
	v_mov_b32_e32 v2, 0
	v_mov_b32_e32 v3, 0
	v_cmp_eq_u32_e64 s[4:5], s4, v32
	s_and_saveexec_b64 s[22:23], s[4:5]
	s_cbranch_execz .LBB5_216
; %bb.211:                              ;   in Loop: Header=BB5_155 Depth=1
	global_load_dwordx2 v[24:25], v26, s[6:7] offset:24 glc
	s_waitcnt vmcnt(0)
	buffer_wbinvl1_vol
	global_load_dwordx2 v[2:3], v26, s[6:7] offset:40
	global_load_dwordx2 v[22:23], v26, s[6:7]
	s_waitcnt vmcnt(1)
	v_and_b32_e32 v2, v2, v24
	v_and_b32_e32 v3, v3, v25
	v_mul_lo_u32 v3, v3, 24
	v_mul_hi_u32 v27, v2, 24
	v_mul_lo_u32 v2, v2, 24
	v_add_u32_e32 v3, v27, v3
	s_waitcnt vmcnt(0)
	v_add_co_u32_e32 v2, vcc, v22, v2
	v_addc_co_u32_e32 v3, vcc, v23, v3, vcc
	global_load_dwordx2 v[22:23], v[2:3], off glc
	s_waitcnt vmcnt(0)
	global_atomic_cmpswap_x2 v[2:3], v26, v[22:25], s[6:7] offset:24 glc
	s_waitcnt vmcnt(0)
	buffer_wbinvl1_vol
	v_cmp_ne_u64_e32 vcc, v[2:3], v[24:25]
	s_and_saveexec_b64 s[24:25], vcc
	s_cbranch_execz .LBB5_215
; %bb.212:                              ;   in Loop: Header=BB5_155 Depth=1
	s_mov_b64 s[26:27], 0
.LBB5_213:                              ;   Parent Loop BB5_155 Depth=1
                                        ; =>  This Inner Loop Header: Depth=2
	s_sleep 1
	global_load_dwordx2 v[22:23], v26, s[6:7] offset:40
	global_load_dwordx2 v[27:28], v26, s[6:7]
	v_mov_b32_e32 v25, v3
	v_mov_b32_e32 v24, v2
	s_waitcnt vmcnt(1)
	v_and_b32_e32 v2, v22, v24
	s_waitcnt vmcnt(0)
	v_mad_u64_u32 v[2:3], s[28:29], v2, 24, v[27:28]
	v_and_b32_e32 v22, v23, v25
	v_mad_u64_u32 v[22:23], s[28:29], v22, 24, v[3:4]
	v_mov_b32_e32 v3, v22
	global_load_dwordx2 v[22:23], v[2:3], off glc
	s_waitcnt vmcnt(0)
	global_atomic_cmpswap_x2 v[2:3], v26, v[22:25], s[6:7] offset:24 glc
	s_waitcnt vmcnt(0)
	buffer_wbinvl1_vol
	v_cmp_eq_u64_e32 vcc, v[2:3], v[24:25]
	s_or_b64 s[26:27], vcc, s[26:27]
	s_andn2_b64 exec, exec, s[26:27]
	s_cbranch_execnz .LBB5_213
; %bb.214:                              ;   in Loop: Header=BB5_155 Depth=1
	s_or_b64 exec, exec, s[26:27]
.LBB5_215:                              ;   in Loop: Header=BB5_155 Depth=1
	s_or_b64 exec, exec, s[24:25]
.LBB5_216:                              ;   in Loop: Header=BB5_155 Depth=1
	s_or_b64 exec, exec, s[22:23]
	global_load_dwordx2 v[27:28], v26, s[6:7] offset:40
	global_load_dwordx4 v[22:25], v26, s[6:7]
	v_readfirstlane_b32 s22, v2
	v_readfirstlane_b32 s23, v3
	s_mov_b64 s[24:25], exec
	s_waitcnt vmcnt(1)
	v_readfirstlane_b32 s26, v27
	v_readfirstlane_b32 s27, v28
	s_and_b64 s[26:27], s[22:23], s[26:27]
	s_mul_i32 s15, s27, 24
	s_mul_hi_u32 s28, s26, 24
	s_mul_i32 s29, s26, 24
	s_add_i32 s15, s28, s15
	v_mov_b32_e32 v2, s15
	s_waitcnt vmcnt(0)
	v_add_co_u32_e32 v27, vcc, s29, v22
	v_addc_co_u32_e32 v28, vcc, v23, v2, vcc
	s_and_saveexec_b64 s[28:29], s[4:5]
	s_cbranch_execz .LBB5_218
; %bb.217:                              ;   in Loop: Header=BB5_155 Depth=1
	v_mov_b32_e32 v2, s24
	v_mov_b32_e32 v3, s25
	global_store_dwordx4 v[27:28], v[2:5], off offset:8
.LBB5_218:                              ;   in Loop: Header=BB5_155 Depth=1
	s_or_b64 exec, exec, s[28:29]
	s_lshl_b64 s[24:25], s[26:27], 12
	v_mov_b32_e32 v2, s25
	v_add_co_u32_e32 v24, vcc, s24, v24
	v_addc_co_u32_e32 v29, vcc, v25, v2, vcc
	v_cmp_gt_u64_e64 vcc, s[18:19], 56
	v_or_b32_e32 v2, 2, v6
	s_lshl_b32 s15, s20, 2
	v_cndmask_b32_e32 v2, v2, v6, vcc
	s_add_i32 s15, s15, 28
	s_and_b32 s15, s15, 0x1e0
	v_and_b32_e32 v2, 0xffffff1f, v2
	v_or_b32_e32 v6, s15, v2
	v_readfirstlane_b32 s24, v24
	v_readfirstlane_b32 s25, v29
	s_nop 4
	global_store_dwordx4 v31, v[6:9], s[24:25]
	global_store_dwordx4 v31, v[10:13], s[24:25] offset:16
	global_store_dwordx4 v31, v[14:17], s[24:25] offset:32
	;; [unrolled: 1-line block ×3, first 2 shown]
	s_and_saveexec_b64 s[24:25], s[4:5]
	s_cbranch_execz .LBB5_226
; %bb.219:                              ;   in Loop: Header=BB5_155 Depth=1
	global_load_dwordx2 v[10:11], v26, s[6:7] offset:32 glc
	global_load_dwordx2 v[2:3], v26, s[6:7] offset:40
	v_mov_b32_e32 v8, s22
	v_mov_b32_e32 v9, s23
	s_waitcnt vmcnt(0)
	v_readfirstlane_b32 s26, v2
	v_readfirstlane_b32 s27, v3
	s_and_b64 s[26:27], s[26:27], s[22:23]
	s_mul_i32 s15, s27, 24
	s_mul_hi_u32 s27, s26, 24
	s_mul_i32 s26, s26, 24
	s_add_i32 s15, s27, s15
	v_mov_b32_e32 v3, s15
	v_add_co_u32_e32 v2, vcc, s26, v22
	v_addc_co_u32_e32 v3, vcc, v23, v3, vcc
	global_store_dwordx2 v[2:3], v[10:11], off
	s_waitcnt vmcnt(0)
	global_atomic_cmpswap_x2 v[8:9], v26, v[8:11], s[6:7] offset:32 glc
	s_waitcnt vmcnt(0)
	v_cmp_ne_u64_e32 vcc, v[8:9], v[10:11]
	s_and_saveexec_b64 s[26:27], vcc
	s_cbranch_execz .LBB5_222
; %bb.220:                              ;   in Loop: Header=BB5_155 Depth=1
	s_mov_b64 s[28:29], 0
.LBB5_221:                              ;   Parent Loop BB5_155 Depth=1
                                        ; =>  This Inner Loop Header: Depth=2
	s_sleep 1
	global_store_dwordx2 v[2:3], v[8:9], off
	v_mov_b32_e32 v6, s22
	v_mov_b32_e32 v7, s23
	s_waitcnt vmcnt(0)
	global_atomic_cmpswap_x2 v[6:7], v26, v[6:9], s[6:7] offset:32 glc
	s_waitcnt vmcnt(0)
	v_cmp_eq_u64_e32 vcc, v[6:7], v[8:9]
	v_mov_b32_e32 v9, v7
	s_or_b64 s[28:29], vcc, s[28:29]
	v_mov_b32_e32 v8, v6
	s_andn2_b64 exec, exec, s[28:29]
	s_cbranch_execnz .LBB5_221
.LBB5_222:                              ;   in Loop: Header=BB5_155 Depth=1
	s_or_b64 exec, exec, s[26:27]
	global_load_dwordx2 v[2:3], v26, s[6:7] offset:16
	s_mov_b64 s[28:29], exec
	v_mbcnt_lo_u32_b32 v6, s28, 0
	v_mbcnt_hi_u32_b32 v6, s29, v6
	v_cmp_eq_u32_e32 vcc, 0, v6
	s_and_saveexec_b64 s[26:27], vcc
	s_cbranch_execz .LBB5_224
; %bb.223:                              ;   in Loop: Header=BB5_155 Depth=1
	s_bcnt1_i32_b64 s15, s[28:29]
	v_mov_b32_e32 v25, s15
	s_waitcnt vmcnt(0)
	global_atomic_add_x2 v[2:3], v[25:26], off offset:8
.LBB5_224:                              ;   in Loop: Header=BB5_155 Depth=1
	s_or_b64 exec, exec, s[26:27]
	s_waitcnt vmcnt(0)
	global_load_dwordx2 v[6:7], v[2:3], off offset:16
	s_waitcnt vmcnt(0)
	v_cmp_eq_u64_e32 vcc, 0, v[6:7]
	s_cbranch_vccnz .LBB5_226
; %bb.225:                              ;   in Loop: Header=BB5_155 Depth=1
	global_load_dword v25, v[2:3], off offset:24
	s_waitcnt vmcnt(0)
	v_and_b32_e32 v2, 0xffffff, v25
	v_readfirstlane_b32 m0, v2
	global_store_dwordx2 v[6:7], v[25:26], off
	s_sendmsg sendmsg(MSG_INTERRUPT)
.LBB5_226:                              ;   in Loop: Header=BB5_155 Depth=1
	s_or_b64 exec, exec, s[24:25]
	v_add_co_u32_e32 v2, vcc, v24, v31
	v_addc_co_u32_e32 v3, vcc, 0, v29, vcc
	s_branch .LBB5_230
.LBB5_227:                              ;   in Loop: Header=BB5_230 Depth=2
	s_or_b64 exec, exec, s[24:25]
	v_readfirstlane_b32 s15, v6
	s_cmp_eq_u32 s15, 0
	s_cbranch_scc1 .LBB5_229
; %bb.228:                              ;   in Loop: Header=BB5_230 Depth=2
	s_sleep 1
	s_cbranch_execnz .LBB5_230
	s_branch .LBB5_232
.LBB5_229:                              ;   in Loop: Header=BB5_155 Depth=1
	s_branch .LBB5_232
.LBB5_230:                              ;   Parent Loop BB5_155 Depth=1
                                        ; =>  This Inner Loop Header: Depth=2
	v_mov_b32_e32 v6, 1
	s_and_saveexec_b64 s[24:25], s[4:5]
	s_cbranch_execz .LBB5_227
; %bb.231:                              ;   in Loop: Header=BB5_230 Depth=2
	global_load_dword v6, v[27:28], off offset:20 glc
	s_waitcnt vmcnt(0)
	buffer_wbinvl1_vol
	v_and_b32_e32 v6, 1, v6
	s_branch .LBB5_227
.LBB5_232:                              ;   in Loop: Header=BB5_155 Depth=1
	global_load_dwordx4 v[6:9], v[2:3], off
	s_and_saveexec_b64 s[24:25], s[4:5]
	s_cbranch_execz .LBB5_154
; %bb.233:                              ;   in Loop: Header=BB5_155 Depth=1
	global_load_dwordx2 v[2:3], v26, s[6:7] offset:40
	global_load_dwordx2 v[12:13], v26, s[6:7] offset:24 glc
	global_load_dwordx2 v[14:15], v26, s[6:7]
	s_waitcnt vmcnt(3)
	v_mov_b32_e32 v9, s23
	s_waitcnt vmcnt(2)
	v_add_co_u32_e32 v10, vcc, 1, v2
	v_addc_co_u32_e32 v11, vcc, 0, v3, vcc
	v_add_co_u32_e32 v8, vcc, s22, v10
	v_addc_co_u32_e32 v9, vcc, v11, v9, vcc
	v_cmp_eq_u64_e32 vcc, 0, v[8:9]
	v_cndmask_b32_e32 v9, v9, v11, vcc
	v_cndmask_b32_e32 v8, v8, v10, vcc
	v_and_b32_e32 v3, v9, v3
	v_and_b32_e32 v2, v8, v2
	v_mul_lo_u32 v3, v3, 24
	v_mul_hi_u32 v11, v2, 24
	v_mul_lo_u32 v2, v2, 24
	s_waitcnt vmcnt(1)
	v_mov_b32_e32 v10, v12
	v_add_u32_e32 v3, v11, v3
	s_waitcnt vmcnt(0)
	v_add_co_u32_e32 v2, vcc, v14, v2
	v_addc_co_u32_e32 v3, vcc, v15, v3, vcc
	global_store_dwordx2 v[2:3], v[12:13], off
	v_mov_b32_e32 v11, v13
	s_waitcnt vmcnt(0)
	global_atomic_cmpswap_x2 v[10:11], v26, v[8:11], s[6:7] offset:24 glc
	s_waitcnt vmcnt(0)
	v_cmp_ne_u64_e32 vcc, v[10:11], v[12:13]
	s_and_b64 exec, exec, vcc
	s_cbranch_execz .LBB5_154
; %bb.234:                              ;   in Loop: Header=BB5_155 Depth=1
	s_mov_b64 s[4:5], 0
.LBB5_235:                              ;   Parent Loop BB5_155 Depth=1
                                        ; =>  This Inner Loop Header: Depth=2
	s_sleep 1
	global_store_dwordx2 v[2:3], v[10:11], off
	s_waitcnt vmcnt(0)
	global_atomic_cmpswap_x2 v[12:13], v26, v[8:11], s[6:7] offset:24 glc
	s_waitcnt vmcnt(0)
	v_cmp_eq_u64_e32 vcc, v[12:13], v[10:11]
	v_mov_b32_e32 v10, v12
	s_or_b64 s[4:5], vcc, s[4:5]
	v_mov_b32_e32 v11, v13
	s_andn2_b64 exec, exec, s[4:5]
	s_cbranch_execnz .LBB5_235
	s_branch .LBB5_154
.LBB5_236:
	s_branch .LBB5_264
.LBB5_237:
	s_cbranch_execz .LBB5_264
; %bb.238:
	v_readfirstlane_b32 s4, v32
	s_waitcnt vmcnt(0)
	v_mov_b32_e32 v8, 0
	v_mov_b32_e32 v9, 0
	v_cmp_eq_u32_e64 s[4:5], s4, v32
	s_and_saveexec_b64 s[16:17], s[4:5]
	s_cbranch_execz .LBB5_244
; %bb.239:
	v_mov_b32_e32 v2, 0
	global_load_dwordx2 v[5:6], v2, s[6:7] offset:24 glc
	s_waitcnt vmcnt(0)
	buffer_wbinvl1_vol
	global_load_dwordx2 v[3:4], v2, s[6:7] offset:40
	global_load_dwordx2 v[7:8], v2, s[6:7]
	s_waitcnt vmcnt(1)
	v_and_b32_e32 v3, v3, v5
	v_and_b32_e32 v4, v4, v6
	v_mul_lo_u32 v4, v4, 24
	v_mul_hi_u32 v9, v3, 24
	v_mul_lo_u32 v3, v3, 24
	v_add_u32_e32 v4, v9, v4
	s_waitcnt vmcnt(0)
	v_add_co_u32_e32 v3, vcc, v7, v3
	v_addc_co_u32_e32 v4, vcc, v8, v4, vcc
	global_load_dwordx2 v[3:4], v[3:4], off glc
	s_waitcnt vmcnt(0)
	global_atomic_cmpswap_x2 v[8:9], v2, v[3:6], s[6:7] offset:24 glc
	s_waitcnt vmcnt(0)
	buffer_wbinvl1_vol
	v_cmp_ne_u64_e32 vcc, v[8:9], v[5:6]
	s_and_saveexec_b64 s[18:19], vcc
	s_cbranch_execz .LBB5_243
; %bb.240:
	s_mov_b64 s[20:21], 0
.LBB5_241:                              ; =>This Inner Loop Header: Depth=1
	s_sleep 1
	global_load_dwordx2 v[3:4], v2, s[6:7] offset:40
	global_load_dwordx2 v[10:11], v2, s[6:7]
	v_mov_b32_e32 v5, v8
	v_mov_b32_e32 v6, v9
	s_waitcnt vmcnt(1)
	v_and_b32_e32 v3, v3, v5
	s_waitcnt vmcnt(0)
	v_mad_u64_u32 v[7:8], s[22:23], v3, 24, v[10:11]
	v_and_b32_e32 v4, v4, v6
	v_mov_b32_e32 v3, v8
	v_mad_u64_u32 v[3:4], s[22:23], v4, 24, v[3:4]
	v_mov_b32_e32 v8, v3
	global_load_dwordx2 v[3:4], v[7:8], off glc
	s_waitcnt vmcnt(0)
	global_atomic_cmpswap_x2 v[8:9], v2, v[3:6], s[6:7] offset:24 glc
	s_waitcnt vmcnt(0)
	buffer_wbinvl1_vol
	v_cmp_eq_u64_e32 vcc, v[8:9], v[5:6]
	s_or_b64 s[20:21], vcc, s[20:21]
	s_andn2_b64 exec, exec, s[20:21]
	s_cbranch_execnz .LBB5_241
; %bb.242:
	s_or_b64 exec, exec, s[20:21]
.LBB5_243:
	s_or_b64 exec, exec, s[18:19]
.LBB5_244:
	s_or_b64 exec, exec, s[16:17]
	v_mov_b32_e32 v2, 0
	global_load_dwordx2 v[10:11], v2, s[6:7] offset:40
	global_load_dwordx4 v[4:7], v2, s[6:7]
	v_readfirstlane_b32 s16, v8
	v_readfirstlane_b32 s17, v9
	s_mov_b64 s[18:19], exec
	s_waitcnt vmcnt(1)
	v_readfirstlane_b32 s20, v10
	v_readfirstlane_b32 s21, v11
	s_and_b64 s[20:21], s[16:17], s[20:21]
	s_mul_i32 s15, s21, 24
	s_mul_hi_u32 s22, s20, 24
	s_mul_i32 s23, s20, 24
	s_add_i32 s15, s22, s15
	v_mov_b32_e32 v3, s15
	s_waitcnt vmcnt(0)
	v_add_co_u32_e32 v8, vcc, s23, v4
	v_addc_co_u32_e32 v9, vcc, v5, v3, vcc
	s_and_saveexec_b64 s[22:23], s[4:5]
	s_cbranch_execz .LBB5_246
; %bb.245:
	v_mov_b32_e32 v10, s18
	v_mov_b32_e32 v11, s19
	;; [unrolled: 1-line block ×4, first 2 shown]
	global_store_dwordx4 v[8:9], v[10:13], off offset:8
.LBB5_246:
	s_or_b64 exec, exec, s[22:23]
	s_lshl_b64 s[18:19], s[20:21], 12
	v_mov_b32_e32 v3, s19
	v_add_co_u32_e32 v6, vcc, s18, v6
	v_addc_co_u32_e32 v7, vcc, v7, v3, vcc
	s_movk_i32 s15, 0xff1d
	v_and_or_b32 v0, v0, s15, 34
	s_mov_b32 s20, 0
	v_mov_b32_e32 v3, v2
	v_readfirstlane_b32 s18, v6
	v_readfirstlane_b32 s19, v7
	s_mov_b32 s21, s20
	s_mov_b32 s22, s20
	s_mov_b32 s23, s20
	s_nop 1
	global_store_dwordx4 v31, v[0:3], s[18:19]
	s_nop 0
	v_mov_b32_e32 v0, s20
	v_mov_b32_e32 v1, s21
	;; [unrolled: 1-line block ×4, first 2 shown]
	global_store_dwordx4 v31, v[0:3], s[18:19] offset:16
	global_store_dwordx4 v31, v[0:3], s[18:19] offset:32
	;; [unrolled: 1-line block ×3, first 2 shown]
	s_and_saveexec_b64 s[18:19], s[4:5]
	s_cbranch_execz .LBB5_254
; %bb.247:
	v_mov_b32_e32 v6, 0
	global_load_dwordx2 v[12:13], v6, s[6:7] offset:32 glc
	global_load_dwordx2 v[0:1], v6, s[6:7] offset:40
	v_mov_b32_e32 v10, s16
	v_mov_b32_e32 v11, s17
	s_waitcnt vmcnt(0)
	v_readfirstlane_b32 s20, v0
	v_readfirstlane_b32 s21, v1
	s_and_b64 s[20:21], s[20:21], s[16:17]
	s_mul_i32 s15, s21, 24
	s_mul_hi_u32 s21, s20, 24
	s_mul_i32 s20, s20, 24
	s_add_i32 s15, s21, s15
	v_mov_b32_e32 v0, s15
	v_add_co_u32_e32 v4, vcc, s20, v4
	v_addc_co_u32_e32 v5, vcc, v5, v0, vcc
	global_store_dwordx2 v[4:5], v[12:13], off
	s_waitcnt vmcnt(0)
	global_atomic_cmpswap_x2 v[2:3], v6, v[10:13], s[6:7] offset:32 glc
	s_waitcnt vmcnt(0)
	v_cmp_ne_u64_e32 vcc, v[2:3], v[12:13]
	s_and_saveexec_b64 s[20:21], vcc
	s_cbranch_execz .LBB5_250
; %bb.248:
	s_mov_b64 s[22:23], 0
.LBB5_249:                              ; =>This Inner Loop Header: Depth=1
	s_sleep 1
	global_store_dwordx2 v[4:5], v[2:3], off
	v_mov_b32_e32 v0, s16
	v_mov_b32_e32 v1, s17
	s_waitcnt vmcnt(0)
	global_atomic_cmpswap_x2 v[0:1], v6, v[0:3], s[6:7] offset:32 glc
	s_waitcnt vmcnt(0)
	v_cmp_eq_u64_e32 vcc, v[0:1], v[2:3]
	v_mov_b32_e32 v3, v1
	s_or_b64 s[22:23], vcc, s[22:23]
	v_mov_b32_e32 v2, v0
	s_andn2_b64 exec, exec, s[22:23]
	s_cbranch_execnz .LBB5_249
.LBB5_250:
	s_or_b64 exec, exec, s[20:21]
	v_mov_b32_e32 v3, 0
	global_load_dwordx2 v[0:1], v3, s[6:7] offset:16
	s_mov_b64 s[20:21], exec
	v_mbcnt_lo_u32_b32 v2, s20, 0
	v_mbcnt_hi_u32_b32 v2, s21, v2
	v_cmp_eq_u32_e32 vcc, 0, v2
	s_and_saveexec_b64 s[22:23], vcc
	s_cbranch_execz .LBB5_252
; %bb.251:
	s_bcnt1_i32_b64 s15, s[20:21]
	v_mov_b32_e32 v2, s15
	s_waitcnt vmcnt(0)
	global_atomic_add_x2 v[0:1], v[2:3], off offset:8
.LBB5_252:
	s_or_b64 exec, exec, s[22:23]
	s_waitcnt vmcnt(0)
	global_load_dwordx2 v[2:3], v[0:1], off offset:16
	s_waitcnt vmcnt(0)
	v_cmp_eq_u64_e32 vcc, 0, v[2:3]
	s_cbranch_vccnz .LBB5_254
; %bb.253:
	global_load_dword v0, v[0:1], off offset:24
	v_mov_b32_e32 v1, 0
	s_waitcnt vmcnt(0)
	global_store_dwordx2 v[2:3], v[0:1], off
	v_and_b32_e32 v0, 0xffffff, v0
	v_readfirstlane_b32 m0, v0
	s_sendmsg sendmsg(MSG_INTERRUPT)
.LBB5_254:
	s_or_b64 exec, exec, s[18:19]
	s_branch .LBB5_258
.LBB5_255:                              ;   in Loop: Header=BB5_258 Depth=1
	s_or_b64 exec, exec, s[18:19]
	v_readfirstlane_b32 s15, v0
	s_cmp_eq_u32 s15, 0
	s_cbranch_scc1 .LBB5_257
; %bb.256:                              ;   in Loop: Header=BB5_258 Depth=1
	s_sleep 1
	s_cbranch_execnz .LBB5_258
	s_branch .LBB5_260
.LBB5_257:
	s_branch .LBB5_260
.LBB5_258:                              ; =>This Inner Loop Header: Depth=1
	v_mov_b32_e32 v0, 1
	s_and_saveexec_b64 s[18:19], s[4:5]
	s_cbranch_execz .LBB5_255
; %bb.259:                              ;   in Loop: Header=BB5_258 Depth=1
	global_load_dword v0, v[8:9], off offset:20 glc
	s_waitcnt vmcnt(0)
	buffer_wbinvl1_vol
	v_and_b32_e32 v0, 1, v0
	s_branch .LBB5_255
.LBB5_260:
	s_and_saveexec_b64 s[18:19], s[4:5]
	s_cbranch_execz .LBB5_263
; %bb.261:
	v_mov_b32_e32 v6, 0
	global_load_dwordx2 v[2:3], v6, s[6:7] offset:40
	global_load_dwordx2 v[7:8], v6, s[6:7] offset:24 glc
	global_load_dwordx2 v[4:5], v6, s[6:7]
	v_mov_b32_e32 v1, s17
	s_mov_b64 s[4:5], 0
	s_waitcnt vmcnt(2)
	v_add_co_u32_e32 v9, vcc, 1, v2
	v_addc_co_u32_e32 v10, vcc, 0, v3, vcc
	v_add_co_u32_e32 v0, vcc, s16, v9
	v_addc_co_u32_e32 v1, vcc, v10, v1, vcc
	v_cmp_eq_u64_e32 vcc, 0, v[0:1]
	v_cndmask_b32_e32 v1, v1, v10, vcc
	v_cndmask_b32_e32 v0, v0, v9, vcc
	v_and_b32_e32 v3, v1, v3
	v_and_b32_e32 v2, v0, v2
	v_mul_lo_u32 v3, v3, 24
	v_mul_hi_u32 v9, v2, 24
	v_mul_lo_u32 v10, v2, 24
	s_waitcnt vmcnt(1)
	v_mov_b32_e32 v2, v7
	v_add_u32_e32 v3, v9, v3
	s_waitcnt vmcnt(0)
	v_add_co_u32_e32 v4, vcc, v4, v10
	v_addc_co_u32_e32 v5, vcc, v5, v3, vcc
	global_store_dwordx2 v[4:5], v[7:8], off
	v_mov_b32_e32 v3, v8
	s_waitcnt vmcnt(0)
	global_atomic_cmpswap_x2 v[2:3], v6, v[0:3], s[6:7] offset:24 glc
	s_waitcnt vmcnt(0)
	v_cmp_ne_u64_e32 vcc, v[2:3], v[7:8]
	s_and_b64 exec, exec, vcc
	s_cbranch_execz .LBB5_263
.LBB5_262:                              ; =>This Inner Loop Header: Depth=1
	s_sleep 1
	global_store_dwordx2 v[4:5], v[2:3], off
	s_waitcnt vmcnt(0)
	global_atomic_cmpswap_x2 v[7:8], v6, v[0:3], s[6:7] offset:24 glc
	s_waitcnt vmcnt(0)
	v_cmp_eq_u64_e32 vcc, v[7:8], v[2:3]
	v_mov_b32_e32 v2, v7
	s_or_b64 s[4:5], vcc, s[4:5]
	v_mov_b32_e32 v3, v8
	s_andn2_b64 exec, exec, s[4:5]
	s_cbranch_execnz .LBB5_262
.LBB5_263:
	s_or_b64 exec, exec, s[18:19]
.LBB5_264:
	v_readfirstlane_b32 s4, v32
	s_waitcnt vmcnt(0)
	v_mov_b32_e32 v5, 0
	v_mov_b32_e32 v6, 0
	v_cmp_eq_u32_e64 s[4:5], s4, v32
	s_and_saveexec_b64 s[16:17], s[4:5]
	s_cbranch_execz .LBB5_270
; %bb.265:
	v_mov_b32_e32 v0, 0
	global_load_dwordx2 v[3:4], v0, s[6:7] offset:24 glc
	s_waitcnt vmcnt(0)
	buffer_wbinvl1_vol
	global_load_dwordx2 v[1:2], v0, s[6:7] offset:40
	global_load_dwordx2 v[5:6], v0, s[6:7]
	s_waitcnt vmcnt(1)
	v_and_b32_e32 v1, v1, v3
	v_and_b32_e32 v2, v2, v4
	v_mul_lo_u32 v2, v2, 24
	v_mul_hi_u32 v7, v1, 24
	v_mul_lo_u32 v1, v1, 24
	v_add_u32_e32 v2, v7, v2
	s_waitcnt vmcnt(0)
	v_add_co_u32_e32 v1, vcc, v5, v1
	v_addc_co_u32_e32 v2, vcc, v6, v2, vcc
	global_load_dwordx2 v[1:2], v[1:2], off glc
	s_waitcnt vmcnt(0)
	global_atomic_cmpswap_x2 v[5:6], v0, v[1:4], s[6:7] offset:24 glc
	s_waitcnt vmcnt(0)
	buffer_wbinvl1_vol
	v_cmp_ne_u64_e32 vcc, v[5:6], v[3:4]
	s_and_saveexec_b64 s[18:19], vcc
	s_cbranch_execz .LBB5_269
; %bb.266:
	s_mov_b64 s[20:21], 0
.LBB5_267:                              ; =>This Inner Loop Header: Depth=1
	s_sleep 1
	global_load_dwordx2 v[1:2], v0, s[6:7] offset:40
	global_load_dwordx2 v[7:8], v0, s[6:7]
	v_mov_b32_e32 v3, v5
	v_mov_b32_e32 v4, v6
	s_waitcnt vmcnt(1)
	v_and_b32_e32 v1, v1, v3
	s_waitcnt vmcnt(0)
	v_mad_u64_u32 v[5:6], s[22:23], v1, 24, v[7:8]
	v_and_b32_e32 v2, v2, v4
	v_mov_b32_e32 v1, v6
	v_mad_u64_u32 v[1:2], s[22:23], v2, 24, v[1:2]
	v_mov_b32_e32 v6, v1
	global_load_dwordx2 v[1:2], v[5:6], off glc
	s_waitcnt vmcnt(0)
	global_atomic_cmpswap_x2 v[5:6], v0, v[1:4], s[6:7] offset:24 glc
	s_waitcnt vmcnt(0)
	buffer_wbinvl1_vol
	v_cmp_eq_u64_e32 vcc, v[5:6], v[3:4]
	s_or_b64 s[20:21], vcc, s[20:21]
	s_andn2_b64 exec, exec, s[20:21]
	s_cbranch_execnz .LBB5_267
; %bb.268:
	s_or_b64 exec, exec, s[20:21]
.LBB5_269:
	s_or_b64 exec, exec, s[18:19]
.LBB5_270:
	s_or_b64 exec, exec, s[16:17]
	v_mov_b32_e32 v4, 0
	global_load_dwordx2 v[7:8], v4, s[6:7] offset:40
	global_load_dwordx4 v[0:3], v4, s[6:7]
	v_readfirstlane_b32 s16, v5
	v_readfirstlane_b32 s17, v6
	s_mov_b64 s[18:19], exec
	s_waitcnt vmcnt(1)
	v_readfirstlane_b32 s20, v7
	v_readfirstlane_b32 s21, v8
	s_and_b64 s[20:21], s[16:17], s[20:21]
	s_mul_i32 s15, s21, 24
	s_mul_hi_u32 s22, s20, 24
	s_mul_i32 s23, s20, 24
	s_add_i32 s15, s22, s15
	v_mov_b32_e32 v5, s15
	s_waitcnt vmcnt(0)
	v_add_co_u32_e32 v7, vcc, s23, v0
	v_addc_co_u32_e32 v8, vcc, v1, v5, vcc
	s_and_saveexec_b64 s[22:23], s[4:5]
	s_cbranch_execz .LBB5_272
; %bb.271:
	v_mov_b32_e32 v9, s18
	v_mov_b32_e32 v10, s19
	;; [unrolled: 1-line block ×4, first 2 shown]
	global_store_dwordx4 v[7:8], v[9:12], off offset:8
.LBB5_272:
	s_or_b64 exec, exec, s[22:23]
	s_lshl_b64 s[18:19], s[20:21], 12
	v_mov_b32_e32 v5, s19
	v_add_co_u32_e32 v2, vcc, s18, v2
	v_addc_co_u32_e32 v11, vcc, v3, v5, vcc
	s_mov_b32 s20, 0
	v_mov_b32_e32 v3, 33
	v_mov_b32_e32 v5, v4
	;; [unrolled: 1-line block ×3, first 2 shown]
	v_readfirstlane_b32 s18, v2
	v_readfirstlane_b32 s19, v11
	v_add_co_u32_e32 v9, vcc, v2, v31
	s_mov_b32 s21, s20
	s_mov_b32 s22, s20
	;; [unrolled: 1-line block ×3, first 2 shown]
	s_nop 0
	global_store_dwordx4 v31, v[3:6], s[18:19]
	v_mov_b32_e32 v2, s20
	v_addc_co_u32_e32 v10, vcc, 0, v11, vcc
	v_mov_b32_e32 v3, s21
	v_mov_b32_e32 v4, s22
	;; [unrolled: 1-line block ×3, first 2 shown]
	global_store_dwordx4 v31, v[2:5], s[18:19] offset:16
	global_store_dwordx4 v31, v[2:5], s[18:19] offset:32
	;; [unrolled: 1-line block ×3, first 2 shown]
	s_and_saveexec_b64 s[18:19], s[4:5]
	s_cbranch_execz .LBB5_280
; %bb.273:
	v_mov_b32_e32 v6, 0
	global_load_dwordx2 v[13:14], v6, s[6:7] offset:32 glc
	global_load_dwordx2 v[2:3], v6, s[6:7] offset:40
	v_mov_b32_e32 v11, s16
	v_mov_b32_e32 v12, s17
	s_waitcnt vmcnt(0)
	v_readfirstlane_b32 s20, v2
	v_readfirstlane_b32 s21, v3
	s_and_b64 s[20:21], s[20:21], s[16:17]
	s_mul_i32 s15, s21, 24
	s_mul_hi_u32 s21, s20, 24
	s_mul_i32 s20, s20, 24
	s_add_i32 s15, s21, s15
	v_mov_b32_e32 v2, s15
	v_add_co_u32_e32 v4, vcc, s20, v0
	v_addc_co_u32_e32 v5, vcc, v1, v2, vcc
	global_store_dwordx2 v[4:5], v[13:14], off
	s_waitcnt vmcnt(0)
	global_atomic_cmpswap_x2 v[2:3], v6, v[11:14], s[6:7] offset:32 glc
	s_waitcnt vmcnt(0)
	v_cmp_ne_u64_e32 vcc, v[2:3], v[13:14]
	s_and_saveexec_b64 s[20:21], vcc
	s_cbranch_execz .LBB5_276
; %bb.274:
	s_mov_b64 s[22:23], 0
.LBB5_275:                              ; =>This Inner Loop Header: Depth=1
	s_sleep 1
	global_store_dwordx2 v[4:5], v[2:3], off
	v_mov_b32_e32 v0, s16
	v_mov_b32_e32 v1, s17
	s_waitcnt vmcnt(0)
	global_atomic_cmpswap_x2 v[0:1], v6, v[0:3], s[6:7] offset:32 glc
	s_waitcnt vmcnt(0)
	v_cmp_eq_u64_e32 vcc, v[0:1], v[2:3]
	v_mov_b32_e32 v3, v1
	s_or_b64 s[22:23], vcc, s[22:23]
	v_mov_b32_e32 v2, v0
	s_andn2_b64 exec, exec, s[22:23]
	s_cbranch_execnz .LBB5_275
.LBB5_276:
	s_or_b64 exec, exec, s[20:21]
	v_mov_b32_e32 v3, 0
	global_load_dwordx2 v[0:1], v3, s[6:7] offset:16
	s_mov_b64 s[20:21], exec
	v_mbcnt_lo_u32_b32 v2, s20, 0
	v_mbcnt_hi_u32_b32 v2, s21, v2
	v_cmp_eq_u32_e32 vcc, 0, v2
	s_and_saveexec_b64 s[22:23], vcc
	s_cbranch_execz .LBB5_278
; %bb.277:
	s_bcnt1_i32_b64 s15, s[20:21]
	v_mov_b32_e32 v2, s15
	s_waitcnt vmcnt(0)
	global_atomic_add_x2 v[0:1], v[2:3], off offset:8
.LBB5_278:
	s_or_b64 exec, exec, s[22:23]
	s_waitcnt vmcnt(0)
	global_load_dwordx2 v[2:3], v[0:1], off offset:16
	s_waitcnt vmcnt(0)
	v_cmp_eq_u64_e32 vcc, 0, v[2:3]
	s_cbranch_vccnz .LBB5_280
; %bb.279:
	global_load_dword v0, v[0:1], off offset:24
	v_mov_b32_e32 v1, 0
	s_waitcnt vmcnt(0)
	global_store_dwordx2 v[2:3], v[0:1], off
	v_and_b32_e32 v0, 0xffffff, v0
	v_readfirstlane_b32 m0, v0
	s_sendmsg sendmsg(MSG_INTERRUPT)
.LBB5_280:
	s_or_b64 exec, exec, s[18:19]
	s_branch .LBB5_284
.LBB5_281:                              ;   in Loop: Header=BB5_284 Depth=1
	s_or_b64 exec, exec, s[18:19]
	v_readfirstlane_b32 s15, v0
	s_cmp_eq_u32 s15, 0
	s_cbranch_scc1 .LBB5_283
; %bb.282:                              ;   in Loop: Header=BB5_284 Depth=1
	s_sleep 1
	s_cbranch_execnz .LBB5_284
	s_branch .LBB5_286
.LBB5_283:
	s_branch .LBB5_286
.LBB5_284:                              ; =>This Inner Loop Header: Depth=1
	v_mov_b32_e32 v0, 1
	s_and_saveexec_b64 s[18:19], s[4:5]
	s_cbranch_execz .LBB5_281
; %bb.285:                              ;   in Loop: Header=BB5_284 Depth=1
	global_load_dword v0, v[7:8], off offset:20 glc
	s_waitcnt vmcnt(0)
	buffer_wbinvl1_vol
	v_and_b32_e32 v0, 1, v0
	s_branch .LBB5_281
.LBB5_286:
	global_load_dwordx2 v[0:1], v[9:10], off
	s_and_saveexec_b64 s[18:19], s[4:5]
	s_cbranch_execz .LBB5_289
; %bb.287:
	v_mov_b32_e32 v8, 0
	global_load_dwordx2 v[4:5], v8, s[6:7] offset:40
	global_load_dwordx2 v[9:10], v8, s[6:7] offset:24 glc
	global_load_dwordx2 v[6:7], v8, s[6:7]
	v_mov_b32_e32 v3, s17
	s_mov_b64 s[4:5], 0
	s_waitcnt vmcnt(2)
	v_add_co_u32_e32 v11, vcc, 1, v4
	v_addc_co_u32_e32 v12, vcc, 0, v5, vcc
	v_add_co_u32_e32 v2, vcc, s16, v11
	v_addc_co_u32_e32 v3, vcc, v12, v3, vcc
	v_cmp_eq_u64_e32 vcc, 0, v[2:3]
	v_cndmask_b32_e32 v3, v3, v12, vcc
	v_cndmask_b32_e32 v2, v2, v11, vcc
	v_and_b32_e32 v5, v3, v5
	v_and_b32_e32 v4, v2, v4
	v_mul_lo_u32 v5, v5, 24
	v_mul_hi_u32 v11, v4, 24
	v_mul_lo_u32 v12, v4, 24
	s_waitcnt vmcnt(1)
	v_mov_b32_e32 v4, v9
	v_add_u32_e32 v5, v11, v5
	s_waitcnt vmcnt(0)
	v_add_co_u32_e32 v6, vcc, v6, v12
	v_addc_co_u32_e32 v7, vcc, v7, v5, vcc
	global_store_dwordx2 v[6:7], v[9:10], off
	v_mov_b32_e32 v5, v10
	s_waitcnt vmcnt(0)
	global_atomic_cmpswap_x2 v[4:5], v8, v[2:5], s[6:7] offset:24 glc
	s_waitcnt vmcnt(0)
	v_cmp_ne_u64_e32 vcc, v[4:5], v[9:10]
	s_and_b64 exec, exec, vcc
	s_cbranch_execz .LBB5_289
.LBB5_288:                              ; =>This Inner Loop Header: Depth=1
	s_sleep 1
	global_store_dwordx2 v[6:7], v[4:5], off
	s_waitcnt vmcnt(0)
	global_atomic_cmpswap_x2 v[9:10], v8, v[2:5], s[6:7] offset:24 glc
	s_waitcnt vmcnt(0)
	v_cmp_eq_u64_e32 vcc, v[9:10], v[4:5]
	v_mov_b32_e32 v4, v9
	s_or_b64 s[4:5], vcc, s[4:5]
	v_mov_b32_e32 v5, v10
	s_andn2_b64 exec, exec, s[4:5]
	s_cbranch_execnz .LBB5_288
.LBB5_289:
	s_or_b64 exec, exec, s[18:19]
	s_getpc_b64 s[18:19]
	s_add_u32 s18, s18, .str.6@rel32@lo+4
	s_addc_u32 s19, s19, .str.6@rel32@hi+12
	s_cmp_lg_u64 s[18:19], 0
	s_cselect_b64 s[16:17], -1, 0
	s_and_b64 vcc, exec, s[16:17]
	s_cbranch_vccz .LBB5_374
; %bb.290:
	s_waitcnt vmcnt(0)
	v_and_b32_e32 v33, 2, v0
	v_mov_b32_e32 v28, 0
	v_and_b32_e32 v2, -3, v0
	v_mov_b32_e32 v3, v1
	s_mov_b64 s[20:21], 3
	v_mov_b32_e32 v6, 2
	v_mov_b32_e32 v7, 1
	s_branch .LBB5_292
.LBB5_291:                              ;   in Loop: Header=BB5_292 Depth=1
	s_or_b64 exec, exec, s[26:27]
	s_sub_u32 s20, s20, s22
	s_subb_u32 s21, s21, s23
	s_add_u32 s18, s18, s22
	s_addc_u32 s19, s19, s23
	s_cmp_lg_u64 s[20:21], 0
	s_cbranch_scc0 .LBB5_373
.LBB5_292:                              ; =>This Loop Header: Depth=1
                                        ;     Child Loop BB5_295 Depth 2
                                        ;     Child Loop BB5_302 Depth 2
	;; [unrolled: 1-line block ×11, first 2 shown]
	v_cmp_lt_u64_e64 s[4:5], s[20:21], 56
	v_cmp_gt_u64_e64 s[24:25], s[20:21], 7
	s_and_b64 s[4:5], s[4:5], exec
	s_cselect_b32 s23, s21, 0
	s_cselect_b32 s22, s20, 56
	s_and_b64 vcc, exec, s[24:25]
	s_cbranch_vccnz .LBB5_297
; %bb.293:                              ;   in Loop: Header=BB5_292 Depth=1
	v_mov_b32_e32 v10, 0
	s_cmp_eq_u64 s[20:21], 0
	v_mov_b32_e32 v11, 0
	s_mov_b64 s[4:5], 0
	s_cbranch_scc1 .LBB5_296
; %bb.294:                              ;   in Loop: Header=BB5_292 Depth=1
	v_mov_b32_e32 v10, 0
	s_lshl_b64 s[24:25], s[22:23], 3
	s_mov_b64 s[26:27], 0
	v_mov_b32_e32 v11, 0
	s_mov_b64 s[28:29], s[18:19]
.LBB5_295:                              ;   Parent Loop BB5_292 Depth=1
                                        ; =>  This Inner Loop Header: Depth=2
	global_load_ubyte v4, v28, s[28:29]
	s_waitcnt vmcnt(0)
	v_and_b32_e32 v27, 0xffff, v4
	v_lshlrev_b64 v[4:5], s26, v[27:28]
	s_add_u32 s26, s26, 8
	s_addc_u32 s27, s27, 0
	s_add_u32 s28, s28, 1
	s_addc_u32 s29, s29, 0
	v_or_b32_e32 v10, v4, v10
	s_cmp_lg_u32 s24, s26
	v_or_b32_e32 v11, v5, v11
	s_cbranch_scc1 .LBB5_295
.LBB5_296:                              ;   in Loop: Header=BB5_292 Depth=1
	s_mov_b32 s15, 0
	s_andn2_b64 vcc, exec, s[4:5]
	s_mov_b64 s[4:5], s[18:19]
	s_cbranch_vccz .LBB5_298
	s_branch .LBB5_299
.LBB5_297:                              ;   in Loop: Header=BB5_292 Depth=1
                                        ; implicit-def: $vgpr10_vgpr11
                                        ; implicit-def: $sgpr15
	s_mov_b64 s[4:5], s[18:19]
.LBB5_298:                              ;   in Loop: Header=BB5_292 Depth=1
	global_load_dwordx2 v[10:11], v28, s[18:19]
	s_add_i32 s15, s22, -8
	s_add_u32 s4, s18, 8
	s_addc_u32 s5, s19, 0
.LBB5_299:                              ;   in Loop: Header=BB5_292 Depth=1
	s_cmp_gt_u32 s15, 7
	s_cbranch_scc1 .LBB5_303
; %bb.300:                              ;   in Loop: Header=BB5_292 Depth=1
	s_cmp_eq_u32 s15, 0
	s_cbranch_scc1 .LBB5_304
; %bb.301:                              ;   in Loop: Header=BB5_292 Depth=1
	v_mov_b32_e32 v12, 0
	s_mov_b64 s[24:25], 0
	v_mov_b32_e32 v13, 0
	s_mov_b64 s[26:27], 0
.LBB5_302:                              ;   Parent Loop BB5_292 Depth=1
                                        ; =>  This Inner Loop Header: Depth=2
	s_add_u32 s28, s4, s26
	s_addc_u32 s29, s5, s27
	global_load_ubyte v4, v28, s[28:29]
	s_add_u32 s26, s26, 1
	s_addc_u32 s27, s27, 0
	s_waitcnt vmcnt(0)
	v_and_b32_e32 v27, 0xffff, v4
	v_lshlrev_b64 v[4:5], s24, v[27:28]
	s_add_u32 s24, s24, 8
	s_addc_u32 s25, s25, 0
	v_or_b32_e32 v12, v4, v12
	s_cmp_lg_u32 s15, s26
	v_or_b32_e32 v13, v5, v13
	s_cbranch_scc1 .LBB5_302
	s_branch .LBB5_305
.LBB5_303:                              ;   in Loop: Header=BB5_292 Depth=1
                                        ; implicit-def: $vgpr12_vgpr13
                                        ; implicit-def: $sgpr28
	s_branch .LBB5_306
.LBB5_304:                              ;   in Loop: Header=BB5_292 Depth=1
	v_mov_b32_e32 v12, 0
	v_mov_b32_e32 v13, 0
.LBB5_305:                              ;   in Loop: Header=BB5_292 Depth=1
	s_mov_b32 s28, 0
	s_cbranch_execnz .LBB5_307
.LBB5_306:                              ;   in Loop: Header=BB5_292 Depth=1
	global_load_dwordx2 v[12:13], v28, s[4:5]
	s_add_i32 s28, s15, -8
	s_add_u32 s4, s4, 8
	s_addc_u32 s5, s5, 0
.LBB5_307:                              ;   in Loop: Header=BB5_292 Depth=1
	s_cmp_gt_u32 s28, 7
	s_cbranch_scc1 .LBB5_311
; %bb.308:                              ;   in Loop: Header=BB5_292 Depth=1
	s_cmp_eq_u32 s28, 0
	s_cbranch_scc1 .LBB5_312
; %bb.309:                              ;   in Loop: Header=BB5_292 Depth=1
	v_mov_b32_e32 v14, 0
	s_mov_b64 s[24:25], 0
	v_mov_b32_e32 v15, 0
	s_mov_b64 s[26:27], 0
.LBB5_310:                              ;   Parent Loop BB5_292 Depth=1
                                        ; =>  This Inner Loop Header: Depth=2
	s_add_u32 vcc_lo, s4, s26
	s_addc_u32 vcc_hi, s5, s27
	global_load_ubyte v4, v28, vcc
	s_add_u32 s26, s26, 1
	s_addc_u32 s27, s27, 0
	s_waitcnt vmcnt(0)
	v_and_b32_e32 v27, 0xffff, v4
	v_lshlrev_b64 v[4:5], s24, v[27:28]
	s_add_u32 s24, s24, 8
	s_addc_u32 s25, s25, 0
	v_or_b32_e32 v14, v4, v14
	s_cmp_lg_u32 s28, s26
	v_or_b32_e32 v15, v5, v15
	s_cbranch_scc1 .LBB5_310
	s_branch .LBB5_313
.LBB5_311:                              ;   in Loop: Header=BB5_292 Depth=1
                                        ; implicit-def: $sgpr15
	s_branch .LBB5_314
.LBB5_312:                              ;   in Loop: Header=BB5_292 Depth=1
	v_mov_b32_e32 v14, 0
	v_mov_b32_e32 v15, 0
.LBB5_313:                              ;   in Loop: Header=BB5_292 Depth=1
	s_mov_b32 s15, 0
	s_cbranch_execnz .LBB5_315
.LBB5_314:                              ;   in Loop: Header=BB5_292 Depth=1
	global_load_dwordx2 v[14:15], v28, s[4:5]
	s_add_i32 s15, s28, -8
	s_add_u32 s4, s4, 8
	s_addc_u32 s5, s5, 0
.LBB5_315:                              ;   in Loop: Header=BB5_292 Depth=1
	s_cmp_gt_u32 s15, 7
	s_cbranch_scc1 .LBB5_319
; %bb.316:                              ;   in Loop: Header=BB5_292 Depth=1
	s_cmp_eq_u32 s15, 0
	s_cbranch_scc1 .LBB5_320
; %bb.317:                              ;   in Loop: Header=BB5_292 Depth=1
	v_mov_b32_e32 v16, 0
	s_mov_b64 s[24:25], 0
	v_mov_b32_e32 v17, 0
	s_mov_b64 s[26:27], 0
.LBB5_318:                              ;   Parent Loop BB5_292 Depth=1
                                        ; =>  This Inner Loop Header: Depth=2
	s_add_u32 s28, s4, s26
	s_addc_u32 s29, s5, s27
	global_load_ubyte v4, v28, s[28:29]
	s_add_u32 s26, s26, 1
	s_addc_u32 s27, s27, 0
	s_waitcnt vmcnt(0)
	v_and_b32_e32 v27, 0xffff, v4
	v_lshlrev_b64 v[4:5], s24, v[27:28]
	s_add_u32 s24, s24, 8
	s_addc_u32 s25, s25, 0
	v_or_b32_e32 v16, v4, v16
	s_cmp_lg_u32 s15, s26
	v_or_b32_e32 v17, v5, v17
	s_cbranch_scc1 .LBB5_318
	s_branch .LBB5_321
.LBB5_319:                              ;   in Loop: Header=BB5_292 Depth=1
                                        ; implicit-def: $vgpr16_vgpr17
                                        ; implicit-def: $sgpr28
	s_branch .LBB5_322
.LBB5_320:                              ;   in Loop: Header=BB5_292 Depth=1
	v_mov_b32_e32 v16, 0
	v_mov_b32_e32 v17, 0
.LBB5_321:                              ;   in Loop: Header=BB5_292 Depth=1
	s_mov_b32 s28, 0
	s_cbranch_execnz .LBB5_323
.LBB5_322:                              ;   in Loop: Header=BB5_292 Depth=1
	global_load_dwordx2 v[16:17], v28, s[4:5]
	s_add_i32 s28, s15, -8
	s_add_u32 s4, s4, 8
	s_addc_u32 s5, s5, 0
.LBB5_323:                              ;   in Loop: Header=BB5_292 Depth=1
	s_cmp_gt_u32 s28, 7
	s_cbranch_scc1 .LBB5_327
; %bb.324:                              ;   in Loop: Header=BB5_292 Depth=1
	s_cmp_eq_u32 s28, 0
	s_cbranch_scc1 .LBB5_328
; %bb.325:                              ;   in Loop: Header=BB5_292 Depth=1
	v_mov_b32_e32 v18, 0
	s_mov_b64 s[24:25], 0
	v_mov_b32_e32 v19, 0
	s_mov_b64 s[26:27], 0
.LBB5_326:                              ;   Parent Loop BB5_292 Depth=1
                                        ; =>  This Inner Loop Header: Depth=2
	s_add_u32 vcc_lo, s4, s26
	s_addc_u32 vcc_hi, s5, s27
	global_load_ubyte v4, v28, vcc
	s_add_u32 s26, s26, 1
	s_addc_u32 s27, s27, 0
	s_waitcnt vmcnt(0)
	v_and_b32_e32 v27, 0xffff, v4
	v_lshlrev_b64 v[4:5], s24, v[27:28]
	s_add_u32 s24, s24, 8
	s_addc_u32 s25, s25, 0
	v_or_b32_e32 v18, v4, v18
	s_cmp_lg_u32 s28, s26
	v_or_b32_e32 v19, v5, v19
	s_cbranch_scc1 .LBB5_326
	s_branch .LBB5_329
.LBB5_327:                              ;   in Loop: Header=BB5_292 Depth=1
                                        ; implicit-def: $sgpr15
	s_branch .LBB5_330
.LBB5_328:                              ;   in Loop: Header=BB5_292 Depth=1
	v_mov_b32_e32 v18, 0
	v_mov_b32_e32 v19, 0
.LBB5_329:                              ;   in Loop: Header=BB5_292 Depth=1
	s_mov_b32 s15, 0
	s_cbranch_execnz .LBB5_331
.LBB5_330:                              ;   in Loop: Header=BB5_292 Depth=1
	global_load_dwordx2 v[18:19], v28, s[4:5]
	s_add_i32 s15, s28, -8
	s_add_u32 s4, s4, 8
	s_addc_u32 s5, s5, 0
.LBB5_331:                              ;   in Loop: Header=BB5_292 Depth=1
	s_cmp_gt_u32 s15, 7
	s_cbranch_scc1 .LBB5_335
; %bb.332:                              ;   in Loop: Header=BB5_292 Depth=1
	s_cmp_eq_u32 s15, 0
	s_cbranch_scc1 .LBB5_336
; %bb.333:                              ;   in Loop: Header=BB5_292 Depth=1
	v_mov_b32_e32 v20, 0
	s_mov_b64 s[24:25], 0
	v_mov_b32_e32 v21, 0
	s_mov_b64 s[26:27], 0
.LBB5_334:                              ;   Parent Loop BB5_292 Depth=1
                                        ; =>  This Inner Loop Header: Depth=2
	s_add_u32 s28, s4, s26
	s_addc_u32 s29, s5, s27
	global_load_ubyte v4, v28, s[28:29]
	s_add_u32 s26, s26, 1
	s_addc_u32 s27, s27, 0
	s_waitcnt vmcnt(0)
	v_and_b32_e32 v27, 0xffff, v4
	v_lshlrev_b64 v[4:5], s24, v[27:28]
	s_add_u32 s24, s24, 8
	s_addc_u32 s25, s25, 0
	v_or_b32_e32 v20, v4, v20
	s_cmp_lg_u32 s15, s26
	v_or_b32_e32 v21, v5, v21
	s_cbranch_scc1 .LBB5_334
	s_branch .LBB5_337
.LBB5_335:                              ;   in Loop: Header=BB5_292 Depth=1
                                        ; implicit-def: $vgpr20_vgpr21
                                        ; implicit-def: $sgpr28
	s_branch .LBB5_338
.LBB5_336:                              ;   in Loop: Header=BB5_292 Depth=1
	v_mov_b32_e32 v20, 0
	v_mov_b32_e32 v21, 0
.LBB5_337:                              ;   in Loop: Header=BB5_292 Depth=1
	s_mov_b32 s28, 0
	s_cbranch_execnz .LBB5_339
.LBB5_338:                              ;   in Loop: Header=BB5_292 Depth=1
	global_load_dwordx2 v[20:21], v28, s[4:5]
	s_add_i32 s28, s15, -8
	s_add_u32 s4, s4, 8
	s_addc_u32 s5, s5, 0
.LBB5_339:                              ;   in Loop: Header=BB5_292 Depth=1
	s_cmp_gt_u32 s28, 7
	s_cbranch_scc1 .LBB5_343
; %bb.340:                              ;   in Loop: Header=BB5_292 Depth=1
	s_cmp_eq_u32 s28, 0
	s_cbranch_scc1 .LBB5_344
; %bb.341:                              ;   in Loop: Header=BB5_292 Depth=1
	v_mov_b32_e32 v22, 0
	s_mov_b64 s[24:25], 0
	v_mov_b32_e32 v23, 0
	s_mov_b64 s[26:27], s[4:5]
.LBB5_342:                              ;   Parent Loop BB5_292 Depth=1
                                        ; =>  This Inner Loop Header: Depth=2
	global_load_ubyte v4, v28, s[26:27]
	s_add_i32 s28, s28, -1
	s_waitcnt vmcnt(0)
	v_and_b32_e32 v27, 0xffff, v4
	v_lshlrev_b64 v[4:5], s24, v[27:28]
	s_add_u32 s24, s24, 8
	s_addc_u32 s25, s25, 0
	s_add_u32 s26, s26, 1
	s_addc_u32 s27, s27, 0
	v_or_b32_e32 v22, v4, v22
	s_cmp_lg_u32 s28, 0
	v_or_b32_e32 v23, v5, v23
	s_cbranch_scc1 .LBB5_342
	s_branch .LBB5_345
.LBB5_343:                              ;   in Loop: Header=BB5_292 Depth=1
	s_branch .LBB5_346
.LBB5_344:                              ;   in Loop: Header=BB5_292 Depth=1
	v_mov_b32_e32 v22, 0
	v_mov_b32_e32 v23, 0
.LBB5_345:                              ;   in Loop: Header=BB5_292 Depth=1
	s_cbranch_execnz .LBB5_347
.LBB5_346:                              ;   in Loop: Header=BB5_292 Depth=1
	global_load_dwordx2 v[22:23], v28, s[4:5]
.LBB5_347:                              ;   in Loop: Header=BB5_292 Depth=1
	v_readfirstlane_b32 s4, v32
	s_waitcnt vmcnt(0)
	v_mov_b32_e32 v4, 0
	v_mov_b32_e32 v5, 0
	v_cmp_eq_u32_e64 s[4:5], s4, v32
	s_and_saveexec_b64 s[24:25], s[4:5]
	s_cbranch_execz .LBB5_353
; %bb.348:                              ;   in Loop: Header=BB5_292 Depth=1
	global_load_dwordx2 v[26:27], v28, s[6:7] offset:24 glc
	s_waitcnt vmcnt(0)
	buffer_wbinvl1_vol
	global_load_dwordx2 v[4:5], v28, s[6:7] offset:40
	global_load_dwordx2 v[8:9], v28, s[6:7]
	s_waitcnt vmcnt(1)
	v_and_b32_e32 v4, v4, v26
	v_and_b32_e32 v5, v5, v27
	v_mul_lo_u32 v5, v5, 24
	v_mul_hi_u32 v24, v4, 24
	v_mul_lo_u32 v4, v4, 24
	v_add_u32_e32 v5, v24, v5
	s_waitcnt vmcnt(0)
	v_add_co_u32_e32 v4, vcc, v8, v4
	v_addc_co_u32_e32 v5, vcc, v9, v5, vcc
	global_load_dwordx2 v[24:25], v[4:5], off glc
	s_waitcnt vmcnt(0)
	global_atomic_cmpswap_x2 v[4:5], v28, v[24:27], s[6:7] offset:24 glc
	s_waitcnt vmcnt(0)
	buffer_wbinvl1_vol
	v_cmp_ne_u64_e32 vcc, v[4:5], v[26:27]
	s_and_saveexec_b64 s[26:27], vcc
	s_cbranch_execz .LBB5_352
; %bb.349:                              ;   in Loop: Header=BB5_292 Depth=1
	s_mov_b64 s[28:29], 0
.LBB5_350:                              ;   Parent Loop BB5_292 Depth=1
                                        ; =>  This Inner Loop Header: Depth=2
	s_sleep 1
	global_load_dwordx2 v[8:9], v28, s[6:7] offset:40
	global_load_dwordx2 v[24:25], v28, s[6:7]
	v_mov_b32_e32 v27, v5
	v_mov_b32_e32 v26, v4
	s_waitcnt vmcnt(1)
	v_and_b32_e32 v4, v8, v26
	s_waitcnt vmcnt(0)
	v_mad_u64_u32 v[4:5], vcc, v4, 24, v[24:25]
	v_and_b32_e32 v8, v9, v27
	v_mad_u64_u32 v[8:9], vcc, v8, 24, v[5:6]
	v_mov_b32_e32 v5, v8
	global_load_dwordx2 v[24:25], v[4:5], off glc
	s_waitcnt vmcnt(0)
	global_atomic_cmpswap_x2 v[4:5], v28, v[24:27], s[6:7] offset:24 glc
	s_waitcnt vmcnt(0)
	buffer_wbinvl1_vol
	v_cmp_eq_u64_e32 vcc, v[4:5], v[26:27]
	s_or_b64 s[28:29], vcc, s[28:29]
	s_andn2_b64 exec, exec, s[28:29]
	s_cbranch_execnz .LBB5_350
; %bb.351:                              ;   in Loop: Header=BB5_292 Depth=1
	s_or_b64 exec, exec, s[28:29]
.LBB5_352:                              ;   in Loop: Header=BB5_292 Depth=1
	s_or_b64 exec, exec, s[26:27]
.LBB5_353:                              ;   in Loop: Header=BB5_292 Depth=1
	s_or_b64 exec, exec, s[24:25]
	global_load_dwordx2 v[8:9], v28, s[6:7] offset:40
	global_load_dwordx4 v[24:27], v28, s[6:7]
	v_readfirstlane_b32 s24, v4
	v_readfirstlane_b32 s25, v5
	s_mov_b64 s[26:27], exec
	s_waitcnt vmcnt(1)
	v_readfirstlane_b32 s28, v8
	v_readfirstlane_b32 s29, v9
	s_and_b64 s[28:29], s[24:25], s[28:29]
	s_mul_i32 s15, s29, 24
	s_mul_hi_u32 vcc_lo, s28, 24
	s_mul_i32 vcc_hi, s28, 24
	s_add_i32 s15, vcc_lo, s15
	v_mov_b32_e32 v4, s15
	s_waitcnt vmcnt(0)
	v_add_co_u32_e32 v29, vcc, vcc_hi, v24
	v_addc_co_u32_e32 v30, vcc, v25, v4, vcc
	s_and_saveexec_b64 vcc, s[4:5]
	s_cbranch_execz .LBB5_355
; %bb.354:                              ;   in Loop: Header=BB5_292 Depth=1
	v_mov_b32_e32 v4, s26
	v_mov_b32_e32 v5, s27
	global_store_dwordx4 v[29:30], v[4:7], off offset:8
.LBB5_355:                              ;   in Loop: Header=BB5_292 Depth=1
	s_or_b64 exec, exec, vcc
	s_lshl_b64 s[26:27], s[28:29], 12
	v_mov_b32_e32 v4, s27
	v_add_co_u32_e32 v26, vcc, s26, v26
	v_addc_co_u32_e32 v34, vcc, v27, v4, vcc
	v_cmp_gt_u64_e64 vcc, s[20:21], 56
	v_or_b32_e32 v5, v2, v33
	s_lshl_b32 s15, s22, 2
	v_cndmask_b32_e32 v2, v5, v2, vcc
	s_add_i32 s15, s15, 28
	v_or_b32_e32 v4, 0, v3
	s_and_b32 s15, s15, 0x1e0
	v_and_b32_e32 v2, 0xffffff1f, v2
	v_cndmask_b32_e32 v9, v4, v3, vcc
	v_or_b32_e32 v8, s15, v2
	v_readfirstlane_b32 s26, v26
	v_readfirstlane_b32 s27, v34
	s_nop 4
	global_store_dwordx4 v31, v[8:11], s[26:27]
	global_store_dwordx4 v31, v[12:15], s[26:27] offset:16
	global_store_dwordx4 v31, v[16:19], s[26:27] offset:32
	;; [unrolled: 1-line block ×3, first 2 shown]
	s_and_saveexec_b64 s[26:27], s[4:5]
	s_cbranch_execz .LBB5_363
; %bb.356:                              ;   in Loop: Header=BB5_292 Depth=1
	global_load_dwordx2 v[12:13], v28, s[6:7] offset:32 glc
	global_load_dwordx2 v[2:3], v28, s[6:7] offset:40
	v_mov_b32_e32 v10, s24
	v_mov_b32_e32 v11, s25
	s_waitcnt vmcnt(0)
	v_readfirstlane_b32 s28, v2
	v_readfirstlane_b32 s29, v3
	s_and_b64 s[28:29], s[28:29], s[24:25]
	s_mul_i32 s15, s29, 24
	s_mul_hi_u32 s29, s28, 24
	s_mul_i32 s28, s28, 24
	s_add_i32 s15, s29, s15
	v_mov_b32_e32 v2, s15
	v_add_co_u32_e32 v8, vcc, s28, v24
	v_addc_co_u32_e32 v9, vcc, v25, v2, vcc
	global_store_dwordx2 v[8:9], v[12:13], off
	s_waitcnt vmcnt(0)
	global_atomic_cmpswap_x2 v[4:5], v28, v[10:13], s[6:7] offset:32 glc
	s_waitcnt vmcnt(0)
	v_cmp_ne_u64_e32 vcc, v[4:5], v[12:13]
	s_and_saveexec_b64 s[28:29], vcc
	s_cbranch_execz .LBB5_359
; %bb.357:                              ;   in Loop: Header=BB5_292 Depth=1
	s_mov_b64 s[30:31], 0
.LBB5_358:                              ;   Parent Loop BB5_292 Depth=1
                                        ; =>  This Inner Loop Header: Depth=2
	s_sleep 1
	global_store_dwordx2 v[8:9], v[4:5], off
	v_mov_b32_e32 v2, s24
	v_mov_b32_e32 v3, s25
	s_waitcnt vmcnt(0)
	global_atomic_cmpswap_x2 v[2:3], v28, v[2:5], s[6:7] offset:32 glc
	s_waitcnt vmcnt(0)
	v_cmp_eq_u64_e32 vcc, v[2:3], v[4:5]
	v_mov_b32_e32 v5, v3
	s_or_b64 s[30:31], vcc, s[30:31]
	v_mov_b32_e32 v4, v2
	s_andn2_b64 exec, exec, s[30:31]
	s_cbranch_execnz .LBB5_358
.LBB5_359:                              ;   in Loop: Header=BB5_292 Depth=1
	s_or_b64 exec, exec, s[28:29]
	global_load_dwordx2 v[2:3], v28, s[6:7] offset:16
	s_mov_b64 s[30:31], exec
	v_mbcnt_lo_u32_b32 v4, s30, 0
	v_mbcnt_hi_u32_b32 v4, s31, v4
	v_cmp_eq_u32_e32 vcc, 0, v4
	s_and_saveexec_b64 s[28:29], vcc
	s_cbranch_execz .LBB5_361
; %bb.360:                              ;   in Loop: Header=BB5_292 Depth=1
	s_bcnt1_i32_b64 s15, s[30:31]
	v_mov_b32_e32 v27, s15
	s_waitcnt vmcnt(0)
	global_atomic_add_x2 v[2:3], v[27:28], off offset:8
.LBB5_361:                              ;   in Loop: Header=BB5_292 Depth=1
	s_or_b64 exec, exec, s[28:29]
	s_waitcnt vmcnt(0)
	global_load_dwordx2 v[4:5], v[2:3], off offset:16
	s_waitcnt vmcnt(0)
	v_cmp_eq_u64_e32 vcc, 0, v[4:5]
	s_cbranch_vccnz .LBB5_363
; %bb.362:                              ;   in Loop: Header=BB5_292 Depth=1
	global_load_dword v27, v[2:3], off offset:24
	s_waitcnt vmcnt(0)
	v_and_b32_e32 v2, 0xffffff, v27
	v_readfirstlane_b32 m0, v2
	global_store_dwordx2 v[4:5], v[27:28], off
	s_sendmsg sendmsg(MSG_INTERRUPT)
.LBB5_363:                              ;   in Loop: Header=BB5_292 Depth=1
	s_or_b64 exec, exec, s[26:27]
	v_add_co_u32_e32 v2, vcc, v26, v31
	v_addc_co_u32_e32 v3, vcc, 0, v34, vcc
	s_branch .LBB5_367
.LBB5_364:                              ;   in Loop: Header=BB5_367 Depth=2
	s_or_b64 exec, exec, s[26:27]
	v_readfirstlane_b32 s15, v4
	s_cmp_eq_u32 s15, 0
	s_cbranch_scc1 .LBB5_366
; %bb.365:                              ;   in Loop: Header=BB5_367 Depth=2
	s_sleep 1
	s_cbranch_execnz .LBB5_367
	s_branch .LBB5_369
.LBB5_366:                              ;   in Loop: Header=BB5_292 Depth=1
	s_branch .LBB5_369
.LBB5_367:                              ;   Parent Loop BB5_292 Depth=1
                                        ; =>  This Inner Loop Header: Depth=2
	v_mov_b32_e32 v4, 1
	s_and_saveexec_b64 s[26:27], s[4:5]
	s_cbranch_execz .LBB5_364
; %bb.368:                              ;   in Loop: Header=BB5_367 Depth=2
	global_load_dword v4, v[29:30], off offset:20 glc
	s_waitcnt vmcnt(0)
	buffer_wbinvl1_vol
	v_and_b32_e32 v4, 1, v4
	s_branch .LBB5_364
.LBB5_369:                              ;   in Loop: Header=BB5_292 Depth=1
	global_load_dwordx4 v[2:5], v[2:3], off
	s_and_saveexec_b64 s[26:27], s[4:5]
	s_cbranch_execz .LBB5_291
; %bb.370:                              ;   in Loop: Header=BB5_292 Depth=1
	global_load_dwordx2 v[4:5], v28, s[6:7] offset:40
	global_load_dwordx2 v[12:13], v28, s[6:7] offset:24 glc
	global_load_dwordx2 v[14:15], v28, s[6:7]
	v_mov_b32_e32 v9, s25
	s_waitcnt vmcnt(2)
	v_add_co_u32_e32 v10, vcc, 1, v4
	v_addc_co_u32_e32 v11, vcc, 0, v5, vcc
	v_add_co_u32_e32 v8, vcc, s24, v10
	v_addc_co_u32_e32 v9, vcc, v11, v9, vcc
	v_cmp_eq_u64_e32 vcc, 0, v[8:9]
	v_cndmask_b32_e32 v9, v9, v11, vcc
	v_cndmask_b32_e32 v8, v8, v10, vcc
	v_and_b32_e32 v5, v9, v5
	v_and_b32_e32 v4, v8, v4
	v_mul_lo_u32 v5, v5, 24
	v_mul_hi_u32 v11, v4, 24
	v_mul_lo_u32 v4, v4, 24
	s_waitcnt vmcnt(1)
	v_mov_b32_e32 v10, v12
	v_add_u32_e32 v5, v11, v5
	s_waitcnt vmcnt(0)
	v_add_co_u32_e32 v4, vcc, v14, v4
	v_addc_co_u32_e32 v5, vcc, v15, v5, vcc
	global_store_dwordx2 v[4:5], v[12:13], off
	v_mov_b32_e32 v11, v13
	s_waitcnt vmcnt(0)
	global_atomic_cmpswap_x2 v[10:11], v28, v[8:11], s[6:7] offset:24 glc
	s_waitcnt vmcnt(0)
	v_cmp_ne_u64_e32 vcc, v[10:11], v[12:13]
	s_and_b64 exec, exec, vcc
	s_cbranch_execz .LBB5_291
; %bb.371:                              ;   in Loop: Header=BB5_292 Depth=1
	s_mov_b64 s[4:5], 0
.LBB5_372:                              ;   Parent Loop BB5_292 Depth=1
                                        ; =>  This Inner Loop Header: Depth=2
	s_sleep 1
	global_store_dwordx2 v[4:5], v[10:11], off
	s_waitcnt vmcnt(0)
	global_atomic_cmpswap_x2 v[12:13], v28, v[8:11], s[6:7] offset:24 glc
	s_waitcnt vmcnt(0)
	v_cmp_eq_u64_e32 vcc, v[12:13], v[10:11]
	v_mov_b32_e32 v10, v12
	s_or_b64 s[4:5], vcc, s[4:5]
	v_mov_b32_e32 v11, v13
	s_andn2_b64 exec, exec, s[4:5]
	s_cbranch_execnz .LBB5_372
	s_branch .LBB5_291
.LBB5_373:
	s_branch .LBB5_401
.LBB5_374:
                                        ; implicit-def: $vgpr2_vgpr3
	s_cbranch_execz .LBB5_401
; %bb.375:
	v_readfirstlane_b32 s4, v32
	v_mov_b32_e32 v8, 0
	v_mov_b32_e32 v9, 0
	v_cmp_eq_u32_e64 s[4:5], s4, v32
	s_and_saveexec_b64 s[18:19], s[4:5]
	s_cbranch_execz .LBB5_381
; %bb.376:
	s_waitcnt vmcnt(0)
	v_mov_b32_e32 v2, 0
	global_load_dwordx2 v[5:6], v2, s[6:7] offset:24 glc
	s_waitcnt vmcnt(0)
	buffer_wbinvl1_vol
	global_load_dwordx2 v[3:4], v2, s[6:7] offset:40
	global_load_dwordx2 v[7:8], v2, s[6:7]
	s_waitcnt vmcnt(1)
	v_and_b32_e32 v3, v3, v5
	v_and_b32_e32 v4, v4, v6
	v_mul_lo_u32 v4, v4, 24
	v_mul_hi_u32 v9, v3, 24
	v_mul_lo_u32 v3, v3, 24
	v_add_u32_e32 v4, v9, v4
	s_waitcnt vmcnt(0)
	v_add_co_u32_e32 v3, vcc, v7, v3
	v_addc_co_u32_e32 v4, vcc, v8, v4, vcc
	global_load_dwordx2 v[3:4], v[3:4], off glc
	s_waitcnt vmcnt(0)
	global_atomic_cmpswap_x2 v[8:9], v2, v[3:6], s[6:7] offset:24 glc
	s_waitcnt vmcnt(0)
	buffer_wbinvl1_vol
	v_cmp_ne_u64_e32 vcc, v[8:9], v[5:6]
	s_and_saveexec_b64 s[20:21], vcc
	s_cbranch_execz .LBB5_380
; %bb.377:
	s_mov_b64 s[22:23], 0
.LBB5_378:                              ; =>This Inner Loop Header: Depth=1
	s_sleep 1
	global_load_dwordx2 v[3:4], v2, s[6:7] offset:40
	global_load_dwordx2 v[10:11], v2, s[6:7]
	v_mov_b32_e32 v5, v8
	v_mov_b32_e32 v6, v9
	s_waitcnt vmcnt(1)
	v_and_b32_e32 v3, v3, v5
	s_waitcnt vmcnt(0)
	v_mad_u64_u32 v[7:8], s[24:25], v3, 24, v[10:11]
	v_and_b32_e32 v4, v4, v6
	v_mov_b32_e32 v3, v8
	v_mad_u64_u32 v[3:4], s[24:25], v4, 24, v[3:4]
	v_mov_b32_e32 v8, v3
	global_load_dwordx2 v[3:4], v[7:8], off glc
	s_waitcnt vmcnt(0)
	global_atomic_cmpswap_x2 v[8:9], v2, v[3:6], s[6:7] offset:24 glc
	s_waitcnt vmcnt(0)
	buffer_wbinvl1_vol
	v_cmp_eq_u64_e32 vcc, v[8:9], v[5:6]
	s_or_b64 s[22:23], vcc, s[22:23]
	s_andn2_b64 exec, exec, s[22:23]
	s_cbranch_execnz .LBB5_378
; %bb.379:
	s_or_b64 exec, exec, s[22:23]
.LBB5_380:
	s_or_b64 exec, exec, s[20:21]
.LBB5_381:
	s_or_b64 exec, exec, s[18:19]
	s_waitcnt vmcnt(0)
	v_mov_b32_e32 v2, 0
	global_load_dwordx2 v[10:11], v2, s[6:7] offset:40
	global_load_dwordx4 v[4:7], v2, s[6:7]
	v_readfirstlane_b32 s18, v8
	v_readfirstlane_b32 s19, v9
	s_mov_b64 s[20:21], exec
	s_waitcnt vmcnt(1)
	v_readfirstlane_b32 s22, v10
	v_readfirstlane_b32 s23, v11
	s_and_b64 s[22:23], s[18:19], s[22:23]
	s_mul_i32 s15, s23, 24
	s_mul_hi_u32 s24, s22, 24
	s_mul_i32 s25, s22, 24
	s_add_i32 s15, s24, s15
	v_mov_b32_e32 v3, s15
	s_waitcnt vmcnt(0)
	v_add_co_u32_e32 v8, vcc, s25, v4
	v_addc_co_u32_e32 v9, vcc, v5, v3, vcc
	s_and_saveexec_b64 s[24:25], s[4:5]
	s_cbranch_execz .LBB5_383
; %bb.382:
	v_mov_b32_e32 v10, s20
	v_mov_b32_e32 v11, s21
	;; [unrolled: 1-line block ×4, first 2 shown]
	global_store_dwordx4 v[8:9], v[10:13], off offset:8
.LBB5_383:
	s_or_b64 exec, exec, s[24:25]
	s_lshl_b64 s[20:21], s[22:23], 12
	v_mov_b32_e32 v3, s21
	v_add_co_u32_e32 v10, vcc, s20, v6
	v_addc_co_u32_e32 v11, vcc, v7, v3, vcc
	s_movk_i32 s15, 0xff1f
	v_and_or_b32 v0, v0, s15, 32
	s_mov_b32 s20, 0
	v_mov_b32_e32 v3, v2
	v_readfirstlane_b32 s24, v10
	v_readfirstlane_b32 s25, v11
	v_add_co_u32_e32 v6, vcc, v10, v31
	s_mov_b32 s21, s20
	s_mov_b32 s22, s20
	;; [unrolled: 1-line block ×3, first 2 shown]
	s_nop 0
	global_store_dwordx4 v31, v[0:3], s[24:25]
	v_addc_co_u32_e32 v7, vcc, 0, v11, vcc
	v_mov_b32_e32 v0, s20
	v_mov_b32_e32 v1, s21
	;; [unrolled: 1-line block ×4, first 2 shown]
	global_store_dwordx4 v31, v[0:3], s[24:25] offset:16
	global_store_dwordx4 v31, v[0:3], s[24:25] offset:32
	;; [unrolled: 1-line block ×3, first 2 shown]
	s_and_saveexec_b64 s[20:21], s[4:5]
	s_cbranch_execz .LBB5_391
; %bb.384:
	v_mov_b32_e32 v10, 0
	global_load_dwordx2 v[13:14], v10, s[6:7] offset:32 glc
	global_load_dwordx2 v[0:1], v10, s[6:7] offset:40
	v_mov_b32_e32 v11, s18
	v_mov_b32_e32 v12, s19
	s_waitcnt vmcnt(0)
	v_readfirstlane_b32 s22, v0
	v_readfirstlane_b32 s23, v1
	s_and_b64 s[22:23], s[22:23], s[18:19]
	s_mul_i32 s15, s23, 24
	s_mul_hi_u32 s23, s22, 24
	s_mul_i32 s22, s22, 24
	s_add_i32 s15, s23, s15
	v_mov_b32_e32 v0, s15
	v_add_co_u32_e32 v4, vcc, s22, v4
	v_addc_co_u32_e32 v5, vcc, v5, v0, vcc
	global_store_dwordx2 v[4:5], v[13:14], off
	s_waitcnt vmcnt(0)
	global_atomic_cmpswap_x2 v[2:3], v10, v[11:14], s[6:7] offset:32 glc
	s_waitcnt vmcnt(0)
	v_cmp_ne_u64_e32 vcc, v[2:3], v[13:14]
	s_and_saveexec_b64 s[22:23], vcc
	s_cbranch_execz .LBB5_387
; %bb.385:
	s_mov_b64 s[24:25], 0
.LBB5_386:                              ; =>This Inner Loop Header: Depth=1
	s_sleep 1
	global_store_dwordx2 v[4:5], v[2:3], off
	v_mov_b32_e32 v0, s18
	v_mov_b32_e32 v1, s19
	s_waitcnt vmcnt(0)
	global_atomic_cmpswap_x2 v[0:1], v10, v[0:3], s[6:7] offset:32 glc
	s_waitcnt vmcnt(0)
	v_cmp_eq_u64_e32 vcc, v[0:1], v[2:3]
	v_mov_b32_e32 v3, v1
	s_or_b64 s[24:25], vcc, s[24:25]
	v_mov_b32_e32 v2, v0
	s_andn2_b64 exec, exec, s[24:25]
	s_cbranch_execnz .LBB5_386
.LBB5_387:
	s_or_b64 exec, exec, s[22:23]
	v_mov_b32_e32 v3, 0
	global_load_dwordx2 v[0:1], v3, s[6:7] offset:16
	s_mov_b64 s[22:23], exec
	v_mbcnt_lo_u32_b32 v2, s22, 0
	v_mbcnt_hi_u32_b32 v2, s23, v2
	v_cmp_eq_u32_e32 vcc, 0, v2
	s_and_saveexec_b64 s[24:25], vcc
	s_cbranch_execz .LBB5_389
; %bb.388:
	s_bcnt1_i32_b64 s15, s[22:23]
	v_mov_b32_e32 v2, s15
	s_waitcnt vmcnt(0)
	global_atomic_add_x2 v[0:1], v[2:3], off offset:8
.LBB5_389:
	s_or_b64 exec, exec, s[24:25]
	s_waitcnt vmcnt(0)
	global_load_dwordx2 v[2:3], v[0:1], off offset:16
	s_waitcnt vmcnt(0)
	v_cmp_eq_u64_e32 vcc, 0, v[2:3]
	s_cbranch_vccnz .LBB5_391
; %bb.390:
	global_load_dword v0, v[0:1], off offset:24
	v_mov_b32_e32 v1, 0
	s_waitcnt vmcnt(0)
	global_store_dwordx2 v[2:3], v[0:1], off
	v_and_b32_e32 v0, 0xffffff, v0
	v_readfirstlane_b32 m0, v0
	s_sendmsg sendmsg(MSG_INTERRUPT)
.LBB5_391:
	s_or_b64 exec, exec, s[20:21]
	s_branch .LBB5_395
.LBB5_392:                              ;   in Loop: Header=BB5_395 Depth=1
	s_or_b64 exec, exec, s[20:21]
	v_readfirstlane_b32 s15, v0
	s_cmp_eq_u32 s15, 0
	s_cbranch_scc1 .LBB5_394
; %bb.393:                              ;   in Loop: Header=BB5_395 Depth=1
	s_sleep 1
	s_cbranch_execnz .LBB5_395
	s_branch .LBB5_397
.LBB5_394:
	s_branch .LBB5_397
.LBB5_395:                              ; =>This Inner Loop Header: Depth=1
	v_mov_b32_e32 v0, 1
	s_and_saveexec_b64 s[20:21], s[4:5]
	s_cbranch_execz .LBB5_392
; %bb.396:                              ;   in Loop: Header=BB5_395 Depth=1
	global_load_dword v0, v[8:9], off offset:20 glc
	s_waitcnt vmcnt(0)
	buffer_wbinvl1_vol
	v_and_b32_e32 v0, 1, v0
	s_branch .LBB5_392
.LBB5_397:
	global_load_dwordx2 v[2:3], v[6:7], off
	s_and_saveexec_b64 s[20:21], s[4:5]
	s_cbranch_execz .LBB5_400
; %bb.398:
	v_mov_b32_e32 v8, 0
	global_load_dwordx2 v[0:1], v8, s[6:7] offset:40
	global_load_dwordx2 v[9:10], v8, s[6:7] offset:24 glc
	global_load_dwordx2 v[11:12], v8, s[6:7]
	v_mov_b32_e32 v5, s19
	s_mov_b64 s[4:5], 0
	s_waitcnt vmcnt(2)
	v_add_co_u32_e32 v6, vcc, 1, v0
	v_addc_co_u32_e32 v7, vcc, 0, v1, vcc
	v_add_co_u32_e32 v4, vcc, s18, v6
	v_addc_co_u32_e32 v5, vcc, v7, v5, vcc
	v_cmp_eq_u64_e32 vcc, 0, v[4:5]
	v_cndmask_b32_e32 v5, v5, v7, vcc
	v_cndmask_b32_e32 v4, v4, v6, vcc
	v_and_b32_e32 v1, v5, v1
	v_and_b32_e32 v0, v4, v0
	v_mul_lo_u32 v1, v1, 24
	v_mul_hi_u32 v7, v0, 24
	v_mul_lo_u32 v0, v0, 24
	s_waitcnt vmcnt(1)
	v_mov_b32_e32 v6, v9
	v_add_u32_e32 v1, v7, v1
	s_waitcnt vmcnt(0)
	v_add_co_u32_e32 v0, vcc, v11, v0
	v_addc_co_u32_e32 v1, vcc, v12, v1, vcc
	global_store_dwordx2 v[0:1], v[9:10], off
	v_mov_b32_e32 v7, v10
	s_waitcnt vmcnt(0)
	global_atomic_cmpswap_x2 v[6:7], v8, v[4:7], s[6:7] offset:24 glc
	s_waitcnt vmcnt(0)
	v_cmp_ne_u64_e32 vcc, v[6:7], v[9:10]
	s_and_b64 exec, exec, vcc
	s_cbranch_execz .LBB5_400
.LBB5_399:                              ; =>This Inner Loop Header: Depth=1
	s_sleep 1
	global_store_dwordx2 v[0:1], v[6:7], off
	s_waitcnt vmcnt(0)
	global_atomic_cmpswap_x2 v[9:10], v8, v[4:7], s[6:7] offset:24 glc
	s_waitcnt vmcnt(0)
	v_cmp_eq_u64_e32 vcc, v[9:10], v[6:7]
	v_mov_b32_e32 v6, v9
	s_or_b64 s[4:5], vcc, s[4:5]
	v_mov_b32_e32 v7, v10
	s_andn2_b64 exec, exec, s[4:5]
	s_cbranch_execnz .LBB5_399
.LBB5_400:
	s_or_b64 exec, exec, s[20:21]
.LBB5_401:
	v_readfirstlane_b32 s4, v32
	s_waitcnt vmcnt(0)
	v_mov_b32_e32 v0, 0
	v_mov_b32_e32 v1, 0
	v_cmp_eq_u32_e64 s[4:5], s4, v32
	s_and_saveexec_b64 s[18:19], s[4:5]
	s_cbranch_execz .LBB5_407
; %bb.402:
	v_mov_b32_e32 v4, 0
	global_load_dwordx2 v[7:8], v4, s[6:7] offset:24 glc
	s_waitcnt vmcnt(0)
	buffer_wbinvl1_vol
	global_load_dwordx2 v[0:1], v4, s[6:7] offset:40
	global_load_dwordx2 v[5:6], v4, s[6:7]
	s_waitcnt vmcnt(1)
	v_and_b32_e32 v0, v0, v7
	v_and_b32_e32 v1, v1, v8
	v_mul_lo_u32 v1, v1, 24
	v_mul_hi_u32 v9, v0, 24
	v_mul_lo_u32 v0, v0, 24
	v_add_u32_e32 v1, v9, v1
	s_waitcnt vmcnt(0)
	v_add_co_u32_e32 v0, vcc, v5, v0
	v_addc_co_u32_e32 v1, vcc, v6, v1, vcc
	global_load_dwordx2 v[5:6], v[0:1], off glc
	s_waitcnt vmcnt(0)
	global_atomic_cmpswap_x2 v[0:1], v4, v[5:8], s[6:7] offset:24 glc
	s_waitcnt vmcnt(0)
	buffer_wbinvl1_vol
	v_cmp_ne_u64_e32 vcc, v[0:1], v[7:8]
	s_and_saveexec_b64 s[20:21], vcc
	s_cbranch_execz .LBB5_406
; %bb.403:
	s_mov_b64 s[22:23], 0
.LBB5_404:                              ; =>This Inner Loop Header: Depth=1
	s_sleep 1
	global_load_dwordx2 v[5:6], v4, s[6:7] offset:40
	global_load_dwordx2 v[9:10], v4, s[6:7]
	v_mov_b32_e32 v8, v1
	v_mov_b32_e32 v7, v0
	s_waitcnt vmcnt(1)
	v_and_b32_e32 v0, v5, v7
	s_waitcnt vmcnt(0)
	v_mad_u64_u32 v[0:1], s[24:25], v0, 24, v[9:10]
	v_and_b32_e32 v5, v6, v8
	v_mad_u64_u32 v[5:6], s[24:25], v5, 24, v[1:2]
	v_mov_b32_e32 v1, v5
	global_load_dwordx2 v[5:6], v[0:1], off glc
	s_waitcnt vmcnt(0)
	global_atomic_cmpswap_x2 v[0:1], v4, v[5:8], s[6:7] offset:24 glc
	s_waitcnt vmcnt(0)
	buffer_wbinvl1_vol
	v_cmp_eq_u64_e32 vcc, v[0:1], v[7:8]
	s_or_b64 s[22:23], vcc, s[22:23]
	s_andn2_b64 exec, exec, s[22:23]
	s_cbranch_execnz .LBB5_404
; %bb.405:
	s_or_b64 exec, exec, s[22:23]
.LBB5_406:
	s_or_b64 exec, exec, s[20:21]
.LBB5_407:
	s_or_b64 exec, exec, s[18:19]
	v_mov_b32_e32 v5, 0
	global_load_dwordx2 v[10:11], v5, s[6:7] offset:40
	global_load_dwordx4 v[6:9], v5, s[6:7]
	v_readfirstlane_b32 s18, v0
	v_readfirstlane_b32 s19, v1
	s_mov_b64 s[20:21], exec
	s_waitcnt vmcnt(1)
	v_readfirstlane_b32 s22, v10
	v_readfirstlane_b32 s23, v11
	s_and_b64 s[22:23], s[18:19], s[22:23]
	s_mul_i32 s15, s23, 24
	s_mul_hi_u32 s24, s22, 24
	s_mul_i32 s25, s22, 24
	s_add_i32 s15, s24, s15
	v_mov_b32_e32 v0, s15
	s_waitcnt vmcnt(0)
	v_add_co_u32_e32 v10, vcc, s25, v6
	v_addc_co_u32_e32 v11, vcc, v7, v0, vcc
	s_and_saveexec_b64 s[24:25], s[4:5]
	s_cbranch_execz .LBB5_409
; %bb.408:
	v_mov_b32_e32 v12, s20
	v_mov_b32_e32 v13, s21
	;; [unrolled: 1-line block ×4, first 2 shown]
	global_store_dwordx4 v[10:11], v[12:15], off offset:8
.LBB5_409:
	s_or_b64 exec, exec, s[24:25]
	s_lshl_b64 s[20:21], s[22:23], 12
	v_mov_b32_e32 v0, s21
	v_add_co_u32_e32 v1, vcc, s20, v8
	v_addc_co_u32_e32 v0, vcc, v9, v0, vcc
	s_movk_i32 s15, 0xff1d
	v_and_or_b32 v2, v2, s15, 34
	s_mov_b32 s20, 0
	v_mov_b32_e32 v4, 10
	v_readfirstlane_b32 s24, v1
	v_readfirstlane_b32 s25, v0
	s_mov_b32 s21, s20
	s_mov_b32 s22, s20
	s_mov_b32 s23, s20
	s_nop 1
	global_store_dwordx4 v31, v[2:5], s[24:25]
	v_mov_b32_e32 v0, s20
	v_mov_b32_e32 v1, s21
	;; [unrolled: 1-line block ×4, first 2 shown]
	global_store_dwordx4 v31, v[0:3], s[24:25] offset:16
	global_store_dwordx4 v31, v[0:3], s[24:25] offset:32
	;; [unrolled: 1-line block ×3, first 2 shown]
	s_and_saveexec_b64 s[20:21], s[4:5]
	s_cbranch_execz .LBB5_417
; %bb.410:
	v_mov_b32_e32 v8, 0
	global_load_dwordx2 v[14:15], v8, s[6:7] offset:32 glc
	global_load_dwordx2 v[0:1], v8, s[6:7] offset:40
	v_mov_b32_e32 v12, s18
	v_mov_b32_e32 v13, s19
	s_waitcnt vmcnt(0)
	v_readfirstlane_b32 s22, v0
	v_readfirstlane_b32 s23, v1
	s_and_b64 s[22:23], s[22:23], s[18:19]
	s_mul_i32 s15, s23, 24
	s_mul_hi_u32 s23, s22, 24
	s_mul_i32 s22, s22, 24
	s_add_i32 s15, s23, s15
	v_mov_b32_e32 v0, s15
	v_add_co_u32_e32 v4, vcc, s22, v6
	v_addc_co_u32_e32 v5, vcc, v7, v0, vcc
	global_store_dwordx2 v[4:5], v[14:15], off
	s_waitcnt vmcnt(0)
	global_atomic_cmpswap_x2 v[2:3], v8, v[12:15], s[6:7] offset:32 glc
	s_waitcnt vmcnt(0)
	v_cmp_ne_u64_e32 vcc, v[2:3], v[14:15]
	s_and_saveexec_b64 s[22:23], vcc
	s_cbranch_execz .LBB5_413
; %bb.411:
	s_mov_b64 s[24:25], 0
.LBB5_412:                              ; =>This Inner Loop Header: Depth=1
	s_sleep 1
	global_store_dwordx2 v[4:5], v[2:3], off
	v_mov_b32_e32 v0, s18
	v_mov_b32_e32 v1, s19
	s_waitcnt vmcnt(0)
	global_atomic_cmpswap_x2 v[0:1], v8, v[0:3], s[6:7] offset:32 glc
	s_waitcnt vmcnt(0)
	v_cmp_eq_u64_e32 vcc, v[0:1], v[2:3]
	v_mov_b32_e32 v3, v1
	s_or_b64 s[24:25], vcc, s[24:25]
	v_mov_b32_e32 v2, v0
	s_andn2_b64 exec, exec, s[24:25]
	s_cbranch_execnz .LBB5_412
.LBB5_413:
	s_or_b64 exec, exec, s[22:23]
	v_mov_b32_e32 v3, 0
	global_load_dwordx2 v[0:1], v3, s[6:7] offset:16
	s_mov_b64 s[22:23], exec
	v_mbcnt_lo_u32_b32 v2, s22, 0
	v_mbcnt_hi_u32_b32 v2, s23, v2
	v_cmp_eq_u32_e32 vcc, 0, v2
	s_and_saveexec_b64 s[24:25], vcc
	s_cbranch_execz .LBB5_415
; %bb.414:
	s_bcnt1_i32_b64 s15, s[22:23]
	v_mov_b32_e32 v2, s15
	s_waitcnt vmcnt(0)
	global_atomic_add_x2 v[0:1], v[2:3], off offset:8
.LBB5_415:
	s_or_b64 exec, exec, s[24:25]
	s_waitcnt vmcnt(0)
	global_load_dwordx2 v[2:3], v[0:1], off offset:16
	s_waitcnt vmcnt(0)
	v_cmp_eq_u64_e32 vcc, 0, v[2:3]
	s_cbranch_vccnz .LBB5_417
; %bb.416:
	global_load_dword v0, v[0:1], off offset:24
	v_mov_b32_e32 v1, 0
	s_waitcnt vmcnt(0)
	global_store_dwordx2 v[2:3], v[0:1], off
	v_and_b32_e32 v0, 0xffffff, v0
	v_readfirstlane_b32 m0, v0
	s_sendmsg sendmsg(MSG_INTERRUPT)
.LBB5_417:
	s_or_b64 exec, exec, s[20:21]
	s_branch .LBB5_421
.LBB5_418:                              ;   in Loop: Header=BB5_421 Depth=1
	s_or_b64 exec, exec, s[20:21]
	v_readfirstlane_b32 s15, v0
	s_cmp_eq_u32 s15, 0
	s_cbranch_scc1 .LBB5_420
; %bb.419:                              ;   in Loop: Header=BB5_421 Depth=1
	s_sleep 1
	s_cbranch_execnz .LBB5_421
	s_branch .LBB5_423
.LBB5_420:
	s_branch .LBB5_423
.LBB5_421:                              ; =>This Inner Loop Header: Depth=1
	v_mov_b32_e32 v0, 1
	s_and_saveexec_b64 s[20:21], s[4:5]
	s_cbranch_execz .LBB5_418
; %bb.422:                              ;   in Loop: Header=BB5_421 Depth=1
	global_load_dword v0, v[10:11], off offset:20 glc
	s_waitcnt vmcnt(0)
	buffer_wbinvl1_vol
	v_and_b32_e32 v0, 1, v0
	s_branch .LBB5_418
.LBB5_423:
	s_and_saveexec_b64 s[20:21], s[4:5]
	s_cbranch_execz .LBB5_426
; %bb.424:
	v_mov_b32_e32 v6, 0
	global_load_dwordx2 v[2:3], v6, s[6:7] offset:40
	global_load_dwordx2 v[7:8], v6, s[6:7] offset:24 glc
	global_load_dwordx2 v[4:5], v6, s[6:7]
	v_mov_b32_e32 v1, s19
	s_mov_b64 s[4:5], 0
	s_waitcnt vmcnt(2)
	v_add_co_u32_e32 v9, vcc, 1, v2
	v_addc_co_u32_e32 v10, vcc, 0, v3, vcc
	v_add_co_u32_e32 v0, vcc, s18, v9
	v_addc_co_u32_e32 v1, vcc, v10, v1, vcc
	v_cmp_eq_u64_e32 vcc, 0, v[0:1]
	v_cndmask_b32_e32 v1, v1, v10, vcc
	v_cndmask_b32_e32 v0, v0, v9, vcc
	v_and_b32_e32 v3, v1, v3
	v_and_b32_e32 v2, v0, v2
	v_mul_lo_u32 v3, v3, 24
	v_mul_hi_u32 v9, v2, 24
	v_mul_lo_u32 v10, v2, 24
	s_waitcnt vmcnt(1)
	v_mov_b32_e32 v2, v7
	v_add_u32_e32 v3, v9, v3
	s_waitcnt vmcnt(0)
	v_add_co_u32_e32 v4, vcc, v4, v10
	v_addc_co_u32_e32 v5, vcc, v5, v3, vcc
	global_store_dwordx2 v[4:5], v[7:8], off
	v_mov_b32_e32 v3, v8
	s_waitcnt vmcnt(0)
	global_atomic_cmpswap_x2 v[2:3], v6, v[0:3], s[6:7] offset:24 glc
	s_waitcnt vmcnt(0)
	v_cmp_ne_u64_e32 vcc, v[2:3], v[7:8]
	s_and_b64 exec, exec, vcc
	s_cbranch_execz .LBB5_426
.LBB5_425:                              ; =>This Inner Loop Header: Depth=1
	s_sleep 1
	global_store_dwordx2 v[4:5], v[2:3], off
	s_waitcnt vmcnt(0)
	global_atomic_cmpswap_x2 v[7:8], v6, v[0:3], s[6:7] offset:24 glc
	s_waitcnt vmcnt(0)
	v_cmp_eq_u64_e32 vcc, v[7:8], v[2:3]
	v_mov_b32_e32 v2, v7
	s_or_b64 s[4:5], vcc, s[4:5]
	v_mov_b32_e32 v3, v8
	s_andn2_b64 exec, exec, s[4:5]
	s_cbranch_execnz .LBB5_425
.LBB5_426:
	s_or_b64 exec, exec, s[20:21]
	v_readfirstlane_b32 s4, v32
	v_mov_b32_e32 v5, 0
	v_mov_b32_e32 v6, 0
	v_cmp_eq_u32_e64 s[4:5], s4, v32
	s_and_saveexec_b64 s[18:19], s[4:5]
	s_cbranch_execz .LBB5_432
; %bb.427:
	v_mov_b32_e32 v0, 0
	global_load_dwordx2 v[3:4], v0, s[6:7] offset:24 glc
	s_waitcnt vmcnt(0)
	buffer_wbinvl1_vol
	global_load_dwordx2 v[1:2], v0, s[6:7] offset:40
	global_load_dwordx2 v[5:6], v0, s[6:7]
	s_waitcnt vmcnt(1)
	v_and_b32_e32 v1, v1, v3
	v_and_b32_e32 v2, v2, v4
	v_mul_lo_u32 v2, v2, 24
	v_mul_hi_u32 v7, v1, 24
	v_mul_lo_u32 v1, v1, 24
	v_add_u32_e32 v2, v7, v2
	s_waitcnt vmcnt(0)
	v_add_co_u32_e32 v1, vcc, v5, v1
	v_addc_co_u32_e32 v2, vcc, v6, v2, vcc
	global_load_dwordx2 v[1:2], v[1:2], off glc
	s_waitcnt vmcnt(0)
	global_atomic_cmpswap_x2 v[5:6], v0, v[1:4], s[6:7] offset:24 glc
	s_waitcnt vmcnt(0)
	buffer_wbinvl1_vol
	v_cmp_ne_u64_e32 vcc, v[5:6], v[3:4]
	s_and_saveexec_b64 s[20:21], vcc
	s_cbranch_execz .LBB5_431
; %bb.428:
	s_mov_b64 s[22:23], 0
.LBB5_429:                              ; =>This Inner Loop Header: Depth=1
	s_sleep 1
	global_load_dwordx2 v[1:2], v0, s[6:7] offset:40
	global_load_dwordx2 v[7:8], v0, s[6:7]
	v_mov_b32_e32 v3, v5
	v_mov_b32_e32 v4, v6
	s_waitcnt vmcnt(1)
	v_and_b32_e32 v1, v1, v3
	s_waitcnt vmcnt(0)
	v_mad_u64_u32 v[5:6], s[24:25], v1, 24, v[7:8]
	v_and_b32_e32 v2, v2, v4
	v_mov_b32_e32 v1, v6
	v_mad_u64_u32 v[1:2], s[24:25], v2, 24, v[1:2]
	v_mov_b32_e32 v6, v1
	global_load_dwordx2 v[1:2], v[5:6], off glc
	s_waitcnt vmcnt(0)
	global_atomic_cmpswap_x2 v[5:6], v0, v[1:4], s[6:7] offset:24 glc
	s_waitcnt vmcnt(0)
	buffer_wbinvl1_vol
	v_cmp_eq_u64_e32 vcc, v[5:6], v[3:4]
	s_or_b64 s[22:23], vcc, s[22:23]
	s_andn2_b64 exec, exec, s[22:23]
	s_cbranch_execnz .LBB5_429
; %bb.430:
	s_or_b64 exec, exec, s[22:23]
.LBB5_431:
	s_or_b64 exec, exec, s[20:21]
.LBB5_432:
	s_or_b64 exec, exec, s[18:19]
	v_mov_b32_e32 v4, 0
	global_load_dwordx2 v[7:8], v4, s[6:7] offset:40
	global_load_dwordx4 v[0:3], v4, s[6:7]
	v_readfirstlane_b32 s18, v5
	v_readfirstlane_b32 s19, v6
	s_mov_b64 s[20:21], exec
	s_waitcnt vmcnt(1)
	v_readfirstlane_b32 s22, v7
	v_readfirstlane_b32 s23, v8
	s_and_b64 s[22:23], s[18:19], s[22:23]
	s_mul_i32 s15, s23, 24
	s_mul_hi_u32 s24, s22, 24
	s_mul_i32 s25, s22, 24
	s_add_i32 s15, s24, s15
	v_mov_b32_e32 v5, s15
	s_waitcnt vmcnt(0)
	v_add_co_u32_e32 v7, vcc, s25, v0
	v_addc_co_u32_e32 v8, vcc, v1, v5, vcc
	s_and_saveexec_b64 s[24:25], s[4:5]
	s_cbranch_execz .LBB5_434
; %bb.433:
	v_mov_b32_e32 v9, s20
	v_mov_b32_e32 v10, s21
	;; [unrolled: 1-line block ×4, first 2 shown]
	global_store_dwordx4 v[7:8], v[9:12], off offset:8
.LBB5_434:
	s_or_b64 exec, exec, s[24:25]
	s_lshl_b64 s[20:21], s[22:23], 12
	v_mov_b32_e32 v5, s21
	v_add_co_u32_e32 v2, vcc, s20, v2
	v_addc_co_u32_e32 v11, vcc, v3, v5, vcc
	s_mov_b32 s20, 0
	v_mov_b32_e32 v3, 33
	v_mov_b32_e32 v5, v4
	v_mov_b32_e32 v6, v4
	v_readfirstlane_b32 s24, v2
	v_readfirstlane_b32 s25, v11
	v_add_co_u32_e32 v9, vcc, v2, v31
	s_mov_b32 s21, s20
	s_mov_b32 s22, s20
	s_mov_b32 s23, s20
	s_nop 0
	global_store_dwordx4 v31, v[3:6], s[24:25]
	v_mov_b32_e32 v2, s20
	v_addc_co_u32_e32 v10, vcc, 0, v11, vcc
	v_mov_b32_e32 v3, s21
	v_mov_b32_e32 v4, s22
	;; [unrolled: 1-line block ×3, first 2 shown]
	global_store_dwordx4 v31, v[2:5], s[24:25] offset:16
	global_store_dwordx4 v31, v[2:5], s[24:25] offset:32
	;; [unrolled: 1-line block ×3, first 2 shown]
	s_and_saveexec_b64 s[20:21], s[4:5]
	s_cbranch_execz .LBB5_442
; %bb.435:
	v_mov_b32_e32 v6, 0
	global_load_dwordx2 v[13:14], v6, s[6:7] offset:32 glc
	global_load_dwordx2 v[2:3], v6, s[6:7] offset:40
	v_mov_b32_e32 v11, s18
	v_mov_b32_e32 v12, s19
	s_waitcnt vmcnt(0)
	v_readfirstlane_b32 s22, v2
	v_readfirstlane_b32 s23, v3
	s_and_b64 s[22:23], s[22:23], s[18:19]
	s_mul_i32 s15, s23, 24
	s_mul_hi_u32 s23, s22, 24
	s_mul_i32 s22, s22, 24
	s_add_i32 s15, s23, s15
	v_mov_b32_e32 v2, s15
	v_add_co_u32_e32 v4, vcc, s22, v0
	v_addc_co_u32_e32 v5, vcc, v1, v2, vcc
	global_store_dwordx2 v[4:5], v[13:14], off
	s_waitcnt vmcnt(0)
	global_atomic_cmpswap_x2 v[2:3], v6, v[11:14], s[6:7] offset:32 glc
	s_waitcnt vmcnt(0)
	v_cmp_ne_u64_e32 vcc, v[2:3], v[13:14]
	s_and_saveexec_b64 s[22:23], vcc
	s_cbranch_execz .LBB5_438
; %bb.436:
	s_mov_b64 s[24:25], 0
.LBB5_437:                              ; =>This Inner Loop Header: Depth=1
	s_sleep 1
	global_store_dwordx2 v[4:5], v[2:3], off
	v_mov_b32_e32 v0, s18
	v_mov_b32_e32 v1, s19
	s_waitcnt vmcnt(0)
	global_atomic_cmpswap_x2 v[0:1], v6, v[0:3], s[6:7] offset:32 glc
	s_waitcnt vmcnt(0)
	v_cmp_eq_u64_e32 vcc, v[0:1], v[2:3]
	v_mov_b32_e32 v3, v1
	s_or_b64 s[24:25], vcc, s[24:25]
	v_mov_b32_e32 v2, v0
	s_andn2_b64 exec, exec, s[24:25]
	s_cbranch_execnz .LBB5_437
.LBB5_438:
	s_or_b64 exec, exec, s[22:23]
	v_mov_b32_e32 v3, 0
	global_load_dwordx2 v[0:1], v3, s[6:7] offset:16
	s_mov_b64 s[22:23], exec
	v_mbcnt_lo_u32_b32 v2, s22, 0
	v_mbcnt_hi_u32_b32 v2, s23, v2
	v_cmp_eq_u32_e32 vcc, 0, v2
	s_and_saveexec_b64 s[24:25], vcc
	s_cbranch_execz .LBB5_440
; %bb.439:
	s_bcnt1_i32_b64 s15, s[22:23]
	v_mov_b32_e32 v2, s15
	s_waitcnt vmcnt(0)
	global_atomic_add_x2 v[0:1], v[2:3], off offset:8
.LBB5_440:
	s_or_b64 exec, exec, s[24:25]
	s_waitcnt vmcnt(0)
	global_load_dwordx2 v[2:3], v[0:1], off offset:16
	s_waitcnt vmcnt(0)
	v_cmp_eq_u64_e32 vcc, 0, v[2:3]
	s_cbranch_vccnz .LBB5_442
; %bb.441:
	global_load_dword v0, v[0:1], off offset:24
	v_mov_b32_e32 v1, 0
	s_waitcnt vmcnt(0)
	global_store_dwordx2 v[2:3], v[0:1], off
	v_and_b32_e32 v0, 0xffffff, v0
	v_readfirstlane_b32 m0, v0
	s_sendmsg sendmsg(MSG_INTERRUPT)
.LBB5_442:
	s_or_b64 exec, exec, s[20:21]
	s_branch .LBB5_446
.LBB5_443:                              ;   in Loop: Header=BB5_446 Depth=1
	s_or_b64 exec, exec, s[20:21]
	v_readfirstlane_b32 s15, v0
	s_cmp_eq_u32 s15, 0
	s_cbranch_scc1 .LBB5_445
; %bb.444:                              ;   in Loop: Header=BB5_446 Depth=1
	s_sleep 1
	s_cbranch_execnz .LBB5_446
	s_branch .LBB5_448
.LBB5_445:
	s_branch .LBB5_448
.LBB5_446:                              ; =>This Inner Loop Header: Depth=1
	v_mov_b32_e32 v0, 1
	s_and_saveexec_b64 s[20:21], s[4:5]
	s_cbranch_execz .LBB5_443
; %bb.447:                              ;   in Loop: Header=BB5_446 Depth=1
	global_load_dword v0, v[7:8], off offset:20 glc
	s_waitcnt vmcnt(0)
	buffer_wbinvl1_vol
	v_and_b32_e32 v0, 1, v0
	s_branch .LBB5_443
.LBB5_448:
	global_load_dwordx2 v[4:5], v[9:10], off
	s_and_saveexec_b64 s[20:21], s[4:5]
	s_cbranch_execz .LBB5_451
; %bb.449:
	v_mov_b32_e32 v8, 0
	global_load_dwordx2 v[2:3], v8, s[6:7] offset:40
	global_load_dwordx2 v[9:10], v8, s[6:7] offset:24 glc
	global_load_dwordx2 v[6:7], v8, s[6:7]
	v_mov_b32_e32 v1, s19
	s_mov_b64 s[4:5], 0
	s_waitcnt vmcnt(2)
	v_add_co_u32_e32 v11, vcc, 1, v2
	v_addc_co_u32_e32 v12, vcc, 0, v3, vcc
	v_add_co_u32_e32 v0, vcc, s18, v11
	v_addc_co_u32_e32 v1, vcc, v12, v1, vcc
	v_cmp_eq_u64_e32 vcc, 0, v[0:1]
	v_cndmask_b32_e32 v1, v1, v12, vcc
	v_cndmask_b32_e32 v0, v0, v11, vcc
	v_and_b32_e32 v3, v1, v3
	v_and_b32_e32 v2, v0, v2
	v_mul_lo_u32 v3, v3, 24
	v_mul_hi_u32 v11, v2, 24
	v_mul_lo_u32 v12, v2, 24
	s_waitcnt vmcnt(1)
	v_mov_b32_e32 v2, v9
	v_add_u32_e32 v3, v11, v3
	s_waitcnt vmcnt(0)
	v_add_co_u32_e32 v6, vcc, v6, v12
	v_addc_co_u32_e32 v7, vcc, v7, v3, vcc
	global_store_dwordx2 v[6:7], v[9:10], off
	v_mov_b32_e32 v3, v10
	s_waitcnt vmcnt(0)
	global_atomic_cmpswap_x2 v[2:3], v8, v[0:3], s[6:7] offset:24 glc
	s_waitcnt vmcnt(0)
	v_cmp_ne_u64_e32 vcc, v[2:3], v[9:10]
	s_and_b64 exec, exec, vcc
	s_cbranch_execz .LBB5_451
.LBB5_450:                              ; =>This Inner Loop Header: Depth=1
	s_sleep 1
	global_store_dwordx2 v[6:7], v[2:3], off
	s_waitcnt vmcnt(0)
	global_atomic_cmpswap_x2 v[9:10], v8, v[0:3], s[6:7] offset:24 glc
	s_waitcnt vmcnt(0)
	v_cmp_eq_u64_e32 vcc, v[9:10], v[2:3]
	v_mov_b32_e32 v2, v9
	s_or_b64 s[4:5], vcc, s[4:5]
	v_mov_b32_e32 v3, v10
	s_andn2_b64 exec, exec, s[4:5]
	s_cbranch_execnz .LBB5_450
.LBB5_451:
	s_or_b64 exec, exec, s[20:21]
	s_and_b64 vcc, exec, s[10:11]
	s_cbranch_vccz .LBB5_536
; %bb.452:
	s_waitcnt vmcnt(0)
	v_and_b32_e32 v29, 2, v4
	v_mov_b32_e32 v26, 0
	v_and_b32_e32 v0, -3, v4
	v_mov_b32_e32 v1, v5
	s_mov_b64 s[20:21], 3
	v_mov_b32_e32 v8, 2
	v_mov_b32_e32 v9, 1
	s_getpc_b64 s[18:19]
	s_add_u32 s18, s18, .str.5@rel32@lo+4
	s_addc_u32 s19, s19, .str.5@rel32@hi+12
	s_branch .LBB5_454
.LBB5_453:                              ;   in Loop: Header=BB5_454 Depth=1
	s_or_b64 exec, exec, s[26:27]
	s_sub_u32 s20, s20, s22
	s_subb_u32 s21, s21, s23
	s_add_u32 s18, s18, s22
	s_addc_u32 s19, s19, s23
	s_cmp_lg_u64 s[20:21], 0
	s_cbranch_scc0 .LBB5_535
.LBB5_454:                              ; =>This Loop Header: Depth=1
                                        ;     Child Loop BB5_457 Depth 2
                                        ;     Child Loop BB5_464 Depth 2
	;; [unrolled: 1-line block ×11, first 2 shown]
	v_cmp_lt_u64_e64 s[4:5], s[20:21], 56
	v_cmp_gt_u64_e64 s[24:25], s[20:21], 7
	s_and_b64 s[4:5], s[4:5], exec
	s_cselect_b32 s23, s21, 0
	s_cselect_b32 s22, s20, 56
	s_and_b64 vcc, exec, s[24:25]
	s_cbranch_vccnz .LBB5_459
; %bb.455:                              ;   in Loop: Header=BB5_454 Depth=1
	s_waitcnt vmcnt(0)
	v_mov_b32_e32 v2, 0
	s_cmp_eq_u64 s[20:21], 0
	v_mov_b32_e32 v3, 0
	s_mov_b64 s[4:5], 0
	s_cbranch_scc1 .LBB5_458
; %bb.456:                              ;   in Loop: Header=BB5_454 Depth=1
	v_mov_b32_e32 v2, 0
	s_lshl_b64 s[24:25], s[22:23], 3
	s_mov_b64 s[26:27], 0
	v_mov_b32_e32 v3, 0
	s_mov_b64 s[28:29], s[18:19]
.LBB5_457:                              ;   Parent Loop BB5_454 Depth=1
                                        ; =>  This Inner Loop Header: Depth=2
	global_load_ubyte v6, v26, s[28:29]
	s_waitcnt vmcnt(0)
	v_and_b32_e32 v25, 0xffff, v6
	v_lshlrev_b64 v[6:7], s26, v[25:26]
	s_add_u32 s26, s26, 8
	s_addc_u32 s27, s27, 0
	s_add_u32 s28, s28, 1
	s_addc_u32 s29, s29, 0
	v_or_b32_e32 v2, v6, v2
	s_cmp_lg_u32 s24, s26
	v_or_b32_e32 v3, v7, v3
	s_cbranch_scc1 .LBB5_457
.LBB5_458:                              ;   in Loop: Header=BB5_454 Depth=1
	s_mov_b32 s15, 0
	s_andn2_b64 vcc, exec, s[4:5]
	s_mov_b64 s[4:5], s[18:19]
	s_cbranch_vccz .LBB5_460
	s_branch .LBB5_461
.LBB5_459:                              ;   in Loop: Header=BB5_454 Depth=1
                                        ; implicit-def: $vgpr2_vgpr3
                                        ; implicit-def: $sgpr15
	s_mov_b64 s[4:5], s[18:19]
.LBB5_460:                              ;   in Loop: Header=BB5_454 Depth=1
	global_load_dwordx2 v[2:3], v26, s[18:19]
	s_add_i32 s15, s22, -8
	s_add_u32 s4, s18, 8
	s_addc_u32 s5, s19, 0
.LBB5_461:                              ;   in Loop: Header=BB5_454 Depth=1
	s_cmp_gt_u32 s15, 7
	s_cbranch_scc1 .LBB5_465
; %bb.462:                              ;   in Loop: Header=BB5_454 Depth=1
	s_cmp_eq_u32 s15, 0
	s_cbranch_scc1 .LBB5_466
; %bb.463:                              ;   in Loop: Header=BB5_454 Depth=1
	v_mov_b32_e32 v10, 0
	s_mov_b64 s[24:25], 0
	v_mov_b32_e32 v11, 0
	s_mov_b64 s[26:27], 0
.LBB5_464:                              ;   Parent Loop BB5_454 Depth=1
                                        ; =>  This Inner Loop Header: Depth=2
	s_add_u32 s28, s4, s26
	s_addc_u32 s29, s5, s27
	global_load_ubyte v6, v26, s[28:29]
	s_add_u32 s26, s26, 1
	s_addc_u32 s27, s27, 0
	s_waitcnt vmcnt(0)
	v_and_b32_e32 v25, 0xffff, v6
	v_lshlrev_b64 v[6:7], s24, v[25:26]
	s_add_u32 s24, s24, 8
	s_addc_u32 s25, s25, 0
	v_or_b32_e32 v10, v6, v10
	s_cmp_lg_u32 s15, s26
	v_or_b32_e32 v11, v7, v11
	s_cbranch_scc1 .LBB5_464
	s_branch .LBB5_467
.LBB5_465:                              ;   in Loop: Header=BB5_454 Depth=1
                                        ; implicit-def: $vgpr10_vgpr11
                                        ; implicit-def: $sgpr28
	s_branch .LBB5_468
.LBB5_466:                              ;   in Loop: Header=BB5_454 Depth=1
	v_mov_b32_e32 v10, 0
	v_mov_b32_e32 v11, 0
.LBB5_467:                              ;   in Loop: Header=BB5_454 Depth=1
	s_mov_b32 s28, 0
	s_cbranch_execnz .LBB5_469
.LBB5_468:                              ;   in Loop: Header=BB5_454 Depth=1
	global_load_dwordx2 v[10:11], v26, s[4:5]
	s_add_i32 s28, s15, -8
	s_add_u32 s4, s4, 8
	s_addc_u32 s5, s5, 0
.LBB5_469:                              ;   in Loop: Header=BB5_454 Depth=1
	s_cmp_gt_u32 s28, 7
	s_cbranch_scc1 .LBB5_473
; %bb.470:                              ;   in Loop: Header=BB5_454 Depth=1
	s_cmp_eq_u32 s28, 0
	s_cbranch_scc1 .LBB5_474
; %bb.471:                              ;   in Loop: Header=BB5_454 Depth=1
	v_mov_b32_e32 v12, 0
	s_mov_b64 s[24:25], 0
	v_mov_b32_e32 v13, 0
	s_mov_b64 s[26:27], 0
.LBB5_472:                              ;   Parent Loop BB5_454 Depth=1
                                        ; =>  This Inner Loop Header: Depth=2
	s_add_u32 vcc_lo, s4, s26
	s_addc_u32 vcc_hi, s5, s27
	global_load_ubyte v6, v26, vcc
	s_add_u32 s26, s26, 1
	s_addc_u32 s27, s27, 0
	s_waitcnt vmcnt(0)
	v_and_b32_e32 v25, 0xffff, v6
	v_lshlrev_b64 v[6:7], s24, v[25:26]
	s_add_u32 s24, s24, 8
	s_addc_u32 s25, s25, 0
	v_or_b32_e32 v12, v6, v12
	s_cmp_lg_u32 s28, s26
	v_or_b32_e32 v13, v7, v13
	s_cbranch_scc1 .LBB5_472
	s_branch .LBB5_475
.LBB5_473:                              ;   in Loop: Header=BB5_454 Depth=1
                                        ; implicit-def: $sgpr15
	s_branch .LBB5_476
.LBB5_474:                              ;   in Loop: Header=BB5_454 Depth=1
	v_mov_b32_e32 v12, 0
	v_mov_b32_e32 v13, 0
.LBB5_475:                              ;   in Loop: Header=BB5_454 Depth=1
	s_mov_b32 s15, 0
	s_cbranch_execnz .LBB5_477
.LBB5_476:                              ;   in Loop: Header=BB5_454 Depth=1
	global_load_dwordx2 v[12:13], v26, s[4:5]
	s_add_i32 s15, s28, -8
	s_add_u32 s4, s4, 8
	s_addc_u32 s5, s5, 0
.LBB5_477:                              ;   in Loop: Header=BB5_454 Depth=1
	s_cmp_gt_u32 s15, 7
	s_cbranch_scc1 .LBB5_481
; %bb.478:                              ;   in Loop: Header=BB5_454 Depth=1
	s_cmp_eq_u32 s15, 0
	s_cbranch_scc1 .LBB5_482
; %bb.479:                              ;   in Loop: Header=BB5_454 Depth=1
	v_mov_b32_e32 v14, 0
	s_mov_b64 s[24:25], 0
	v_mov_b32_e32 v15, 0
	s_mov_b64 s[26:27], 0
.LBB5_480:                              ;   Parent Loop BB5_454 Depth=1
                                        ; =>  This Inner Loop Header: Depth=2
	s_add_u32 s28, s4, s26
	s_addc_u32 s29, s5, s27
	global_load_ubyte v6, v26, s[28:29]
	s_add_u32 s26, s26, 1
	s_addc_u32 s27, s27, 0
	s_waitcnt vmcnt(0)
	v_and_b32_e32 v25, 0xffff, v6
	v_lshlrev_b64 v[6:7], s24, v[25:26]
	s_add_u32 s24, s24, 8
	s_addc_u32 s25, s25, 0
	v_or_b32_e32 v14, v6, v14
	s_cmp_lg_u32 s15, s26
	v_or_b32_e32 v15, v7, v15
	s_cbranch_scc1 .LBB5_480
	s_branch .LBB5_483
.LBB5_481:                              ;   in Loop: Header=BB5_454 Depth=1
                                        ; implicit-def: $vgpr14_vgpr15
                                        ; implicit-def: $sgpr28
	s_branch .LBB5_484
.LBB5_482:                              ;   in Loop: Header=BB5_454 Depth=1
	v_mov_b32_e32 v14, 0
	v_mov_b32_e32 v15, 0
.LBB5_483:                              ;   in Loop: Header=BB5_454 Depth=1
	s_mov_b32 s28, 0
	s_cbranch_execnz .LBB5_485
.LBB5_484:                              ;   in Loop: Header=BB5_454 Depth=1
	global_load_dwordx2 v[14:15], v26, s[4:5]
	s_add_i32 s28, s15, -8
	s_add_u32 s4, s4, 8
	s_addc_u32 s5, s5, 0
.LBB5_485:                              ;   in Loop: Header=BB5_454 Depth=1
	s_cmp_gt_u32 s28, 7
	s_cbranch_scc1 .LBB5_489
; %bb.486:                              ;   in Loop: Header=BB5_454 Depth=1
	s_cmp_eq_u32 s28, 0
	s_cbranch_scc1 .LBB5_490
; %bb.487:                              ;   in Loop: Header=BB5_454 Depth=1
	v_mov_b32_e32 v16, 0
	s_mov_b64 s[24:25], 0
	v_mov_b32_e32 v17, 0
	s_mov_b64 s[26:27], 0
.LBB5_488:                              ;   Parent Loop BB5_454 Depth=1
                                        ; =>  This Inner Loop Header: Depth=2
	s_add_u32 vcc_lo, s4, s26
	s_addc_u32 vcc_hi, s5, s27
	global_load_ubyte v6, v26, vcc
	s_add_u32 s26, s26, 1
	s_addc_u32 s27, s27, 0
	s_waitcnt vmcnt(0)
	v_and_b32_e32 v25, 0xffff, v6
	v_lshlrev_b64 v[6:7], s24, v[25:26]
	s_add_u32 s24, s24, 8
	s_addc_u32 s25, s25, 0
	v_or_b32_e32 v16, v6, v16
	s_cmp_lg_u32 s28, s26
	v_or_b32_e32 v17, v7, v17
	s_cbranch_scc1 .LBB5_488
	s_branch .LBB5_491
.LBB5_489:                              ;   in Loop: Header=BB5_454 Depth=1
                                        ; implicit-def: $sgpr15
	s_branch .LBB5_492
.LBB5_490:                              ;   in Loop: Header=BB5_454 Depth=1
	v_mov_b32_e32 v16, 0
	v_mov_b32_e32 v17, 0
.LBB5_491:                              ;   in Loop: Header=BB5_454 Depth=1
	s_mov_b32 s15, 0
	s_cbranch_execnz .LBB5_493
.LBB5_492:                              ;   in Loop: Header=BB5_454 Depth=1
	global_load_dwordx2 v[16:17], v26, s[4:5]
	s_add_i32 s15, s28, -8
	s_add_u32 s4, s4, 8
	s_addc_u32 s5, s5, 0
.LBB5_493:                              ;   in Loop: Header=BB5_454 Depth=1
	s_cmp_gt_u32 s15, 7
	s_cbranch_scc1 .LBB5_497
; %bb.494:                              ;   in Loop: Header=BB5_454 Depth=1
	s_cmp_eq_u32 s15, 0
	s_cbranch_scc1 .LBB5_498
; %bb.495:                              ;   in Loop: Header=BB5_454 Depth=1
	v_mov_b32_e32 v18, 0
	s_mov_b64 s[24:25], 0
	v_mov_b32_e32 v19, 0
	s_mov_b64 s[26:27], 0
.LBB5_496:                              ;   Parent Loop BB5_454 Depth=1
                                        ; =>  This Inner Loop Header: Depth=2
	s_add_u32 s28, s4, s26
	s_addc_u32 s29, s5, s27
	global_load_ubyte v6, v26, s[28:29]
	s_add_u32 s26, s26, 1
	s_addc_u32 s27, s27, 0
	s_waitcnt vmcnt(0)
	v_and_b32_e32 v25, 0xffff, v6
	v_lshlrev_b64 v[6:7], s24, v[25:26]
	s_add_u32 s24, s24, 8
	s_addc_u32 s25, s25, 0
	v_or_b32_e32 v18, v6, v18
	s_cmp_lg_u32 s15, s26
	v_or_b32_e32 v19, v7, v19
	s_cbranch_scc1 .LBB5_496
	s_branch .LBB5_499
.LBB5_497:                              ;   in Loop: Header=BB5_454 Depth=1
                                        ; implicit-def: $vgpr18_vgpr19
                                        ; implicit-def: $sgpr28
	s_branch .LBB5_500
.LBB5_498:                              ;   in Loop: Header=BB5_454 Depth=1
	v_mov_b32_e32 v18, 0
	v_mov_b32_e32 v19, 0
.LBB5_499:                              ;   in Loop: Header=BB5_454 Depth=1
	s_mov_b32 s28, 0
	s_cbranch_execnz .LBB5_501
.LBB5_500:                              ;   in Loop: Header=BB5_454 Depth=1
	global_load_dwordx2 v[18:19], v26, s[4:5]
	s_add_i32 s28, s15, -8
	s_add_u32 s4, s4, 8
	s_addc_u32 s5, s5, 0
.LBB5_501:                              ;   in Loop: Header=BB5_454 Depth=1
	s_cmp_gt_u32 s28, 7
	s_cbranch_scc1 .LBB5_505
; %bb.502:                              ;   in Loop: Header=BB5_454 Depth=1
	s_cmp_eq_u32 s28, 0
	s_cbranch_scc1 .LBB5_506
; %bb.503:                              ;   in Loop: Header=BB5_454 Depth=1
	v_mov_b32_e32 v20, 0
	s_mov_b64 s[24:25], 0
	v_mov_b32_e32 v21, 0
	s_mov_b64 s[26:27], s[4:5]
.LBB5_504:                              ;   Parent Loop BB5_454 Depth=1
                                        ; =>  This Inner Loop Header: Depth=2
	global_load_ubyte v6, v26, s[26:27]
	s_add_i32 s28, s28, -1
	s_waitcnt vmcnt(0)
	v_and_b32_e32 v25, 0xffff, v6
	v_lshlrev_b64 v[6:7], s24, v[25:26]
	s_add_u32 s24, s24, 8
	s_addc_u32 s25, s25, 0
	s_add_u32 s26, s26, 1
	s_addc_u32 s27, s27, 0
	v_or_b32_e32 v20, v6, v20
	s_cmp_lg_u32 s28, 0
	v_or_b32_e32 v21, v7, v21
	s_cbranch_scc1 .LBB5_504
	s_branch .LBB5_507
.LBB5_505:                              ;   in Loop: Header=BB5_454 Depth=1
	s_branch .LBB5_508
.LBB5_506:                              ;   in Loop: Header=BB5_454 Depth=1
	v_mov_b32_e32 v20, 0
	v_mov_b32_e32 v21, 0
.LBB5_507:                              ;   in Loop: Header=BB5_454 Depth=1
	s_cbranch_execnz .LBB5_509
.LBB5_508:                              ;   in Loop: Header=BB5_454 Depth=1
	global_load_dwordx2 v[20:21], v26, s[4:5]
.LBB5_509:                              ;   in Loop: Header=BB5_454 Depth=1
	v_readfirstlane_b32 s4, v32
	v_mov_b32_e32 v6, 0
	v_mov_b32_e32 v7, 0
	v_cmp_eq_u32_e64 s[4:5], s4, v32
	s_and_saveexec_b64 s[24:25], s[4:5]
	s_cbranch_execz .LBB5_515
; %bb.510:                              ;   in Loop: Header=BB5_454 Depth=1
	global_load_dwordx2 v[24:25], v26, s[6:7] offset:24 glc
	s_waitcnt vmcnt(0)
	buffer_wbinvl1_vol
	global_load_dwordx2 v[6:7], v26, s[6:7] offset:40
	global_load_dwordx2 v[22:23], v26, s[6:7]
	s_waitcnt vmcnt(1)
	v_and_b32_e32 v6, v6, v24
	v_and_b32_e32 v7, v7, v25
	v_mul_lo_u32 v7, v7, 24
	v_mul_hi_u32 v27, v6, 24
	v_mul_lo_u32 v6, v6, 24
	v_add_u32_e32 v7, v27, v7
	s_waitcnt vmcnt(0)
	v_add_co_u32_e32 v6, vcc, v22, v6
	v_addc_co_u32_e32 v7, vcc, v23, v7, vcc
	global_load_dwordx2 v[22:23], v[6:7], off glc
	s_waitcnt vmcnt(0)
	global_atomic_cmpswap_x2 v[6:7], v26, v[22:25], s[6:7] offset:24 glc
	s_waitcnt vmcnt(0)
	buffer_wbinvl1_vol
	v_cmp_ne_u64_e32 vcc, v[6:7], v[24:25]
	s_and_saveexec_b64 s[26:27], vcc
	s_cbranch_execz .LBB5_514
; %bb.511:                              ;   in Loop: Header=BB5_454 Depth=1
	s_mov_b64 s[28:29], 0
.LBB5_512:                              ;   Parent Loop BB5_454 Depth=1
                                        ; =>  This Inner Loop Header: Depth=2
	s_sleep 1
	global_load_dwordx2 v[22:23], v26, s[6:7] offset:40
	global_load_dwordx2 v[27:28], v26, s[6:7]
	v_mov_b32_e32 v25, v7
	v_mov_b32_e32 v24, v6
	s_waitcnt vmcnt(1)
	v_and_b32_e32 v6, v22, v24
	s_waitcnt vmcnt(0)
	v_mad_u64_u32 v[6:7], vcc, v6, 24, v[27:28]
	v_and_b32_e32 v22, v23, v25
	v_mad_u64_u32 v[22:23], vcc, v22, 24, v[7:8]
	v_mov_b32_e32 v7, v22
	global_load_dwordx2 v[22:23], v[6:7], off glc
	s_waitcnt vmcnt(0)
	global_atomic_cmpswap_x2 v[6:7], v26, v[22:25], s[6:7] offset:24 glc
	s_waitcnt vmcnt(0)
	buffer_wbinvl1_vol
	v_cmp_eq_u64_e32 vcc, v[6:7], v[24:25]
	s_or_b64 s[28:29], vcc, s[28:29]
	s_andn2_b64 exec, exec, s[28:29]
	s_cbranch_execnz .LBB5_512
; %bb.513:                              ;   in Loop: Header=BB5_454 Depth=1
	s_or_b64 exec, exec, s[28:29]
.LBB5_514:                              ;   in Loop: Header=BB5_454 Depth=1
	s_or_b64 exec, exec, s[26:27]
.LBB5_515:                              ;   in Loop: Header=BB5_454 Depth=1
	s_or_b64 exec, exec, s[24:25]
	global_load_dwordx2 v[27:28], v26, s[6:7] offset:40
	global_load_dwordx4 v[22:25], v26, s[6:7]
	v_readfirstlane_b32 s24, v6
	v_readfirstlane_b32 s25, v7
	s_mov_b64 s[26:27], exec
	s_waitcnt vmcnt(1)
	v_readfirstlane_b32 s28, v27
	v_readfirstlane_b32 s29, v28
	s_and_b64 s[28:29], s[24:25], s[28:29]
	s_mul_i32 s15, s29, 24
	s_mul_hi_u32 vcc_lo, s28, 24
	s_mul_i32 vcc_hi, s28, 24
	s_add_i32 s15, vcc_lo, s15
	v_mov_b32_e32 v6, s15
	s_waitcnt vmcnt(0)
	v_add_co_u32_e32 v27, vcc, vcc_hi, v22
	v_addc_co_u32_e32 v28, vcc, v23, v6, vcc
	s_and_saveexec_b64 vcc, s[4:5]
	s_cbranch_execz .LBB5_517
; %bb.516:                              ;   in Loop: Header=BB5_454 Depth=1
	v_mov_b32_e32 v6, s26
	v_mov_b32_e32 v7, s27
	global_store_dwordx4 v[27:28], v[6:9], off offset:8
.LBB5_517:                              ;   in Loop: Header=BB5_454 Depth=1
	s_or_b64 exec, exec, vcc
	s_lshl_b64 s[26:27], s[28:29], 12
	v_mov_b32_e32 v6, s27
	v_add_co_u32_e32 v24, vcc, s26, v24
	v_addc_co_u32_e32 v30, vcc, v25, v6, vcc
	v_cmp_gt_u64_e64 vcc, s[20:21], 56
	v_or_b32_e32 v7, v0, v29
	s_lshl_b32 s15, s22, 2
	v_cndmask_b32_e32 v0, v7, v0, vcc
	s_add_i32 s15, s15, 28
	v_or_b32_e32 v6, 0, v1
	s_and_b32 s15, s15, 0x1e0
	v_and_b32_e32 v0, 0xffffff1f, v0
	v_cndmask_b32_e32 v1, v6, v1, vcc
	v_or_b32_e32 v0, s15, v0
	v_readfirstlane_b32 s26, v24
	v_readfirstlane_b32 s27, v30
	s_nop 4
	global_store_dwordx4 v31, v[0:3], s[26:27]
	global_store_dwordx4 v31, v[10:13], s[26:27] offset:16
	global_store_dwordx4 v31, v[14:17], s[26:27] offset:32
	;; [unrolled: 1-line block ×3, first 2 shown]
	s_and_saveexec_b64 s[26:27], s[4:5]
	s_cbranch_execz .LBB5_525
; %bb.518:                              ;   in Loop: Header=BB5_454 Depth=1
	global_load_dwordx2 v[12:13], v26, s[6:7] offset:32 glc
	global_load_dwordx2 v[0:1], v26, s[6:7] offset:40
	v_mov_b32_e32 v10, s24
	v_mov_b32_e32 v11, s25
	s_waitcnt vmcnt(0)
	v_readfirstlane_b32 s28, v0
	v_readfirstlane_b32 s29, v1
	s_and_b64 s[28:29], s[28:29], s[24:25]
	s_mul_i32 s15, s29, 24
	s_mul_hi_u32 s29, s28, 24
	s_mul_i32 s28, s28, 24
	s_add_i32 s15, s29, s15
	v_mov_b32_e32 v0, s15
	v_add_co_u32_e32 v6, vcc, s28, v22
	v_addc_co_u32_e32 v7, vcc, v23, v0, vcc
	global_store_dwordx2 v[6:7], v[12:13], off
	s_waitcnt vmcnt(0)
	global_atomic_cmpswap_x2 v[2:3], v26, v[10:13], s[6:7] offset:32 glc
	s_waitcnt vmcnt(0)
	v_cmp_ne_u64_e32 vcc, v[2:3], v[12:13]
	s_and_saveexec_b64 s[28:29], vcc
	s_cbranch_execz .LBB5_521
; %bb.519:                              ;   in Loop: Header=BB5_454 Depth=1
	s_mov_b64 s[30:31], 0
.LBB5_520:                              ;   Parent Loop BB5_454 Depth=1
                                        ; =>  This Inner Loop Header: Depth=2
	s_sleep 1
	global_store_dwordx2 v[6:7], v[2:3], off
	v_mov_b32_e32 v0, s24
	v_mov_b32_e32 v1, s25
	s_waitcnt vmcnt(0)
	global_atomic_cmpswap_x2 v[0:1], v26, v[0:3], s[6:7] offset:32 glc
	s_waitcnt vmcnt(0)
	v_cmp_eq_u64_e32 vcc, v[0:1], v[2:3]
	v_mov_b32_e32 v3, v1
	s_or_b64 s[30:31], vcc, s[30:31]
	v_mov_b32_e32 v2, v0
	s_andn2_b64 exec, exec, s[30:31]
	s_cbranch_execnz .LBB5_520
.LBB5_521:                              ;   in Loop: Header=BB5_454 Depth=1
	s_or_b64 exec, exec, s[28:29]
	global_load_dwordx2 v[0:1], v26, s[6:7] offset:16
	s_mov_b64 s[30:31], exec
	v_mbcnt_lo_u32_b32 v2, s30, 0
	v_mbcnt_hi_u32_b32 v2, s31, v2
	v_cmp_eq_u32_e32 vcc, 0, v2
	s_and_saveexec_b64 s[28:29], vcc
	s_cbranch_execz .LBB5_523
; %bb.522:                              ;   in Loop: Header=BB5_454 Depth=1
	s_bcnt1_i32_b64 s15, s[30:31]
	v_mov_b32_e32 v25, s15
	s_waitcnt vmcnt(0)
	global_atomic_add_x2 v[0:1], v[25:26], off offset:8
.LBB5_523:                              ;   in Loop: Header=BB5_454 Depth=1
	s_or_b64 exec, exec, s[28:29]
	s_waitcnt vmcnt(0)
	global_load_dwordx2 v[2:3], v[0:1], off offset:16
	s_waitcnt vmcnt(0)
	v_cmp_eq_u64_e32 vcc, 0, v[2:3]
	s_cbranch_vccnz .LBB5_525
; %bb.524:                              ;   in Loop: Header=BB5_454 Depth=1
	global_load_dword v25, v[0:1], off offset:24
	s_waitcnt vmcnt(0)
	v_and_b32_e32 v0, 0xffffff, v25
	v_readfirstlane_b32 m0, v0
	global_store_dwordx2 v[2:3], v[25:26], off
	s_sendmsg sendmsg(MSG_INTERRUPT)
.LBB5_525:                              ;   in Loop: Header=BB5_454 Depth=1
	s_or_b64 exec, exec, s[26:27]
	v_add_co_u32_e32 v0, vcc, v24, v31
	v_addc_co_u32_e32 v1, vcc, 0, v30, vcc
	s_branch .LBB5_529
.LBB5_526:                              ;   in Loop: Header=BB5_529 Depth=2
	s_or_b64 exec, exec, s[26:27]
	v_readfirstlane_b32 s15, v2
	s_cmp_eq_u32 s15, 0
	s_cbranch_scc1 .LBB5_528
; %bb.527:                              ;   in Loop: Header=BB5_529 Depth=2
	s_sleep 1
	s_cbranch_execnz .LBB5_529
	s_branch .LBB5_531
.LBB5_528:                              ;   in Loop: Header=BB5_454 Depth=1
	s_branch .LBB5_531
.LBB5_529:                              ;   Parent Loop BB5_454 Depth=1
                                        ; =>  This Inner Loop Header: Depth=2
	v_mov_b32_e32 v2, 1
	s_and_saveexec_b64 s[26:27], s[4:5]
	s_cbranch_execz .LBB5_526
; %bb.530:                              ;   in Loop: Header=BB5_529 Depth=2
	global_load_dword v2, v[27:28], off offset:20 glc
	s_waitcnt vmcnt(0)
	buffer_wbinvl1_vol
	v_and_b32_e32 v2, 1, v2
	s_branch .LBB5_526
.LBB5_531:                              ;   in Loop: Header=BB5_454 Depth=1
	global_load_dwordx4 v[0:3], v[0:1], off
	s_and_saveexec_b64 s[26:27], s[4:5]
	s_cbranch_execz .LBB5_453
; %bb.532:                              ;   in Loop: Header=BB5_454 Depth=1
	global_load_dwordx2 v[2:3], v26, s[6:7] offset:40
	global_load_dwordx2 v[6:7], v26, s[6:7] offset:24 glc
	global_load_dwordx2 v[13:14], v26, s[6:7]
	v_mov_b32_e32 v11, s25
	s_waitcnt vmcnt(2)
	v_add_co_u32_e32 v12, vcc, 1, v2
	v_addc_co_u32_e32 v15, vcc, 0, v3, vcc
	v_add_co_u32_e32 v10, vcc, s24, v12
	v_addc_co_u32_e32 v11, vcc, v15, v11, vcc
	v_cmp_eq_u64_e32 vcc, 0, v[10:11]
	v_cndmask_b32_e32 v11, v11, v15, vcc
	v_cndmask_b32_e32 v10, v10, v12, vcc
	v_and_b32_e32 v3, v11, v3
	v_and_b32_e32 v2, v10, v2
	v_mul_lo_u32 v3, v3, 24
	v_mul_hi_u32 v15, v2, 24
	v_mul_lo_u32 v2, v2, 24
	s_waitcnt vmcnt(1)
	v_mov_b32_e32 v12, v6
	v_add_u32_e32 v3, v15, v3
	s_waitcnt vmcnt(0)
	v_add_co_u32_e32 v2, vcc, v13, v2
	v_addc_co_u32_e32 v3, vcc, v14, v3, vcc
	global_store_dwordx2 v[2:3], v[6:7], off
	v_mov_b32_e32 v13, v7
	s_waitcnt vmcnt(0)
	global_atomic_cmpswap_x2 v[12:13], v26, v[10:13], s[6:7] offset:24 glc
	s_waitcnt vmcnt(0)
	v_cmp_ne_u64_e32 vcc, v[12:13], v[6:7]
	s_and_b64 exec, exec, vcc
	s_cbranch_execz .LBB5_453
; %bb.533:                              ;   in Loop: Header=BB5_454 Depth=1
	s_mov_b64 s[4:5], 0
.LBB5_534:                              ;   Parent Loop BB5_454 Depth=1
                                        ; =>  This Inner Loop Header: Depth=2
	s_sleep 1
	global_store_dwordx2 v[2:3], v[12:13], off
	s_waitcnt vmcnt(0)
	global_atomic_cmpswap_x2 v[6:7], v26, v[10:13], s[6:7] offset:24 glc
	s_waitcnt vmcnt(0)
	v_cmp_eq_u64_e32 vcc, v[6:7], v[12:13]
	v_mov_b32_e32 v13, v7
	s_or_b64 s[4:5], vcc, s[4:5]
	v_mov_b32_e32 v12, v6
	s_andn2_b64 exec, exec, s[4:5]
	s_cbranch_execnz .LBB5_534
	s_branch .LBB5_453
.LBB5_535:
	s_branch .LBB5_563
.LBB5_536:
                                        ; implicit-def: $vgpr0_vgpr1
	s_cbranch_execz .LBB5_563
; %bb.537:
	v_readfirstlane_b32 s4, v32
	v_mov_b32_e32 v7, 0
	v_mov_b32_e32 v8, 0
	v_cmp_eq_u32_e64 s[4:5], s4, v32
	s_and_saveexec_b64 s[18:19], s[4:5]
	s_cbranch_execz .LBB5_543
; %bb.538:
	s_waitcnt vmcnt(0)
	v_mov_b32_e32 v0, 0
	global_load_dwordx2 v[9:10], v0, s[6:7] offset:24 glc
	s_waitcnt vmcnt(0)
	buffer_wbinvl1_vol
	global_load_dwordx2 v[1:2], v0, s[6:7] offset:40
	global_load_dwordx2 v[6:7], v0, s[6:7]
	s_waitcnt vmcnt(1)
	v_and_b32_e32 v1, v1, v9
	v_and_b32_e32 v2, v2, v10
	v_mul_lo_u32 v2, v2, 24
	v_mul_hi_u32 v3, v1, 24
	v_mul_lo_u32 v1, v1, 24
	v_add_u32_e32 v2, v3, v2
	s_waitcnt vmcnt(0)
	v_add_co_u32_e32 v1, vcc, v6, v1
	v_addc_co_u32_e32 v2, vcc, v7, v2, vcc
	global_load_dwordx2 v[7:8], v[1:2], off glc
	s_waitcnt vmcnt(0)
	global_atomic_cmpswap_x2 v[7:8], v0, v[7:10], s[6:7] offset:24 glc
	s_waitcnt vmcnt(0)
	buffer_wbinvl1_vol
	v_cmp_ne_u64_e32 vcc, v[7:8], v[9:10]
	s_and_saveexec_b64 s[20:21], vcc
	s_cbranch_execz .LBB5_542
; %bb.539:
	s_mov_b64 s[22:23], 0
.LBB5_540:                              ; =>This Inner Loop Header: Depth=1
	s_sleep 1
	global_load_dwordx2 v[1:2], v0, s[6:7] offset:40
	global_load_dwordx2 v[11:12], v0, s[6:7]
	v_mov_b32_e32 v10, v8
	v_mov_b32_e32 v9, v7
	s_waitcnt vmcnt(1)
	v_and_b32_e32 v1, v1, v9
	s_waitcnt vmcnt(0)
	v_mad_u64_u32 v[6:7], s[24:25], v1, 24, v[11:12]
	v_and_b32_e32 v2, v2, v10
	v_mov_b32_e32 v1, v7
	v_mad_u64_u32 v[1:2], s[24:25], v2, 24, v[1:2]
	v_mov_b32_e32 v7, v1
	global_load_dwordx2 v[7:8], v[6:7], off glc
	s_waitcnt vmcnt(0)
	global_atomic_cmpswap_x2 v[7:8], v0, v[7:10], s[6:7] offset:24 glc
	s_waitcnt vmcnt(0)
	buffer_wbinvl1_vol
	v_cmp_eq_u64_e32 vcc, v[7:8], v[9:10]
	s_or_b64 s[22:23], vcc, s[22:23]
	s_andn2_b64 exec, exec, s[22:23]
	s_cbranch_execnz .LBB5_540
; %bb.541:
	s_or_b64 exec, exec, s[22:23]
.LBB5_542:
	s_or_b64 exec, exec, s[20:21]
.LBB5_543:
	s_or_b64 exec, exec, s[18:19]
	v_mov_b32_e32 v6, 0
	global_load_dwordx2 v[9:10], v6, s[6:7] offset:40
	global_load_dwordx4 v[0:3], v6, s[6:7]
	v_readfirstlane_b32 s18, v7
	v_readfirstlane_b32 s19, v8
	s_mov_b64 s[20:21], exec
	s_waitcnt vmcnt(1)
	v_readfirstlane_b32 s22, v9
	v_readfirstlane_b32 s23, v10
	s_and_b64 s[22:23], s[18:19], s[22:23]
	s_mul_i32 s15, s23, 24
	s_mul_hi_u32 s24, s22, 24
	s_mul_i32 s25, s22, 24
	s_add_i32 s15, s24, s15
	v_mov_b32_e32 v7, s15
	s_waitcnt vmcnt(0)
	v_add_co_u32_e32 v8, vcc, s25, v0
	v_addc_co_u32_e32 v9, vcc, v1, v7, vcc
	s_and_saveexec_b64 s[24:25], s[4:5]
	s_cbranch_execz .LBB5_545
; %bb.544:
	v_mov_b32_e32 v10, s20
	v_mov_b32_e32 v11, s21
	;; [unrolled: 1-line block ×4, first 2 shown]
	global_store_dwordx4 v[8:9], v[10:13], off offset:8
.LBB5_545:
	s_or_b64 exec, exec, s[24:25]
	s_lshl_b64 s[20:21], s[22:23], 12
	v_mov_b32_e32 v7, s21
	v_add_co_u32_e32 v2, vcc, s20, v2
	v_addc_co_u32_e32 v3, vcc, v3, v7, vcc
	s_movk_i32 s15, 0xff1f
	v_and_or_b32 v4, v4, s15, 32
	v_add_co_u32_e32 v10, vcc, v2, v31
	s_mov_b32 s20, 0
	v_mov_b32_e32 v7, v6
	v_readfirstlane_b32 s24, v2
	v_readfirstlane_b32 s25, v3
	v_addc_co_u32_e32 v11, vcc, 0, v3, vcc
	s_mov_b32 s21, s20
	s_mov_b32 s22, s20
	;; [unrolled: 1-line block ×3, first 2 shown]
	s_nop 0
	global_store_dwordx4 v31, v[4:7], s[24:25]
	v_mov_b32_e32 v2, s20
	v_mov_b32_e32 v3, s21
	;; [unrolled: 1-line block ×4, first 2 shown]
	global_store_dwordx4 v31, v[2:5], s[24:25] offset:16
	global_store_dwordx4 v31, v[2:5], s[24:25] offset:32
	;; [unrolled: 1-line block ×3, first 2 shown]
	s_and_saveexec_b64 s[20:21], s[4:5]
	s_cbranch_execz .LBB5_553
; %bb.546:
	v_mov_b32_e32 v6, 0
	global_load_dwordx2 v[14:15], v6, s[6:7] offset:32 glc
	global_load_dwordx2 v[2:3], v6, s[6:7] offset:40
	v_mov_b32_e32 v12, s18
	v_mov_b32_e32 v13, s19
	s_waitcnt vmcnt(0)
	v_readfirstlane_b32 s22, v2
	v_readfirstlane_b32 s23, v3
	s_and_b64 s[22:23], s[22:23], s[18:19]
	s_mul_i32 s15, s23, 24
	s_mul_hi_u32 s23, s22, 24
	s_mul_i32 s22, s22, 24
	s_add_i32 s15, s23, s15
	v_mov_b32_e32 v2, s15
	v_add_co_u32_e32 v4, vcc, s22, v0
	v_addc_co_u32_e32 v5, vcc, v1, v2, vcc
	global_store_dwordx2 v[4:5], v[14:15], off
	s_waitcnt vmcnt(0)
	global_atomic_cmpswap_x2 v[2:3], v6, v[12:15], s[6:7] offset:32 glc
	s_waitcnt vmcnt(0)
	v_cmp_ne_u64_e32 vcc, v[2:3], v[14:15]
	s_and_saveexec_b64 s[22:23], vcc
	s_cbranch_execz .LBB5_549
; %bb.547:
	s_mov_b64 s[24:25], 0
.LBB5_548:                              ; =>This Inner Loop Header: Depth=1
	s_sleep 1
	global_store_dwordx2 v[4:5], v[2:3], off
	v_mov_b32_e32 v0, s18
	v_mov_b32_e32 v1, s19
	s_waitcnt vmcnt(0)
	global_atomic_cmpswap_x2 v[0:1], v6, v[0:3], s[6:7] offset:32 glc
	s_waitcnt vmcnt(0)
	v_cmp_eq_u64_e32 vcc, v[0:1], v[2:3]
	v_mov_b32_e32 v3, v1
	s_or_b64 s[24:25], vcc, s[24:25]
	v_mov_b32_e32 v2, v0
	s_andn2_b64 exec, exec, s[24:25]
	s_cbranch_execnz .LBB5_548
.LBB5_549:
	s_or_b64 exec, exec, s[22:23]
	v_mov_b32_e32 v3, 0
	global_load_dwordx2 v[0:1], v3, s[6:7] offset:16
	s_mov_b64 s[22:23], exec
	v_mbcnt_lo_u32_b32 v2, s22, 0
	v_mbcnt_hi_u32_b32 v2, s23, v2
	v_cmp_eq_u32_e32 vcc, 0, v2
	s_and_saveexec_b64 s[24:25], vcc
	s_cbranch_execz .LBB5_551
; %bb.550:
	s_bcnt1_i32_b64 s15, s[22:23]
	v_mov_b32_e32 v2, s15
	s_waitcnt vmcnt(0)
	global_atomic_add_x2 v[0:1], v[2:3], off offset:8
.LBB5_551:
	s_or_b64 exec, exec, s[24:25]
	s_waitcnt vmcnt(0)
	global_load_dwordx2 v[2:3], v[0:1], off offset:16
	s_waitcnt vmcnt(0)
	v_cmp_eq_u64_e32 vcc, 0, v[2:3]
	s_cbranch_vccnz .LBB5_553
; %bb.552:
	global_load_dword v0, v[0:1], off offset:24
	v_mov_b32_e32 v1, 0
	s_waitcnt vmcnt(0)
	global_store_dwordx2 v[2:3], v[0:1], off
	v_and_b32_e32 v0, 0xffffff, v0
	v_readfirstlane_b32 m0, v0
	s_sendmsg sendmsg(MSG_INTERRUPT)
.LBB5_553:
	s_or_b64 exec, exec, s[20:21]
	s_branch .LBB5_557
.LBB5_554:                              ;   in Loop: Header=BB5_557 Depth=1
	s_or_b64 exec, exec, s[20:21]
	v_readfirstlane_b32 s15, v0
	s_cmp_eq_u32 s15, 0
	s_cbranch_scc1 .LBB5_556
; %bb.555:                              ;   in Loop: Header=BB5_557 Depth=1
	s_sleep 1
	s_cbranch_execnz .LBB5_557
	s_branch .LBB5_559
.LBB5_556:
	s_branch .LBB5_559
.LBB5_557:                              ; =>This Inner Loop Header: Depth=1
	v_mov_b32_e32 v0, 1
	s_and_saveexec_b64 s[20:21], s[4:5]
	s_cbranch_execz .LBB5_554
; %bb.558:                              ;   in Loop: Header=BB5_557 Depth=1
	global_load_dword v0, v[8:9], off offset:20 glc
	s_waitcnt vmcnt(0)
	buffer_wbinvl1_vol
	v_and_b32_e32 v0, 1, v0
	s_branch .LBB5_554
.LBB5_559:
	global_load_dwordx2 v[0:1], v[10:11], off
	s_and_saveexec_b64 s[20:21], s[4:5]
	s_cbranch_execz .LBB5_562
; %bb.560:
	v_mov_b32_e32 v8, 0
	global_load_dwordx2 v[4:5], v8, s[6:7] offset:40
	global_load_dwordx2 v[9:10], v8, s[6:7] offset:24 glc
	global_load_dwordx2 v[6:7], v8, s[6:7]
	v_mov_b32_e32 v3, s19
	s_mov_b64 s[4:5], 0
	s_waitcnt vmcnt(2)
	v_add_co_u32_e32 v11, vcc, 1, v4
	v_addc_co_u32_e32 v12, vcc, 0, v5, vcc
	v_add_co_u32_e32 v2, vcc, s18, v11
	v_addc_co_u32_e32 v3, vcc, v12, v3, vcc
	v_cmp_eq_u64_e32 vcc, 0, v[2:3]
	v_cndmask_b32_e32 v3, v3, v12, vcc
	v_cndmask_b32_e32 v2, v2, v11, vcc
	v_and_b32_e32 v5, v3, v5
	v_and_b32_e32 v4, v2, v4
	v_mul_lo_u32 v5, v5, 24
	v_mul_hi_u32 v11, v4, 24
	v_mul_lo_u32 v12, v4, 24
	s_waitcnt vmcnt(1)
	v_mov_b32_e32 v4, v9
	v_add_u32_e32 v5, v11, v5
	s_waitcnt vmcnt(0)
	v_add_co_u32_e32 v6, vcc, v6, v12
	v_addc_co_u32_e32 v7, vcc, v7, v5, vcc
	global_store_dwordx2 v[6:7], v[9:10], off
	v_mov_b32_e32 v5, v10
	s_waitcnt vmcnt(0)
	global_atomic_cmpswap_x2 v[4:5], v8, v[2:5], s[6:7] offset:24 glc
	s_waitcnt vmcnt(0)
	v_cmp_ne_u64_e32 vcc, v[4:5], v[9:10]
	s_and_b64 exec, exec, vcc
	s_cbranch_execz .LBB5_562
.LBB5_561:                              ; =>This Inner Loop Header: Depth=1
	s_sleep 1
	global_store_dwordx2 v[6:7], v[4:5], off
	s_waitcnt vmcnt(0)
	global_atomic_cmpswap_x2 v[9:10], v8, v[2:5], s[6:7] offset:24 glc
	s_waitcnt vmcnt(0)
	v_cmp_eq_u64_e32 vcc, v[9:10], v[4:5]
	v_mov_b32_e32 v4, v9
	s_or_b64 s[4:5], vcc, s[4:5]
	v_mov_b32_e32 v5, v10
	s_andn2_b64 exec, exec, s[4:5]
	s_cbranch_execnz .LBB5_561
.LBB5_562:
	s_or_b64 exec, exec, s[20:21]
.LBB5_563:
	s_getpc_b64 s[18:19]
	s_add_u32 s18, s18, .str.1@rel32@lo+4
	s_addc_u32 s19, s19, .str.1@rel32@hi+12
	s_cmp_lg_u64 s[18:19], 0
	s_cbranch_scc0 .LBB5_648
; %bb.564:
	s_waitcnt vmcnt(0)
	v_and_b32_e32 v6, -3, v0
	v_mov_b32_e32 v7, v1
	s_mov_b64 s[20:21], 0x53
	v_mov_b32_e32 v26, 0
	v_mov_b32_e32 v4, 2
	;; [unrolled: 1-line block ×3, first 2 shown]
	s_branch .LBB5_566
.LBB5_565:                              ;   in Loop: Header=BB5_566 Depth=1
	s_or_b64 exec, exec, s[26:27]
	s_sub_u32 s20, s20, s22
	s_subb_u32 s21, s21, s23
	s_add_u32 s18, s18, s22
	s_addc_u32 s19, s19, s23
	s_cmp_lg_u64 s[20:21], 0
	s_cbranch_scc0 .LBB5_647
.LBB5_566:                              ; =>This Loop Header: Depth=1
                                        ;     Child Loop BB5_569 Depth 2
                                        ;     Child Loop BB5_576 Depth 2
	;; [unrolled: 1-line block ×11, first 2 shown]
	v_cmp_lt_u64_e64 s[4:5], s[20:21], 56
	v_cmp_gt_u64_e64 s[24:25], s[20:21], 7
	s_and_b64 s[4:5], s[4:5], exec
	s_cselect_b32 s23, s21, 0
	s_cselect_b32 s22, s20, 56
	s_and_b64 vcc, exec, s[24:25]
	s_cbranch_vccnz .LBB5_571
; %bb.567:                              ;   in Loop: Header=BB5_566 Depth=1
	s_waitcnt vmcnt(0)
	v_mov_b32_e32 v8, 0
	s_cmp_eq_u64 s[20:21], 0
	v_mov_b32_e32 v9, 0
	s_mov_b64 s[4:5], 0
	s_cbranch_scc1 .LBB5_570
; %bb.568:                              ;   in Loop: Header=BB5_566 Depth=1
	v_mov_b32_e32 v8, 0
	s_lshl_b64 s[24:25], s[22:23], 3
	s_mov_b64 s[26:27], 0
	v_mov_b32_e32 v9, 0
	s_mov_b64 s[28:29], s[18:19]
.LBB5_569:                              ;   Parent Loop BB5_566 Depth=1
                                        ; =>  This Inner Loop Header: Depth=2
	global_load_ubyte v2, v26, s[28:29]
	s_waitcnt vmcnt(0)
	v_and_b32_e32 v25, 0xffff, v2
	v_lshlrev_b64 v[2:3], s26, v[25:26]
	s_add_u32 s26, s26, 8
	s_addc_u32 s27, s27, 0
	s_add_u32 s28, s28, 1
	s_addc_u32 s29, s29, 0
	v_or_b32_e32 v8, v2, v8
	s_cmp_lg_u32 s24, s26
	v_or_b32_e32 v9, v3, v9
	s_cbranch_scc1 .LBB5_569
.LBB5_570:                              ;   in Loop: Header=BB5_566 Depth=1
	s_mov_b32 s15, 0
	s_andn2_b64 vcc, exec, s[4:5]
	s_mov_b64 s[4:5], s[18:19]
	s_cbranch_vccz .LBB5_572
	s_branch .LBB5_573
.LBB5_571:                              ;   in Loop: Header=BB5_566 Depth=1
                                        ; implicit-def: $sgpr15
	s_mov_b64 s[4:5], s[18:19]
.LBB5_572:                              ;   in Loop: Header=BB5_566 Depth=1
	global_load_dwordx2 v[8:9], v26, s[18:19]
	s_add_i32 s15, s22, -8
	s_add_u32 s4, s18, 8
	s_addc_u32 s5, s19, 0
.LBB5_573:                              ;   in Loop: Header=BB5_566 Depth=1
	s_cmp_gt_u32 s15, 7
	s_cbranch_scc1 .LBB5_577
; %bb.574:                              ;   in Loop: Header=BB5_566 Depth=1
	s_cmp_eq_u32 s15, 0
	s_cbranch_scc1 .LBB5_578
; %bb.575:                              ;   in Loop: Header=BB5_566 Depth=1
	v_mov_b32_e32 v10, 0
	s_mov_b64 s[24:25], 0
	v_mov_b32_e32 v11, 0
	s_mov_b64 s[26:27], 0
.LBB5_576:                              ;   Parent Loop BB5_566 Depth=1
                                        ; =>  This Inner Loop Header: Depth=2
	s_add_u32 s28, s4, s26
	s_addc_u32 s29, s5, s27
	global_load_ubyte v2, v26, s[28:29]
	s_add_u32 s26, s26, 1
	s_addc_u32 s27, s27, 0
	s_waitcnt vmcnt(0)
	v_and_b32_e32 v25, 0xffff, v2
	v_lshlrev_b64 v[2:3], s24, v[25:26]
	s_add_u32 s24, s24, 8
	s_addc_u32 s25, s25, 0
	v_or_b32_e32 v10, v2, v10
	s_cmp_lg_u32 s15, s26
	v_or_b32_e32 v11, v3, v11
	s_cbranch_scc1 .LBB5_576
	s_branch .LBB5_579
.LBB5_577:                              ;   in Loop: Header=BB5_566 Depth=1
                                        ; implicit-def: $vgpr10_vgpr11
                                        ; implicit-def: $sgpr28
	s_branch .LBB5_580
.LBB5_578:                              ;   in Loop: Header=BB5_566 Depth=1
	v_mov_b32_e32 v10, 0
	v_mov_b32_e32 v11, 0
.LBB5_579:                              ;   in Loop: Header=BB5_566 Depth=1
	s_mov_b32 s28, 0
	s_cbranch_execnz .LBB5_581
.LBB5_580:                              ;   in Loop: Header=BB5_566 Depth=1
	global_load_dwordx2 v[10:11], v26, s[4:5]
	s_add_i32 s28, s15, -8
	s_add_u32 s4, s4, 8
	s_addc_u32 s5, s5, 0
.LBB5_581:                              ;   in Loop: Header=BB5_566 Depth=1
	s_cmp_gt_u32 s28, 7
	s_cbranch_scc1 .LBB5_585
; %bb.582:                              ;   in Loop: Header=BB5_566 Depth=1
	s_cmp_eq_u32 s28, 0
	s_cbranch_scc1 .LBB5_586
; %bb.583:                              ;   in Loop: Header=BB5_566 Depth=1
	v_mov_b32_e32 v12, 0
	s_mov_b64 s[24:25], 0
	v_mov_b32_e32 v13, 0
	s_mov_b64 s[26:27], 0
.LBB5_584:                              ;   Parent Loop BB5_566 Depth=1
                                        ; =>  This Inner Loop Header: Depth=2
	s_add_u32 vcc_lo, s4, s26
	s_addc_u32 vcc_hi, s5, s27
	global_load_ubyte v2, v26, vcc
	s_add_u32 s26, s26, 1
	s_addc_u32 s27, s27, 0
	s_waitcnt vmcnt(0)
	v_and_b32_e32 v25, 0xffff, v2
	v_lshlrev_b64 v[2:3], s24, v[25:26]
	s_add_u32 s24, s24, 8
	s_addc_u32 s25, s25, 0
	v_or_b32_e32 v12, v2, v12
	s_cmp_lg_u32 s28, s26
	v_or_b32_e32 v13, v3, v13
	s_cbranch_scc1 .LBB5_584
	s_branch .LBB5_587
.LBB5_585:                              ;   in Loop: Header=BB5_566 Depth=1
                                        ; implicit-def: $sgpr15
	s_branch .LBB5_588
.LBB5_586:                              ;   in Loop: Header=BB5_566 Depth=1
	v_mov_b32_e32 v12, 0
	v_mov_b32_e32 v13, 0
.LBB5_587:                              ;   in Loop: Header=BB5_566 Depth=1
	s_mov_b32 s15, 0
	s_cbranch_execnz .LBB5_589
.LBB5_588:                              ;   in Loop: Header=BB5_566 Depth=1
	global_load_dwordx2 v[12:13], v26, s[4:5]
	s_add_i32 s15, s28, -8
	s_add_u32 s4, s4, 8
	s_addc_u32 s5, s5, 0
.LBB5_589:                              ;   in Loop: Header=BB5_566 Depth=1
	s_cmp_gt_u32 s15, 7
	s_cbranch_scc1 .LBB5_593
; %bb.590:                              ;   in Loop: Header=BB5_566 Depth=1
	s_cmp_eq_u32 s15, 0
	s_cbranch_scc1 .LBB5_594
; %bb.591:                              ;   in Loop: Header=BB5_566 Depth=1
	v_mov_b32_e32 v14, 0
	s_mov_b64 s[24:25], 0
	v_mov_b32_e32 v15, 0
	s_mov_b64 s[26:27], 0
.LBB5_592:                              ;   Parent Loop BB5_566 Depth=1
                                        ; =>  This Inner Loop Header: Depth=2
	s_add_u32 s28, s4, s26
	s_addc_u32 s29, s5, s27
	global_load_ubyte v2, v26, s[28:29]
	s_add_u32 s26, s26, 1
	s_addc_u32 s27, s27, 0
	s_waitcnt vmcnt(0)
	v_and_b32_e32 v25, 0xffff, v2
	v_lshlrev_b64 v[2:3], s24, v[25:26]
	s_add_u32 s24, s24, 8
	s_addc_u32 s25, s25, 0
	v_or_b32_e32 v14, v2, v14
	s_cmp_lg_u32 s15, s26
	v_or_b32_e32 v15, v3, v15
	s_cbranch_scc1 .LBB5_592
	s_branch .LBB5_595
.LBB5_593:                              ;   in Loop: Header=BB5_566 Depth=1
                                        ; implicit-def: $vgpr14_vgpr15
                                        ; implicit-def: $sgpr28
	s_branch .LBB5_596
.LBB5_594:                              ;   in Loop: Header=BB5_566 Depth=1
	v_mov_b32_e32 v14, 0
	v_mov_b32_e32 v15, 0
.LBB5_595:                              ;   in Loop: Header=BB5_566 Depth=1
	s_mov_b32 s28, 0
	s_cbranch_execnz .LBB5_597
.LBB5_596:                              ;   in Loop: Header=BB5_566 Depth=1
	global_load_dwordx2 v[14:15], v26, s[4:5]
	s_add_i32 s28, s15, -8
	s_add_u32 s4, s4, 8
	s_addc_u32 s5, s5, 0
.LBB5_597:                              ;   in Loop: Header=BB5_566 Depth=1
	s_cmp_gt_u32 s28, 7
	s_cbranch_scc1 .LBB5_601
; %bb.598:                              ;   in Loop: Header=BB5_566 Depth=1
	s_cmp_eq_u32 s28, 0
	s_cbranch_scc1 .LBB5_602
; %bb.599:                              ;   in Loop: Header=BB5_566 Depth=1
	v_mov_b32_e32 v16, 0
	s_mov_b64 s[24:25], 0
	v_mov_b32_e32 v17, 0
	s_mov_b64 s[26:27], 0
.LBB5_600:                              ;   Parent Loop BB5_566 Depth=1
                                        ; =>  This Inner Loop Header: Depth=2
	s_add_u32 vcc_lo, s4, s26
	s_addc_u32 vcc_hi, s5, s27
	global_load_ubyte v2, v26, vcc
	s_add_u32 s26, s26, 1
	s_addc_u32 s27, s27, 0
	s_waitcnt vmcnt(0)
	v_and_b32_e32 v25, 0xffff, v2
	v_lshlrev_b64 v[2:3], s24, v[25:26]
	s_add_u32 s24, s24, 8
	s_addc_u32 s25, s25, 0
	v_or_b32_e32 v16, v2, v16
	s_cmp_lg_u32 s28, s26
	v_or_b32_e32 v17, v3, v17
	s_cbranch_scc1 .LBB5_600
	s_branch .LBB5_603
.LBB5_601:                              ;   in Loop: Header=BB5_566 Depth=1
                                        ; implicit-def: $sgpr15
	s_branch .LBB5_604
.LBB5_602:                              ;   in Loop: Header=BB5_566 Depth=1
	v_mov_b32_e32 v16, 0
	v_mov_b32_e32 v17, 0
.LBB5_603:                              ;   in Loop: Header=BB5_566 Depth=1
	s_mov_b32 s15, 0
	s_cbranch_execnz .LBB5_605
.LBB5_604:                              ;   in Loop: Header=BB5_566 Depth=1
	global_load_dwordx2 v[16:17], v26, s[4:5]
	s_add_i32 s15, s28, -8
	s_add_u32 s4, s4, 8
	s_addc_u32 s5, s5, 0
.LBB5_605:                              ;   in Loop: Header=BB5_566 Depth=1
	s_cmp_gt_u32 s15, 7
	s_cbranch_scc1 .LBB5_609
; %bb.606:                              ;   in Loop: Header=BB5_566 Depth=1
	s_cmp_eq_u32 s15, 0
	s_cbranch_scc1 .LBB5_610
; %bb.607:                              ;   in Loop: Header=BB5_566 Depth=1
	v_mov_b32_e32 v18, 0
	s_mov_b64 s[24:25], 0
	v_mov_b32_e32 v19, 0
	s_mov_b64 s[26:27], 0
.LBB5_608:                              ;   Parent Loop BB5_566 Depth=1
                                        ; =>  This Inner Loop Header: Depth=2
	s_add_u32 s28, s4, s26
	s_addc_u32 s29, s5, s27
	global_load_ubyte v2, v26, s[28:29]
	s_add_u32 s26, s26, 1
	s_addc_u32 s27, s27, 0
	s_waitcnt vmcnt(0)
	v_and_b32_e32 v25, 0xffff, v2
	v_lshlrev_b64 v[2:3], s24, v[25:26]
	s_add_u32 s24, s24, 8
	s_addc_u32 s25, s25, 0
	v_or_b32_e32 v18, v2, v18
	s_cmp_lg_u32 s15, s26
	v_or_b32_e32 v19, v3, v19
	s_cbranch_scc1 .LBB5_608
	s_branch .LBB5_611
.LBB5_609:                              ;   in Loop: Header=BB5_566 Depth=1
                                        ; implicit-def: $vgpr18_vgpr19
                                        ; implicit-def: $sgpr28
	s_branch .LBB5_612
.LBB5_610:                              ;   in Loop: Header=BB5_566 Depth=1
	v_mov_b32_e32 v18, 0
	v_mov_b32_e32 v19, 0
.LBB5_611:                              ;   in Loop: Header=BB5_566 Depth=1
	s_mov_b32 s28, 0
	s_cbranch_execnz .LBB5_613
.LBB5_612:                              ;   in Loop: Header=BB5_566 Depth=1
	global_load_dwordx2 v[18:19], v26, s[4:5]
	s_add_i32 s28, s15, -8
	s_add_u32 s4, s4, 8
	s_addc_u32 s5, s5, 0
.LBB5_613:                              ;   in Loop: Header=BB5_566 Depth=1
	s_cmp_gt_u32 s28, 7
	s_cbranch_scc1 .LBB5_617
; %bb.614:                              ;   in Loop: Header=BB5_566 Depth=1
	s_cmp_eq_u32 s28, 0
	s_cbranch_scc1 .LBB5_618
; %bb.615:                              ;   in Loop: Header=BB5_566 Depth=1
	v_mov_b32_e32 v20, 0
	s_mov_b64 s[24:25], 0
	v_mov_b32_e32 v21, 0
	s_mov_b64 s[26:27], s[4:5]
.LBB5_616:                              ;   Parent Loop BB5_566 Depth=1
                                        ; =>  This Inner Loop Header: Depth=2
	global_load_ubyte v2, v26, s[26:27]
	s_add_i32 s28, s28, -1
	s_waitcnt vmcnt(0)
	v_and_b32_e32 v25, 0xffff, v2
	v_lshlrev_b64 v[2:3], s24, v[25:26]
	s_add_u32 s24, s24, 8
	s_addc_u32 s25, s25, 0
	s_add_u32 s26, s26, 1
	s_addc_u32 s27, s27, 0
	v_or_b32_e32 v20, v2, v20
	s_cmp_lg_u32 s28, 0
	v_or_b32_e32 v21, v3, v21
	s_cbranch_scc1 .LBB5_616
	s_branch .LBB5_619
.LBB5_617:                              ;   in Loop: Header=BB5_566 Depth=1
	s_branch .LBB5_620
.LBB5_618:                              ;   in Loop: Header=BB5_566 Depth=1
	v_mov_b32_e32 v20, 0
	v_mov_b32_e32 v21, 0
.LBB5_619:                              ;   in Loop: Header=BB5_566 Depth=1
	s_cbranch_execnz .LBB5_621
.LBB5_620:                              ;   in Loop: Header=BB5_566 Depth=1
	global_load_dwordx2 v[20:21], v26, s[4:5]
.LBB5_621:                              ;   in Loop: Header=BB5_566 Depth=1
	v_readfirstlane_b32 s4, v32
	v_mov_b32_e32 v2, 0
	v_mov_b32_e32 v3, 0
	v_cmp_eq_u32_e64 s[4:5], s4, v32
	s_and_saveexec_b64 s[24:25], s[4:5]
	s_cbranch_execz .LBB5_627
; %bb.622:                              ;   in Loop: Header=BB5_566 Depth=1
	global_load_dwordx2 v[24:25], v26, s[6:7] offset:24 glc
	s_waitcnt vmcnt(0)
	buffer_wbinvl1_vol
	global_load_dwordx2 v[2:3], v26, s[6:7] offset:40
	global_load_dwordx2 v[22:23], v26, s[6:7]
	s_waitcnt vmcnt(1)
	v_and_b32_e32 v2, v2, v24
	v_and_b32_e32 v3, v3, v25
	v_mul_lo_u32 v3, v3, 24
	v_mul_hi_u32 v27, v2, 24
	v_mul_lo_u32 v2, v2, 24
	v_add_u32_e32 v3, v27, v3
	s_waitcnt vmcnt(0)
	v_add_co_u32_e32 v2, vcc, v22, v2
	v_addc_co_u32_e32 v3, vcc, v23, v3, vcc
	global_load_dwordx2 v[22:23], v[2:3], off glc
	s_waitcnt vmcnt(0)
	global_atomic_cmpswap_x2 v[2:3], v26, v[22:25], s[6:7] offset:24 glc
	s_waitcnt vmcnt(0)
	buffer_wbinvl1_vol
	v_cmp_ne_u64_e32 vcc, v[2:3], v[24:25]
	s_and_saveexec_b64 s[26:27], vcc
	s_cbranch_execz .LBB5_626
; %bb.623:                              ;   in Loop: Header=BB5_566 Depth=1
	s_mov_b64 s[28:29], 0
.LBB5_624:                              ;   Parent Loop BB5_566 Depth=1
                                        ; =>  This Inner Loop Header: Depth=2
	s_sleep 1
	global_load_dwordx2 v[22:23], v26, s[6:7] offset:40
	global_load_dwordx2 v[27:28], v26, s[6:7]
	v_mov_b32_e32 v25, v3
	v_mov_b32_e32 v24, v2
	s_waitcnt vmcnt(1)
	v_and_b32_e32 v2, v22, v24
	s_waitcnt vmcnt(0)
	v_mad_u64_u32 v[2:3], vcc, v2, 24, v[27:28]
	v_and_b32_e32 v22, v23, v25
	v_mad_u64_u32 v[22:23], vcc, v22, 24, v[3:4]
	v_mov_b32_e32 v3, v22
	global_load_dwordx2 v[22:23], v[2:3], off glc
	s_waitcnt vmcnt(0)
	global_atomic_cmpswap_x2 v[2:3], v26, v[22:25], s[6:7] offset:24 glc
	s_waitcnt vmcnt(0)
	buffer_wbinvl1_vol
	v_cmp_eq_u64_e32 vcc, v[2:3], v[24:25]
	s_or_b64 s[28:29], vcc, s[28:29]
	s_andn2_b64 exec, exec, s[28:29]
	s_cbranch_execnz .LBB5_624
; %bb.625:                              ;   in Loop: Header=BB5_566 Depth=1
	s_or_b64 exec, exec, s[28:29]
.LBB5_626:                              ;   in Loop: Header=BB5_566 Depth=1
	s_or_b64 exec, exec, s[26:27]
.LBB5_627:                              ;   in Loop: Header=BB5_566 Depth=1
	s_or_b64 exec, exec, s[24:25]
	global_load_dwordx2 v[27:28], v26, s[6:7] offset:40
	global_load_dwordx4 v[22:25], v26, s[6:7]
	v_readfirstlane_b32 s24, v2
	v_readfirstlane_b32 s25, v3
	s_mov_b64 s[26:27], exec
	s_waitcnt vmcnt(1)
	v_readfirstlane_b32 s28, v27
	v_readfirstlane_b32 s29, v28
	s_and_b64 s[28:29], s[24:25], s[28:29]
	s_mul_i32 s15, s29, 24
	s_mul_hi_u32 vcc_lo, s28, 24
	s_mul_i32 vcc_hi, s28, 24
	s_add_i32 s15, vcc_lo, s15
	v_mov_b32_e32 v2, s15
	s_waitcnt vmcnt(0)
	v_add_co_u32_e32 v27, vcc, vcc_hi, v22
	v_addc_co_u32_e32 v28, vcc, v23, v2, vcc
	s_and_saveexec_b64 vcc, s[4:5]
	s_cbranch_execz .LBB5_629
; %bb.628:                              ;   in Loop: Header=BB5_566 Depth=1
	v_mov_b32_e32 v2, s26
	v_mov_b32_e32 v3, s27
	global_store_dwordx4 v[27:28], v[2:5], off offset:8
.LBB5_629:                              ;   in Loop: Header=BB5_566 Depth=1
	s_or_b64 exec, exec, vcc
	s_lshl_b64 s[26:27], s[28:29], 12
	v_mov_b32_e32 v2, s27
	v_add_co_u32_e32 v24, vcc, s26, v24
	v_addc_co_u32_e32 v29, vcc, v25, v2, vcc
	v_cmp_gt_u64_e64 vcc, s[20:21], 56
	v_or_b32_e32 v2, 2, v6
	s_lshl_b32 s15, s22, 2
	v_cndmask_b32_e32 v2, v2, v6, vcc
	s_add_i32 s15, s15, 28
	s_and_b32 s15, s15, 0x1e0
	v_and_b32_e32 v2, 0xffffff1f, v2
	v_or_b32_e32 v6, s15, v2
	v_readfirstlane_b32 s26, v24
	v_readfirstlane_b32 s27, v29
	s_nop 4
	global_store_dwordx4 v31, v[6:9], s[26:27]
	global_store_dwordx4 v31, v[10:13], s[26:27] offset:16
	global_store_dwordx4 v31, v[14:17], s[26:27] offset:32
	;; [unrolled: 1-line block ×3, first 2 shown]
	s_and_saveexec_b64 s[26:27], s[4:5]
	s_cbranch_execz .LBB5_637
; %bb.630:                              ;   in Loop: Header=BB5_566 Depth=1
	global_load_dwordx2 v[10:11], v26, s[6:7] offset:32 glc
	global_load_dwordx2 v[2:3], v26, s[6:7] offset:40
	v_mov_b32_e32 v8, s24
	v_mov_b32_e32 v9, s25
	s_waitcnt vmcnt(0)
	v_readfirstlane_b32 s28, v2
	v_readfirstlane_b32 s29, v3
	s_and_b64 s[28:29], s[28:29], s[24:25]
	s_mul_i32 s15, s29, 24
	s_mul_hi_u32 s29, s28, 24
	s_mul_i32 s28, s28, 24
	s_add_i32 s15, s29, s15
	v_mov_b32_e32 v3, s15
	v_add_co_u32_e32 v2, vcc, s28, v22
	v_addc_co_u32_e32 v3, vcc, v23, v3, vcc
	global_store_dwordx2 v[2:3], v[10:11], off
	s_waitcnt vmcnt(0)
	global_atomic_cmpswap_x2 v[8:9], v26, v[8:11], s[6:7] offset:32 glc
	s_waitcnt vmcnt(0)
	v_cmp_ne_u64_e32 vcc, v[8:9], v[10:11]
	s_and_saveexec_b64 s[28:29], vcc
	s_cbranch_execz .LBB5_633
; %bb.631:                              ;   in Loop: Header=BB5_566 Depth=1
	s_mov_b64 s[30:31], 0
.LBB5_632:                              ;   Parent Loop BB5_566 Depth=1
                                        ; =>  This Inner Loop Header: Depth=2
	s_sleep 1
	global_store_dwordx2 v[2:3], v[8:9], off
	v_mov_b32_e32 v6, s24
	v_mov_b32_e32 v7, s25
	s_waitcnt vmcnt(0)
	global_atomic_cmpswap_x2 v[6:7], v26, v[6:9], s[6:7] offset:32 glc
	s_waitcnt vmcnt(0)
	v_cmp_eq_u64_e32 vcc, v[6:7], v[8:9]
	v_mov_b32_e32 v9, v7
	s_or_b64 s[30:31], vcc, s[30:31]
	v_mov_b32_e32 v8, v6
	s_andn2_b64 exec, exec, s[30:31]
	s_cbranch_execnz .LBB5_632
.LBB5_633:                              ;   in Loop: Header=BB5_566 Depth=1
	s_or_b64 exec, exec, s[28:29]
	global_load_dwordx2 v[2:3], v26, s[6:7] offset:16
	s_mov_b64 s[30:31], exec
	v_mbcnt_lo_u32_b32 v6, s30, 0
	v_mbcnt_hi_u32_b32 v6, s31, v6
	v_cmp_eq_u32_e32 vcc, 0, v6
	s_and_saveexec_b64 s[28:29], vcc
	s_cbranch_execz .LBB5_635
; %bb.634:                              ;   in Loop: Header=BB5_566 Depth=1
	s_bcnt1_i32_b64 s15, s[30:31]
	v_mov_b32_e32 v25, s15
	s_waitcnt vmcnt(0)
	global_atomic_add_x2 v[2:3], v[25:26], off offset:8
.LBB5_635:                              ;   in Loop: Header=BB5_566 Depth=1
	s_or_b64 exec, exec, s[28:29]
	s_waitcnt vmcnt(0)
	global_load_dwordx2 v[6:7], v[2:3], off offset:16
	s_waitcnt vmcnt(0)
	v_cmp_eq_u64_e32 vcc, 0, v[6:7]
	s_cbranch_vccnz .LBB5_637
; %bb.636:                              ;   in Loop: Header=BB5_566 Depth=1
	global_load_dword v25, v[2:3], off offset:24
	s_waitcnt vmcnt(0)
	v_and_b32_e32 v2, 0xffffff, v25
	v_readfirstlane_b32 m0, v2
	global_store_dwordx2 v[6:7], v[25:26], off
	s_sendmsg sendmsg(MSG_INTERRUPT)
.LBB5_637:                              ;   in Loop: Header=BB5_566 Depth=1
	s_or_b64 exec, exec, s[26:27]
	v_add_co_u32_e32 v2, vcc, v24, v31
	v_addc_co_u32_e32 v3, vcc, 0, v29, vcc
	s_branch .LBB5_641
.LBB5_638:                              ;   in Loop: Header=BB5_641 Depth=2
	s_or_b64 exec, exec, s[26:27]
	v_readfirstlane_b32 s15, v6
	s_cmp_eq_u32 s15, 0
	s_cbranch_scc1 .LBB5_640
; %bb.639:                              ;   in Loop: Header=BB5_641 Depth=2
	s_sleep 1
	s_cbranch_execnz .LBB5_641
	s_branch .LBB5_643
.LBB5_640:                              ;   in Loop: Header=BB5_566 Depth=1
	s_branch .LBB5_643
.LBB5_641:                              ;   Parent Loop BB5_566 Depth=1
                                        ; =>  This Inner Loop Header: Depth=2
	v_mov_b32_e32 v6, 1
	s_and_saveexec_b64 s[26:27], s[4:5]
	s_cbranch_execz .LBB5_638
; %bb.642:                              ;   in Loop: Header=BB5_641 Depth=2
	global_load_dword v6, v[27:28], off offset:20 glc
	s_waitcnt vmcnt(0)
	buffer_wbinvl1_vol
	v_and_b32_e32 v6, 1, v6
	s_branch .LBB5_638
.LBB5_643:                              ;   in Loop: Header=BB5_566 Depth=1
	global_load_dwordx4 v[6:9], v[2:3], off
	s_and_saveexec_b64 s[26:27], s[4:5]
	s_cbranch_execz .LBB5_565
; %bb.644:                              ;   in Loop: Header=BB5_566 Depth=1
	global_load_dwordx2 v[2:3], v26, s[6:7] offset:40
	global_load_dwordx2 v[12:13], v26, s[6:7] offset:24 glc
	global_load_dwordx2 v[14:15], v26, s[6:7]
	s_waitcnt vmcnt(3)
	v_mov_b32_e32 v9, s25
	s_waitcnt vmcnt(2)
	v_add_co_u32_e32 v10, vcc, 1, v2
	v_addc_co_u32_e32 v11, vcc, 0, v3, vcc
	v_add_co_u32_e32 v8, vcc, s24, v10
	v_addc_co_u32_e32 v9, vcc, v11, v9, vcc
	v_cmp_eq_u64_e32 vcc, 0, v[8:9]
	v_cndmask_b32_e32 v9, v9, v11, vcc
	v_cndmask_b32_e32 v8, v8, v10, vcc
	v_and_b32_e32 v3, v9, v3
	v_and_b32_e32 v2, v8, v2
	v_mul_lo_u32 v3, v3, 24
	v_mul_hi_u32 v11, v2, 24
	v_mul_lo_u32 v2, v2, 24
	s_waitcnt vmcnt(1)
	v_mov_b32_e32 v10, v12
	v_add_u32_e32 v3, v11, v3
	s_waitcnt vmcnt(0)
	v_add_co_u32_e32 v2, vcc, v14, v2
	v_addc_co_u32_e32 v3, vcc, v15, v3, vcc
	global_store_dwordx2 v[2:3], v[12:13], off
	v_mov_b32_e32 v11, v13
	s_waitcnt vmcnt(0)
	global_atomic_cmpswap_x2 v[10:11], v26, v[8:11], s[6:7] offset:24 glc
	s_waitcnt vmcnt(0)
	v_cmp_ne_u64_e32 vcc, v[10:11], v[12:13]
	s_and_b64 exec, exec, vcc
	s_cbranch_execz .LBB5_565
; %bb.645:                              ;   in Loop: Header=BB5_566 Depth=1
	s_mov_b64 s[4:5], 0
.LBB5_646:                              ;   Parent Loop BB5_566 Depth=1
                                        ; =>  This Inner Loop Header: Depth=2
	s_sleep 1
	global_store_dwordx2 v[2:3], v[10:11], off
	s_waitcnt vmcnt(0)
	global_atomic_cmpswap_x2 v[12:13], v26, v[8:11], s[6:7] offset:24 glc
	s_waitcnt vmcnt(0)
	v_cmp_eq_u64_e32 vcc, v[12:13], v[10:11]
	v_mov_b32_e32 v10, v12
	s_or_b64 s[4:5], vcc, s[4:5]
	v_mov_b32_e32 v11, v13
	s_andn2_b64 exec, exec, s[4:5]
	s_cbranch_execnz .LBB5_646
	s_branch .LBB5_565
.LBB5_647:
	s_branch .LBB5_675
.LBB5_648:
	s_cbranch_execz .LBB5_675
; %bb.649:
	v_readfirstlane_b32 s4, v32
	s_waitcnt vmcnt(0)
	v_mov_b32_e32 v8, 0
	v_mov_b32_e32 v9, 0
	v_cmp_eq_u32_e64 s[4:5], s4, v32
	s_and_saveexec_b64 s[18:19], s[4:5]
	s_cbranch_execz .LBB5_655
; %bb.650:
	v_mov_b32_e32 v2, 0
	global_load_dwordx2 v[5:6], v2, s[6:7] offset:24 glc
	s_waitcnt vmcnt(0)
	buffer_wbinvl1_vol
	global_load_dwordx2 v[3:4], v2, s[6:7] offset:40
	global_load_dwordx2 v[7:8], v2, s[6:7]
	s_waitcnt vmcnt(1)
	v_and_b32_e32 v3, v3, v5
	v_and_b32_e32 v4, v4, v6
	v_mul_lo_u32 v4, v4, 24
	v_mul_hi_u32 v9, v3, 24
	v_mul_lo_u32 v3, v3, 24
	v_add_u32_e32 v4, v9, v4
	s_waitcnt vmcnt(0)
	v_add_co_u32_e32 v3, vcc, v7, v3
	v_addc_co_u32_e32 v4, vcc, v8, v4, vcc
	global_load_dwordx2 v[3:4], v[3:4], off glc
	s_waitcnt vmcnt(0)
	global_atomic_cmpswap_x2 v[8:9], v2, v[3:6], s[6:7] offset:24 glc
	s_waitcnt vmcnt(0)
	buffer_wbinvl1_vol
	v_cmp_ne_u64_e32 vcc, v[8:9], v[5:6]
	s_and_saveexec_b64 s[20:21], vcc
	s_cbranch_execz .LBB5_654
; %bb.651:
	s_mov_b64 s[22:23], 0
.LBB5_652:                              ; =>This Inner Loop Header: Depth=1
	s_sleep 1
	global_load_dwordx2 v[3:4], v2, s[6:7] offset:40
	global_load_dwordx2 v[10:11], v2, s[6:7]
	v_mov_b32_e32 v5, v8
	v_mov_b32_e32 v6, v9
	s_waitcnt vmcnt(1)
	v_and_b32_e32 v3, v3, v5
	s_waitcnt vmcnt(0)
	v_mad_u64_u32 v[7:8], s[24:25], v3, 24, v[10:11]
	v_and_b32_e32 v4, v4, v6
	v_mov_b32_e32 v3, v8
	v_mad_u64_u32 v[3:4], s[24:25], v4, 24, v[3:4]
	v_mov_b32_e32 v8, v3
	global_load_dwordx2 v[3:4], v[7:8], off glc
	s_waitcnt vmcnt(0)
	global_atomic_cmpswap_x2 v[8:9], v2, v[3:6], s[6:7] offset:24 glc
	s_waitcnt vmcnt(0)
	buffer_wbinvl1_vol
	v_cmp_eq_u64_e32 vcc, v[8:9], v[5:6]
	s_or_b64 s[22:23], vcc, s[22:23]
	s_andn2_b64 exec, exec, s[22:23]
	s_cbranch_execnz .LBB5_652
; %bb.653:
	s_or_b64 exec, exec, s[22:23]
.LBB5_654:
	s_or_b64 exec, exec, s[20:21]
.LBB5_655:
	s_or_b64 exec, exec, s[18:19]
	v_mov_b32_e32 v2, 0
	global_load_dwordx2 v[10:11], v2, s[6:7] offset:40
	global_load_dwordx4 v[4:7], v2, s[6:7]
	v_readfirstlane_b32 s18, v8
	v_readfirstlane_b32 s19, v9
	s_mov_b64 s[20:21], exec
	s_waitcnt vmcnt(1)
	v_readfirstlane_b32 s22, v10
	v_readfirstlane_b32 s23, v11
	s_and_b64 s[22:23], s[18:19], s[22:23]
	s_mul_i32 s15, s23, 24
	s_mul_hi_u32 s24, s22, 24
	s_mul_i32 s25, s22, 24
	s_add_i32 s15, s24, s15
	v_mov_b32_e32 v3, s15
	s_waitcnt vmcnt(0)
	v_add_co_u32_e32 v8, vcc, s25, v4
	v_addc_co_u32_e32 v9, vcc, v5, v3, vcc
	s_and_saveexec_b64 s[24:25], s[4:5]
	s_cbranch_execz .LBB5_657
; %bb.656:
	v_mov_b32_e32 v10, s20
	v_mov_b32_e32 v11, s21
	;; [unrolled: 1-line block ×4, first 2 shown]
	global_store_dwordx4 v[8:9], v[10:13], off offset:8
.LBB5_657:
	s_or_b64 exec, exec, s[24:25]
	s_lshl_b64 s[20:21], s[22:23], 12
	v_mov_b32_e32 v3, s21
	v_add_co_u32_e32 v6, vcc, s20, v6
	v_addc_co_u32_e32 v7, vcc, v7, v3, vcc
	s_movk_i32 s15, 0xff1d
	v_and_or_b32 v0, v0, s15, 34
	s_mov_b32 s20, 0
	v_mov_b32_e32 v3, v2
	v_readfirstlane_b32 s24, v6
	v_readfirstlane_b32 s25, v7
	s_mov_b32 s21, s20
	s_mov_b32 s22, s20
	;; [unrolled: 1-line block ×3, first 2 shown]
	s_nop 1
	global_store_dwordx4 v31, v[0:3], s[24:25]
	s_nop 0
	v_mov_b32_e32 v0, s20
	v_mov_b32_e32 v1, s21
	v_mov_b32_e32 v2, s22
	v_mov_b32_e32 v3, s23
	global_store_dwordx4 v31, v[0:3], s[24:25] offset:16
	global_store_dwordx4 v31, v[0:3], s[24:25] offset:32
	;; [unrolled: 1-line block ×3, first 2 shown]
	s_and_saveexec_b64 s[20:21], s[4:5]
	s_cbranch_execz .LBB5_665
; %bb.658:
	v_mov_b32_e32 v6, 0
	global_load_dwordx2 v[12:13], v6, s[6:7] offset:32 glc
	global_load_dwordx2 v[0:1], v6, s[6:7] offset:40
	v_mov_b32_e32 v10, s18
	v_mov_b32_e32 v11, s19
	s_waitcnt vmcnt(0)
	v_readfirstlane_b32 s22, v0
	v_readfirstlane_b32 s23, v1
	s_and_b64 s[22:23], s[22:23], s[18:19]
	s_mul_i32 s15, s23, 24
	s_mul_hi_u32 s23, s22, 24
	s_mul_i32 s22, s22, 24
	s_add_i32 s15, s23, s15
	v_mov_b32_e32 v0, s15
	v_add_co_u32_e32 v4, vcc, s22, v4
	v_addc_co_u32_e32 v5, vcc, v5, v0, vcc
	global_store_dwordx2 v[4:5], v[12:13], off
	s_waitcnt vmcnt(0)
	global_atomic_cmpswap_x2 v[2:3], v6, v[10:13], s[6:7] offset:32 glc
	s_waitcnt vmcnt(0)
	v_cmp_ne_u64_e32 vcc, v[2:3], v[12:13]
	s_and_saveexec_b64 s[22:23], vcc
	s_cbranch_execz .LBB5_661
; %bb.659:
	s_mov_b64 s[24:25], 0
.LBB5_660:                              ; =>This Inner Loop Header: Depth=1
	s_sleep 1
	global_store_dwordx2 v[4:5], v[2:3], off
	v_mov_b32_e32 v0, s18
	v_mov_b32_e32 v1, s19
	s_waitcnt vmcnt(0)
	global_atomic_cmpswap_x2 v[0:1], v6, v[0:3], s[6:7] offset:32 glc
	s_waitcnt vmcnt(0)
	v_cmp_eq_u64_e32 vcc, v[0:1], v[2:3]
	v_mov_b32_e32 v3, v1
	s_or_b64 s[24:25], vcc, s[24:25]
	v_mov_b32_e32 v2, v0
	s_andn2_b64 exec, exec, s[24:25]
	s_cbranch_execnz .LBB5_660
.LBB5_661:
	s_or_b64 exec, exec, s[22:23]
	v_mov_b32_e32 v3, 0
	global_load_dwordx2 v[0:1], v3, s[6:7] offset:16
	s_mov_b64 s[22:23], exec
	v_mbcnt_lo_u32_b32 v2, s22, 0
	v_mbcnt_hi_u32_b32 v2, s23, v2
	v_cmp_eq_u32_e32 vcc, 0, v2
	s_and_saveexec_b64 s[24:25], vcc
	s_cbranch_execz .LBB5_663
; %bb.662:
	s_bcnt1_i32_b64 s15, s[22:23]
	v_mov_b32_e32 v2, s15
	s_waitcnt vmcnt(0)
	global_atomic_add_x2 v[0:1], v[2:3], off offset:8
.LBB5_663:
	s_or_b64 exec, exec, s[24:25]
	s_waitcnt vmcnt(0)
	global_load_dwordx2 v[2:3], v[0:1], off offset:16
	s_waitcnt vmcnt(0)
	v_cmp_eq_u64_e32 vcc, 0, v[2:3]
	s_cbranch_vccnz .LBB5_665
; %bb.664:
	global_load_dword v0, v[0:1], off offset:24
	v_mov_b32_e32 v1, 0
	s_waitcnt vmcnt(0)
	global_store_dwordx2 v[2:3], v[0:1], off
	v_and_b32_e32 v0, 0xffffff, v0
	v_readfirstlane_b32 m0, v0
	s_sendmsg sendmsg(MSG_INTERRUPT)
.LBB5_665:
	s_or_b64 exec, exec, s[20:21]
	s_branch .LBB5_669
.LBB5_666:                              ;   in Loop: Header=BB5_669 Depth=1
	s_or_b64 exec, exec, s[20:21]
	v_readfirstlane_b32 s15, v0
	s_cmp_eq_u32 s15, 0
	s_cbranch_scc1 .LBB5_668
; %bb.667:                              ;   in Loop: Header=BB5_669 Depth=1
	s_sleep 1
	s_cbranch_execnz .LBB5_669
	s_branch .LBB5_671
.LBB5_668:
	s_branch .LBB5_671
.LBB5_669:                              ; =>This Inner Loop Header: Depth=1
	v_mov_b32_e32 v0, 1
	s_and_saveexec_b64 s[20:21], s[4:5]
	s_cbranch_execz .LBB5_666
; %bb.670:                              ;   in Loop: Header=BB5_669 Depth=1
	global_load_dword v0, v[8:9], off offset:20 glc
	s_waitcnt vmcnt(0)
	buffer_wbinvl1_vol
	v_and_b32_e32 v0, 1, v0
	s_branch .LBB5_666
.LBB5_671:
	s_and_saveexec_b64 s[20:21], s[4:5]
	s_cbranch_execz .LBB5_674
; %bb.672:
	v_mov_b32_e32 v6, 0
	global_load_dwordx2 v[2:3], v6, s[6:7] offset:40
	global_load_dwordx2 v[7:8], v6, s[6:7] offset:24 glc
	global_load_dwordx2 v[4:5], v6, s[6:7]
	v_mov_b32_e32 v1, s19
	s_mov_b64 s[4:5], 0
	s_waitcnt vmcnt(2)
	v_add_co_u32_e32 v9, vcc, 1, v2
	v_addc_co_u32_e32 v10, vcc, 0, v3, vcc
	v_add_co_u32_e32 v0, vcc, s18, v9
	v_addc_co_u32_e32 v1, vcc, v10, v1, vcc
	v_cmp_eq_u64_e32 vcc, 0, v[0:1]
	v_cndmask_b32_e32 v1, v1, v10, vcc
	v_cndmask_b32_e32 v0, v0, v9, vcc
	v_and_b32_e32 v3, v1, v3
	v_and_b32_e32 v2, v0, v2
	v_mul_lo_u32 v3, v3, 24
	v_mul_hi_u32 v9, v2, 24
	v_mul_lo_u32 v10, v2, 24
	s_waitcnt vmcnt(1)
	v_mov_b32_e32 v2, v7
	v_add_u32_e32 v3, v9, v3
	s_waitcnt vmcnt(0)
	v_add_co_u32_e32 v4, vcc, v4, v10
	v_addc_co_u32_e32 v5, vcc, v5, v3, vcc
	global_store_dwordx2 v[4:5], v[7:8], off
	v_mov_b32_e32 v3, v8
	s_waitcnt vmcnt(0)
	global_atomic_cmpswap_x2 v[2:3], v6, v[0:3], s[6:7] offset:24 glc
	s_waitcnt vmcnt(0)
	v_cmp_ne_u64_e32 vcc, v[2:3], v[7:8]
	s_and_b64 exec, exec, vcc
	s_cbranch_execz .LBB5_674
.LBB5_673:                              ; =>This Inner Loop Header: Depth=1
	s_sleep 1
	global_store_dwordx2 v[4:5], v[2:3], off
	s_waitcnt vmcnt(0)
	global_atomic_cmpswap_x2 v[7:8], v6, v[0:3], s[6:7] offset:24 glc
	s_waitcnt vmcnt(0)
	v_cmp_eq_u64_e32 vcc, v[7:8], v[2:3]
	v_mov_b32_e32 v2, v7
	s_or_b64 s[4:5], vcc, s[4:5]
	v_mov_b32_e32 v3, v8
	s_andn2_b64 exec, exec, s[4:5]
	s_cbranch_execnz .LBB5_673
.LBB5_674:
	s_or_b64 exec, exec, s[20:21]
.LBB5_675:
	v_readfirstlane_b32 s4, v32
	s_waitcnt vmcnt(0)
	v_mov_b32_e32 v5, 0
	v_mov_b32_e32 v6, 0
	v_cmp_eq_u32_e64 s[4:5], s4, v32
	s_and_saveexec_b64 s[18:19], s[4:5]
	s_cbranch_execz .LBB5_681
; %bb.676:
	v_mov_b32_e32 v0, 0
	global_load_dwordx2 v[3:4], v0, s[6:7] offset:24 glc
	s_waitcnt vmcnt(0)
	buffer_wbinvl1_vol
	global_load_dwordx2 v[1:2], v0, s[6:7] offset:40
	global_load_dwordx2 v[5:6], v0, s[6:7]
	s_waitcnt vmcnt(1)
	v_and_b32_e32 v1, v1, v3
	v_and_b32_e32 v2, v2, v4
	v_mul_lo_u32 v2, v2, 24
	v_mul_hi_u32 v7, v1, 24
	v_mul_lo_u32 v1, v1, 24
	v_add_u32_e32 v2, v7, v2
	s_waitcnt vmcnt(0)
	v_add_co_u32_e32 v1, vcc, v5, v1
	v_addc_co_u32_e32 v2, vcc, v6, v2, vcc
	global_load_dwordx2 v[1:2], v[1:2], off glc
	s_waitcnt vmcnt(0)
	global_atomic_cmpswap_x2 v[5:6], v0, v[1:4], s[6:7] offset:24 glc
	s_waitcnt vmcnt(0)
	buffer_wbinvl1_vol
	v_cmp_ne_u64_e32 vcc, v[5:6], v[3:4]
	s_and_saveexec_b64 s[20:21], vcc
	s_cbranch_execz .LBB5_680
; %bb.677:
	s_mov_b64 s[22:23], 0
.LBB5_678:                              ; =>This Inner Loop Header: Depth=1
	s_sleep 1
	global_load_dwordx2 v[1:2], v0, s[6:7] offset:40
	global_load_dwordx2 v[7:8], v0, s[6:7]
	v_mov_b32_e32 v3, v5
	v_mov_b32_e32 v4, v6
	s_waitcnt vmcnt(1)
	v_and_b32_e32 v1, v1, v3
	s_waitcnt vmcnt(0)
	v_mad_u64_u32 v[5:6], s[24:25], v1, 24, v[7:8]
	v_and_b32_e32 v2, v2, v4
	v_mov_b32_e32 v1, v6
	v_mad_u64_u32 v[1:2], s[24:25], v2, 24, v[1:2]
	v_mov_b32_e32 v6, v1
	global_load_dwordx2 v[1:2], v[5:6], off glc
	s_waitcnt vmcnt(0)
	global_atomic_cmpswap_x2 v[5:6], v0, v[1:4], s[6:7] offset:24 glc
	s_waitcnt vmcnt(0)
	buffer_wbinvl1_vol
	v_cmp_eq_u64_e32 vcc, v[5:6], v[3:4]
	s_or_b64 s[22:23], vcc, s[22:23]
	s_andn2_b64 exec, exec, s[22:23]
	s_cbranch_execnz .LBB5_678
; %bb.679:
	s_or_b64 exec, exec, s[22:23]
.LBB5_680:
	s_or_b64 exec, exec, s[20:21]
.LBB5_681:
	s_or_b64 exec, exec, s[18:19]
	v_mov_b32_e32 v4, 0
	global_load_dwordx2 v[7:8], v4, s[6:7] offset:40
	global_load_dwordx4 v[0:3], v4, s[6:7]
	v_readfirstlane_b32 s18, v5
	v_readfirstlane_b32 s19, v6
	s_mov_b64 s[20:21], exec
	s_waitcnt vmcnt(1)
	v_readfirstlane_b32 s22, v7
	v_readfirstlane_b32 s23, v8
	s_and_b64 s[22:23], s[18:19], s[22:23]
	s_mul_i32 s15, s23, 24
	s_mul_hi_u32 s24, s22, 24
	s_mul_i32 s25, s22, 24
	s_add_i32 s15, s24, s15
	v_mov_b32_e32 v5, s15
	s_waitcnt vmcnt(0)
	v_add_co_u32_e32 v7, vcc, s25, v0
	v_addc_co_u32_e32 v8, vcc, v1, v5, vcc
	s_and_saveexec_b64 s[24:25], s[4:5]
	s_cbranch_execz .LBB5_683
; %bb.682:
	v_mov_b32_e32 v9, s20
	v_mov_b32_e32 v10, s21
	;; [unrolled: 1-line block ×4, first 2 shown]
	global_store_dwordx4 v[7:8], v[9:12], off offset:8
.LBB5_683:
	s_or_b64 exec, exec, s[24:25]
	s_lshl_b64 s[20:21], s[22:23], 12
	v_mov_b32_e32 v5, s21
	v_add_co_u32_e32 v2, vcc, s20, v2
	v_addc_co_u32_e32 v11, vcc, v3, v5, vcc
	s_mov_b32 s20, 0
	v_mov_b32_e32 v3, 33
	v_mov_b32_e32 v5, v4
	v_mov_b32_e32 v6, v4
	v_readfirstlane_b32 s24, v2
	v_readfirstlane_b32 s25, v11
	v_add_co_u32_e32 v9, vcc, v2, v31
	s_mov_b32 s21, s20
	s_mov_b32 s22, s20
	;; [unrolled: 1-line block ×3, first 2 shown]
	s_nop 0
	global_store_dwordx4 v31, v[3:6], s[24:25]
	v_mov_b32_e32 v2, s20
	v_addc_co_u32_e32 v10, vcc, 0, v11, vcc
	v_mov_b32_e32 v3, s21
	v_mov_b32_e32 v4, s22
	;; [unrolled: 1-line block ×3, first 2 shown]
	global_store_dwordx4 v31, v[2:5], s[24:25] offset:16
	global_store_dwordx4 v31, v[2:5], s[24:25] offset:32
	global_store_dwordx4 v31, v[2:5], s[24:25] offset:48
	s_and_saveexec_b64 s[20:21], s[4:5]
	s_cbranch_execz .LBB5_691
; %bb.684:
	v_mov_b32_e32 v6, 0
	global_load_dwordx2 v[13:14], v6, s[6:7] offset:32 glc
	global_load_dwordx2 v[2:3], v6, s[6:7] offset:40
	v_mov_b32_e32 v11, s18
	v_mov_b32_e32 v12, s19
	s_waitcnt vmcnt(0)
	v_readfirstlane_b32 s22, v2
	v_readfirstlane_b32 s23, v3
	s_and_b64 s[22:23], s[22:23], s[18:19]
	s_mul_i32 s15, s23, 24
	s_mul_hi_u32 s23, s22, 24
	s_mul_i32 s22, s22, 24
	s_add_i32 s15, s23, s15
	v_mov_b32_e32 v2, s15
	v_add_co_u32_e32 v4, vcc, s22, v0
	v_addc_co_u32_e32 v5, vcc, v1, v2, vcc
	global_store_dwordx2 v[4:5], v[13:14], off
	s_waitcnt vmcnt(0)
	global_atomic_cmpswap_x2 v[2:3], v6, v[11:14], s[6:7] offset:32 glc
	s_waitcnt vmcnt(0)
	v_cmp_ne_u64_e32 vcc, v[2:3], v[13:14]
	s_and_saveexec_b64 s[22:23], vcc
	s_cbranch_execz .LBB5_687
; %bb.685:
	s_mov_b64 s[24:25], 0
.LBB5_686:                              ; =>This Inner Loop Header: Depth=1
	s_sleep 1
	global_store_dwordx2 v[4:5], v[2:3], off
	v_mov_b32_e32 v0, s18
	v_mov_b32_e32 v1, s19
	s_waitcnt vmcnt(0)
	global_atomic_cmpswap_x2 v[0:1], v6, v[0:3], s[6:7] offset:32 glc
	s_waitcnt vmcnt(0)
	v_cmp_eq_u64_e32 vcc, v[0:1], v[2:3]
	v_mov_b32_e32 v3, v1
	s_or_b64 s[24:25], vcc, s[24:25]
	v_mov_b32_e32 v2, v0
	s_andn2_b64 exec, exec, s[24:25]
	s_cbranch_execnz .LBB5_686
.LBB5_687:
	s_or_b64 exec, exec, s[22:23]
	v_mov_b32_e32 v3, 0
	global_load_dwordx2 v[0:1], v3, s[6:7] offset:16
	s_mov_b64 s[22:23], exec
	v_mbcnt_lo_u32_b32 v2, s22, 0
	v_mbcnt_hi_u32_b32 v2, s23, v2
	v_cmp_eq_u32_e32 vcc, 0, v2
	s_and_saveexec_b64 s[24:25], vcc
	s_cbranch_execz .LBB5_689
; %bb.688:
	s_bcnt1_i32_b64 s15, s[22:23]
	v_mov_b32_e32 v2, s15
	s_waitcnt vmcnt(0)
	global_atomic_add_x2 v[0:1], v[2:3], off offset:8
.LBB5_689:
	s_or_b64 exec, exec, s[24:25]
	s_waitcnt vmcnt(0)
	global_load_dwordx2 v[2:3], v[0:1], off offset:16
	s_waitcnt vmcnt(0)
	v_cmp_eq_u64_e32 vcc, 0, v[2:3]
	s_cbranch_vccnz .LBB5_691
; %bb.690:
	global_load_dword v0, v[0:1], off offset:24
	v_mov_b32_e32 v1, 0
	s_waitcnt vmcnt(0)
	global_store_dwordx2 v[2:3], v[0:1], off
	v_and_b32_e32 v0, 0xffffff, v0
	v_readfirstlane_b32 m0, v0
	s_sendmsg sendmsg(MSG_INTERRUPT)
.LBB5_691:
	s_or_b64 exec, exec, s[20:21]
	s_branch .LBB5_695
.LBB5_692:                              ;   in Loop: Header=BB5_695 Depth=1
	s_or_b64 exec, exec, s[20:21]
	v_readfirstlane_b32 s15, v0
	s_cmp_eq_u32 s15, 0
	s_cbranch_scc1 .LBB5_694
; %bb.693:                              ;   in Loop: Header=BB5_695 Depth=1
	s_sleep 1
	s_cbranch_execnz .LBB5_695
	s_branch .LBB5_697
.LBB5_694:
	s_branch .LBB5_697
.LBB5_695:                              ; =>This Inner Loop Header: Depth=1
	v_mov_b32_e32 v0, 1
	s_and_saveexec_b64 s[20:21], s[4:5]
	s_cbranch_execz .LBB5_692
; %bb.696:                              ;   in Loop: Header=BB5_695 Depth=1
	global_load_dword v0, v[7:8], off offset:20 glc
	s_waitcnt vmcnt(0)
	buffer_wbinvl1_vol
	v_and_b32_e32 v0, 1, v0
	s_branch .LBB5_692
.LBB5_697:
	global_load_dwordx2 v[0:1], v[9:10], off
	s_and_saveexec_b64 s[20:21], s[4:5]
	s_cbranch_execz .LBB5_700
; %bb.698:
	v_mov_b32_e32 v8, 0
	global_load_dwordx2 v[4:5], v8, s[6:7] offset:40
	global_load_dwordx2 v[9:10], v8, s[6:7] offset:24 glc
	global_load_dwordx2 v[6:7], v8, s[6:7]
	v_mov_b32_e32 v3, s19
	s_mov_b64 s[4:5], 0
	s_waitcnt vmcnt(2)
	v_add_co_u32_e32 v11, vcc, 1, v4
	v_addc_co_u32_e32 v12, vcc, 0, v5, vcc
	v_add_co_u32_e32 v2, vcc, s18, v11
	v_addc_co_u32_e32 v3, vcc, v12, v3, vcc
	v_cmp_eq_u64_e32 vcc, 0, v[2:3]
	v_cndmask_b32_e32 v3, v3, v12, vcc
	v_cndmask_b32_e32 v2, v2, v11, vcc
	v_and_b32_e32 v5, v3, v5
	v_and_b32_e32 v4, v2, v4
	v_mul_lo_u32 v5, v5, 24
	v_mul_hi_u32 v11, v4, 24
	v_mul_lo_u32 v12, v4, 24
	s_waitcnt vmcnt(1)
	v_mov_b32_e32 v4, v9
	v_add_u32_e32 v5, v11, v5
	s_waitcnt vmcnt(0)
	v_add_co_u32_e32 v6, vcc, v6, v12
	v_addc_co_u32_e32 v7, vcc, v7, v5, vcc
	global_store_dwordx2 v[6:7], v[9:10], off
	v_mov_b32_e32 v5, v10
	s_waitcnt vmcnt(0)
	global_atomic_cmpswap_x2 v[4:5], v8, v[2:5], s[6:7] offset:24 glc
	s_waitcnt vmcnt(0)
	v_cmp_ne_u64_e32 vcc, v[4:5], v[9:10]
	s_and_b64 exec, exec, vcc
	s_cbranch_execz .LBB5_700
.LBB5_699:                              ; =>This Inner Loop Header: Depth=1
	s_sleep 1
	global_store_dwordx2 v[6:7], v[4:5], off
	s_waitcnt vmcnt(0)
	global_atomic_cmpswap_x2 v[9:10], v8, v[2:5], s[6:7] offset:24 glc
	s_waitcnt vmcnt(0)
	v_cmp_eq_u64_e32 vcc, v[9:10], v[4:5]
	v_mov_b32_e32 v4, v9
	s_or_b64 s[4:5], vcc, s[4:5]
	v_mov_b32_e32 v5, v10
	s_andn2_b64 exec, exec, s[4:5]
	s_cbranch_execnz .LBB5_699
.LBB5_700:
	s_or_b64 exec, exec, s[20:21]
	s_and_b64 vcc, exec, s[16:17]
	s_cbranch_vccz .LBB5_785
; %bb.701:
	s_waitcnt vmcnt(0)
	v_and_b32_e32 v33, 2, v0
	v_mov_b32_e32 v28, 0
	v_and_b32_e32 v2, -3, v0
	v_mov_b32_e32 v3, v1
	s_mov_b64 s[20:21], 3
	v_mov_b32_e32 v6, 2
	v_mov_b32_e32 v7, 1
	s_getpc_b64 s[18:19]
	s_add_u32 s18, s18, .str.6@rel32@lo+4
	s_addc_u32 s19, s19, .str.6@rel32@hi+12
	s_branch .LBB5_703
.LBB5_702:                              ;   in Loop: Header=BB5_703 Depth=1
	s_or_b64 exec, exec, s[26:27]
	s_sub_u32 s20, s20, s22
	s_subb_u32 s21, s21, s23
	s_add_u32 s18, s18, s22
	s_addc_u32 s19, s19, s23
	s_cmp_lg_u64 s[20:21], 0
	s_cbranch_scc0 .LBB5_784
.LBB5_703:                              ; =>This Loop Header: Depth=1
                                        ;     Child Loop BB5_706 Depth 2
                                        ;     Child Loop BB5_713 Depth 2
	;; [unrolled: 1-line block ×11, first 2 shown]
	v_cmp_lt_u64_e64 s[4:5], s[20:21], 56
	v_cmp_gt_u64_e64 s[24:25], s[20:21], 7
	s_and_b64 s[4:5], s[4:5], exec
	s_cselect_b32 s23, s21, 0
	s_cselect_b32 s22, s20, 56
	s_and_b64 vcc, exec, s[24:25]
	s_cbranch_vccnz .LBB5_708
; %bb.704:                              ;   in Loop: Header=BB5_703 Depth=1
	v_mov_b32_e32 v10, 0
	s_cmp_eq_u64 s[20:21], 0
	v_mov_b32_e32 v11, 0
	s_mov_b64 s[4:5], 0
	s_cbranch_scc1 .LBB5_707
; %bb.705:                              ;   in Loop: Header=BB5_703 Depth=1
	v_mov_b32_e32 v10, 0
	s_lshl_b64 s[24:25], s[22:23], 3
	s_mov_b64 s[26:27], 0
	v_mov_b32_e32 v11, 0
	s_mov_b64 s[28:29], s[18:19]
.LBB5_706:                              ;   Parent Loop BB5_703 Depth=1
                                        ; =>  This Inner Loop Header: Depth=2
	global_load_ubyte v4, v28, s[28:29]
	s_waitcnt vmcnt(0)
	v_and_b32_e32 v27, 0xffff, v4
	v_lshlrev_b64 v[4:5], s26, v[27:28]
	s_add_u32 s26, s26, 8
	s_addc_u32 s27, s27, 0
	s_add_u32 s28, s28, 1
	s_addc_u32 s29, s29, 0
	v_or_b32_e32 v10, v4, v10
	s_cmp_lg_u32 s24, s26
	v_or_b32_e32 v11, v5, v11
	s_cbranch_scc1 .LBB5_706
.LBB5_707:                              ;   in Loop: Header=BB5_703 Depth=1
	s_mov_b32 s15, 0
	s_andn2_b64 vcc, exec, s[4:5]
	s_mov_b64 s[4:5], s[18:19]
	s_cbranch_vccz .LBB5_709
	s_branch .LBB5_710
.LBB5_708:                              ;   in Loop: Header=BB5_703 Depth=1
                                        ; implicit-def: $vgpr10_vgpr11
                                        ; implicit-def: $sgpr15
	s_mov_b64 s[4:5], s[18:19]
.LBB5_709:                              ;   in Loop: Header=BB5_703 Depth=1
	global_load_dwordx2 v[10:11], v28, s[18:19]
	s_add_i32 s15, s22, -8
	s_add_u32 s4, s18, 8
	s_addc_u32 s5, s19, 0
.LBB5_710:                              ;   in Loop: Header=BB5_703 Depth=1
	s_cmp_gt_u32 s15, 7
	s_cbranch_scc1 .LBB5_714
; %bb.711:                              ;   in Loop: Header=BB5_703 Depth=1
	s_cmp_eq_u32 s15, 0
	s_cbranch_scc1 .LBB5_715
; %bb.712:                              ;   in Loop: Header=BB5_703 Depth=1
	v_mov_b32_e32 v12, 0
	s_mov_b64 s[24:25], 0
	v_mov_b32_e32 v13, 0
	s_mov_b64 s[26:27], 0
.LBB5_713:                              ;   Parent Loop BB5_703 Depth=1
                                        ; =>  This Inner Loop Header: Depth=2
	s_add_u32 s28, s4, s26
	s_addc_u32 s29, s5, s27
	global_load_ubyte v4, v28, s[28:29]
	s_add_u32 s26, s26, 1
	s_addc_u32 s27, s27, 0
	s_waitcnt vmcnt(0)
	v_and_b32_e32 v27, 0xffff, v4
	v_lshlrev_b64 v[4:5], s24, v[27:28]
	s_add_u32 s24, s24, 8
	s_addc_u32 s25, s25, 0
	v_or_b32_e32 v12, v4, v12
	s_cmp_lg_u32 s15, s26
	v_or_b32_e32 v13, v5, v13
	s_cbranch_scc1 .LBB5_713
	s_branch .LBB5_716
.LBB5_714:                              ;   in Loop: Header=BB5_703 Depth=1
                                        ; implicit-def: $vgpr12_vgpr13
                                        ; implicit-def: $sgpr28
	s_branch .LBB5_717
.LBB5_715:                              ;   in Loop: Header=BB5_703 Depth=1
	v_mov_b32_e32 v12, 0
	v_mov_b32_e32 v13, 0
.LBB5_716:                              ;   in Loop: Header=BB5_703 Depth=1
	s_mov_b32 s28, 0
	s_cbranch_execnz .LBB5_718
.LBB5_717:                              ;   in Loop: Header=BB5_703 Depth=1
	global_load_dwordx2 v[12:13], v28, s[4:5]
	s_add_i32 s28, s15, -8
	s_add_u32 s4, s4, 8
	s_addc_u32 s5, s5, 0
.LBB5_718:                              ;   in Loop: Header=BB5_703 Depth=1
	s_cmp_gt_u32 s28, 7
	s_cbranch_scc1 .LBB5_722
; %bb.719:                              ;   in Loop: Header=BB5_703 Depth=1
	s_cmp_eq_u32 s28, 0
	s_cbranch_scc1 .LBB5_723
; %bb.720:                              ;   in Loop: Header=BB5_703 Depth=1
	v_mov_b32_e32 v14, 0
	s_mov_b64 s[24:25], 0
	v_mov_b32_e32 v15, 0
	s_mov_b64 s[26:27], 0
.LBB5_721:                              ;   Parent Loop BB5_703 Depth=1
                                        ; =>  This Inner Loop Header: Depth=2
	s_add_u32 vcc_lo, s4, s26
	s_addc_u32 vcc_hi, s5, s27
	global_load_ubyte v4, v28, vcc
	s_add_u32 s26, s26, 1
	s_addc_u32 s27, s27, 0
	s_waitcnt vmcnt(0)
	v_and_b32_e32 v27, 0xffff, v4
	v_lshlrev_b64 v[4:5], s24, v[27:28]
	s_add_u32 s24, s24, 8
	s_addc_u32 s25, s25, 0
	v_or_b32_e32 v14, v4, v14
	s_cmp_lg_u32 s28, s26
	v_or_b32_e32 v15, v5, v15
	s_cbranch_scc1 .LBB5_721
	s_branch .LBB5_724
.LBB5_722:                              ;   in Loop: Header=BB5_703 Depth=1
                                        ; implicit-def: $sgpr15
	s_branch .LBB5_725
.LBB5_723:                              ;   in Loop: Header=BB5_703 Depth=1
	v_mov_b32_e32 v14, 0
	v_mov_b32_e32 v15, 0
.LBB5_724:                              ;   in Loop: Header=BB5_703 Depth=1
	s_mov_b32 s15, 0
	s_cbranch_execnz .LBB5_726
.LBB5_725:                              ;   in Loop: Header=BB5_703 Depth=1
	global_load_dwordx2 v[14:15], v28, s[4:5]
	s_add_i32 s15, s28, -8
	s_add_u32 s4, s4, 8
	s_addc_u32 s5, s5, 0
.LBB5_726:                              ;   in Loop: Header=BB5_703 Depth=1
	s_cmp_gt_u32 s15, 7
	s_cbranch_scc1 .LBB5_730
; %bb.727:                              ;   in Loop: Header=BB5_703 Depth=1
	s_cmp_eq_u32 s15, 0
	s_cbranch_scc1 .LBB5_731
; %bb.728:                              ;   in Loop: Header=BB5_703 Depth=1
	v_mov_b32_e32 v16, 0
	s_mov_b64 s[24:25], 0
	v_mov_b32_e32 v17, 0
	s_mov_b64 s[26:27], 0
.LBB5_729:                              ;   Parent Loop BB5_703 Depth=1
                                        ; =>  This Inner Loop Header: Depth=2
	s_add_u32 s28, s4, s26
	s_addc_u32 s29, s5, s27
	global_load_ubyte v4, v28, s[28:29]
	s_add_u32 s26, s26, 1
	s_addc_u32 s27, s27, 0
	s_waitcnt vmcnt(0)
	v_and_b32_e32 v27, 0xffff, v4
	v_lshlrev_b64 v[4:5], s24, v[27:28]
	s_add_u32 s24, s24, 8
	s_addc_u32 s25, s25, 0
	v_or_b32_e32 v16, v4, v16
	s_cmp_lg_u32 s15, s26
	v_or_b32_e32 v17, v5, v17
	s_cbranch_scc1 .LBB5_729
	s_branch .LBB5_732
.LBB5_730:                              ;   in Loop: Header=BB5_703 Depth=1
                                        ; implicit-def: $vgpr16_vgpr17
                                        ; implicit-def: $sgpr28
	s_branch .LBB5_733
.LBB5_731:                              ;   in Loop: Header=BB5_703 Depth=1
	v_mov_b32_e32 v16, 0
	v_mov_b32_e32 v17, 0
.LBB5_732:                              ;   in Loop: Header=BB5_703 Depth=1
	s_mov_b32 s28, 0
	s_cbranch_execnz .LBB5_734
.LBB5_733:                              ;   in Loop: Header=BB5_703 Depth=1
	global_load_dwordx2 v[16:17], v28, s[4:5]
	s_add_i32 s28, s15, -8
	s_add_u32 s4, s4, 8
	s_addc_u32 s5, s5, 0
.LBB5_734:                              ;   in Loop: Header=BB5_703 Depth=1
	s_cmp_gt_u32 s28, 7
	s_cbranch_scc1 .LBB5_738
; %bb.735:                              ;   in Loop: Header=BB5_703 Depth=1
	s_cmp_eq_u32 s28, 0
	s_cbranch_scc1 .LBB5_739
; %bb.736:                              ;   in Loop: Header=BB5_703 Depth=1
	v_mov_b32_e32 v18, 0
	s_mov_b64 s[24:25], 0
	v_mov_b32_e32 v19, 0
	s_mov_b64 s[26:27], 0
.LBB5_737:                              ;   Parent Loop BB5_703 Depth=1
                                        ; =>  This Inner Loop Header: Depth=2
	s_add_u32 vcc_lo, s4, s26
	s_addc_u32 vcc_hi, s5, s27
	global_load_ubyte v4, v28, vcc
	s_add_u32 s26, s26, 1
	s_addc_u32 s27, s27, 0
	s_waitcnt vmcnt(0)
	v_and_b32_e32 v27, 0xffff, v4
	v_lshlrev_b64 v[4:5], s24, v[27:28]
	s_add_u32 s24, s24, 8
	s_addc_u32 s25, s25, 0
	v_or_b32_e32 v18, v4, v18
	s_cmp_lg_u32 s28, s26
	v_or_b32_e32 v19, v5, v19
	s_cbranch_scc1 .LBB5_737
	s_branch .LBB5_740
.LBB5_738:                              ;   in Loop: Header=BB5_703 Depth=1
                                        ; implicit-def: $sgpr15
	s_branch .LBB5_741
.LBB5_739:                              ;   in Loop: Header=BB5_703 Depth=1
	v_mov_b32_e32 v18, 0
	v_mov_b32_e32 v19, 0
.LBB5_740:                              ;   in Loop: Header=BB5_703 Depth=1
	s_mov_b32 s15, 0
	s_cbranch_execnz .LBB5_742
.LBB5_741:                              ;   in Loop: Header=BB5_703 Depth=1
	global_load_dwordx2 v[18:19], v28, s[4:5]
	s_add_i32 s15, s28, -8
	s_add_u32 s4, s4, 8
	s_addc_u32 s5, s5, 0
.LBB5_742:                              ;   in Loop: Header=BB5_703 Depth=1
	s_cmp_gt_u32 s15, 7
	s_cbranch_scc1 .LBB5_746
; %bb.743:                              ;   in Loop: Header=BB5_703 Depth=1
	s_cmp_eq_u32 s15, 0
	s_cbranch_scc1 .LBB5_747
; %bb.744:                              ;   in Loop: Header=BB5_703 Depth=1
	v_mov_b32_e32 v20, 0
	s_mov_b64 s[24:25], 0
	v_mov_b32_e32 v21, 0
	s_mov_b64 s[26:27], 0
.LBB5_745:                              ;   Parent Loop BB5_703 Depth=1
                                        ; =>  This Inner Loop Header: Depth=2
	s_add_u32 s28, s4, s26
	s_addc_u32 s29, s5, s27
	global_load_ubyte v4, v28, s[28:29]
	s_add_u32 s26, s26, 1
	s_addc_u32 s27, s27, 0
	s_waitcnt vmcnt(0)
	v_and_b32_e32 v27, 0xffff, v4
	v_lshlrev_b64 v[4:5], s24, v[27:28]
	s_add_u32 s24, s24, 8
	s_addc_u32 s25, s25, 0
	v_or_b32_e32 v20, v4, v20
	s_cmp_lg_u32 s15, s26
	v_or_b32_e32 v21, v5, v21
	s_cbranch_scc1 .LBB5_745
	s_branch .LBB5_748
.LBB5_746:                              ;   in Loop: Header=BB5_703 Depth=1
                                        ; implicit-def: $vgpr20_vgpr21
                                        ; implicit-def: $sgpr28
	s_branch .LBB5_749
.LBB5_747:                              ;   in Loop: Header=BB5_703 Depth=1
	v_mov_b32_e32 v20, 0
	v_mov_b32_e32 v21, 0
.LBB5_748:                              ;   in Loop: Header=BB5_703 Depth=1
	s_mov_b32 s28, 0
	s_cbranch_execnz .LBB5_750
.LBB5_749:                              ;   in Loop: Header=BB5_703 Depth=1
	global_load_dwordx2 v[20:21], v28, s[4:5]
	s_add_i32 s28, s15, -8
	s_add_u32 s4, s4, 8
	s_addc_u32 s5, s5, 0
.LBB5_750:                              ;   in Loop: Header=BB5_703 Depth=1
	s_cmp_gt_u32 s28, 7
	s_cbranch_scc1 .LBB5_754
; %bb.751:                              ;   in Loop: Header=BB5_703 Depth=1
	s_cmp_eq_u32 s28, 0
	s_cbranch_scc1 .LBB5_755
; %bb.752:                              ;   in Loop: Header=BB5_703 Depth=1
	v_mov_b32_e32 v22, 0
	s_mov_b64 s[24:25], 0
	v_mov_b32_e32 v23, 0
	s_mov_b64 s[26:27], s[4:5]
.LBB5_753:                              ;   Parent Loop BB5_703 Depth=1
                                        ; =>  This Inner Loop Header: Depth=2
	global_load_ubyte v4, v28, s[26:27]
	s_add_i32 s28, s28, -1
	s_waitcnt vmcnt(0)
	v_and_b32_e32 v27, 0xffff, v4
	v_lshlrev_b64 v[4:5], s24, v[27:28]
	s_add_u32 s24, s24, 8
	s_addc_u32 s25, s25, 0
	s_add_u32 s26, s26, 1
	s_addc_u32 s27, s27, 0
	v_or_b32_e32 v22, v4, v22
	s_cmp_lg_u32 s28, 0
	v_or_b32_e32 v23, v5, v23
	s_cbranch_scc1 .LBB5_753
	s_branch .LBB5_756
.LBB5_754:                              ;   in Loop: Header=BB5_703 Depth=1
	s_branch .LBB5_757
.LBB5_755:                              ;   in Loop: Header=BB5_703 Depth=1
	v_mov_b32_e32 v22, 0
	v_mov_b32_e32 v23, 0
.LBB5_756:                              ;   in Loop: Header=BB5_703 Depth=1
	s_cbranch_execnz .LBB5_758
.LBB5_757:                              ;   in Loop: Header=BB5_703 Depth=1
	global_load_dwordx2 v[22:23], v28, s[4:5]
.LBB5_758:                              ;   in Loop: Header=BB5_703 Depth=1
	v_readfirstlane_b32 s4, v32
	s_waitcnt vmcnt(0)
	v_mov_b32_e32 v4, 0
	v_mov_b32_e32 v5, 0
	v_cmp_eq_u32_e64 s[4:5], s4, v32
	s_and_saveexec_b64 s[24:25], s[4:5]
	s_cbranch_execz .LBB5_764
; %bb.759:                              ;   in Loop: Header=BB5_703 Depth=1
	global_load_dwordx2 v[26:27], v28, s[6:7] offset:24 glc
	s_waitcnt vmcnt(0)
	buffer_wbinvl1_vol
	global_load_dwordx2 v[4:5], v28, s[6:7] offset:40
	global_load_dwordx2 v[8:9], v28, s[6:7]
	s_waitcnt vmcnt(1)
	v_and_b32_e32 v4, v4, v26
	v_and_b32_e32 v5, v5, v27
	v_mul_lo_u32 v5, v5, 24
	v_mul_hi_u32 v24, v4, 24
	v_mul_lo_u32 v4, v4, 24
	v_add_u32_e32 v5, v24, v5
	s_waitcnt vmcnt(0)
	v_add_co_u32_e32 v4, vcc, v8, v4
	v_addc_co_u32_e32 v5, vcc, v9, v5, vcc
	global_load_dwordx2 v[24:25], v[4:5], off glc
	s_waitcnt vmcnt(0)
	global_atomic_cmpswap_x2 v[4:5], v28, v[24:27], s[6:7] offset:24 glc
	s_waitcnt vmcnt(0)
	buffer_wbinvl1_vol
	v_cmp_ne_u64_e32 vcc, v[4:5], v[26:27]
	s_and_saveexec_b64 s[26:27], vcc
	s_cbranch_execz .LBB5_763
; %bb.760:                              ;   in Loop: Header=BB5_703 Depth=1
	s_mov_b64 s[28:29], 0
.LBB5_761:                              ;   Parent Loop BB5_703 Depth=1
                                        ; =>  This Inner Loop Header: Depth=2
	s_sleep 1
	global_load_dwordx2 v[8:9], v28, s[6:7] offset:40
	global_load_dwordx2 v[24:25], v28, s[6:7]
	v_mov_b32_e32 v27, v5
	v_mov_b32_e32 v26, v4
	s_waitcnt vmcnt(1)
	v_and_b32_e32 v4, v8, v26
	s_waitcnt vmcnt(0)
	v_mad_u64_u32 v[4:5], vcc, v4, 24, v[24:25]
	v_and_b32_e32 v8, v9, v27
	v_mad_u64_u32 v[8:9], vcc, v8, 24, v[5:6]
	v_mov_b32_e32 v5, v8
	global_load_dwordx2 v[24:25], v[4:5], off glc
	s_waitcnt vmcnt(0)
	global_atomic_cmpswap_x2 v[4:5], v28, v[24:27], s[6:7] offset:24 glc
	s_waitcnt vmcnt(0)
	buffer_wbinvl1_vol
	v_cmp_eq_u64_e32 vcc, v[4:5], v[26:27]
	s_or_b64 s[28:29], vcc, s[28:29]
	s_andn2_b64 exec, exec, s[28:29]
	s_cbranch_execnz .LBB5_761
; %bb.762:                              ;   in Loop: Header=BB5_703 Depth=1
	s_or_b64 exec, exec, s[28:29]
.LBB5_763:                              ;   in Loop: Header=BB5_703 Depth=1
	s_or_b64 exec, exec, s[26:27]
.LBB5_764:                              ;   in Loop: Header=BB5_703 Depth=1
	s_or_b64 exec, exec, s[24:25]
	global_load_dwordx2 v[8:9], v28, s[6:7] offset:40
	global_load_dwordx4 v[24:27], v28, s[6:7]
	v_readfirstlane_b32 s24, v4
	v_readfirstlane_b32 s25, v5
	s_mov_b64 s[26:27], exec
	s_waitcnt vmcnt(1)
	v_readfirstlane_b32 s28, v8
	v_readfirstlane_b32 s29, v9
	s_and_b64 s[28:29], s[24:25], s[28:29]
	s_mul_i32 s15, s29, 24
	s_mul_hi_u32 vcc_lo, s28, 24
	s_mul_i32 vcc_hi, s28, 24
	s_add_i32 s15, vcc_lo, s15
	v_mov_b32_e32 v4, s15
	s_waitcnt vmcnt(0)
	v_add_co_u32_e32 v29, vcc, vcc_hi, v24
	v_addc_co_u32_e32 v30, vcc, v25, v4, vcc
	s_and_saveexec_b64 vcc, s[4:5]
	s_cbranch_execz .LBB5_766
; %bb.765:                              ;   in Loop: Header=BB5_703 Depth=1
	v_mov_b32_e32 v4, s26
	v_mov_b32_e32 v5, s27
	global_store_dwordx4 v[29:30], v[4:7], off offset:8
.LBB5_766:                              ;   in Loop: Header=BB5_703 Depth=1
	s_or_b64 exec, exec, vcc
	s_lshl_b64 s[26:27], s[28:29], 12
	v_mov_b32_e32 v4, s27
	v_add_co_u32_e32 v26, vcc, s26, v26
	v_addc_co_u32_e32 v34, vcc, v27, v4, vcc
	v_cmp_gt_u64_e64 vcc, s[20:21], 56
	v_or_b32_e32 v5, v2, v33
	s_lshl_b32 s15, s22, 2
	v_cndmask_b32_e32 v2, v5, v2, vcc
	s_add_i32 s15, s15, 28
	v_or_b32_e32 v4, 0, v3
	s_and_b32 s15, s15, 0x1e0
	v_and_b32_e32 v2, 0xffffff1f, v2
	v_cndmask_b32_e32 v9, v4, v3, vcc
	v_or_b32_e32 v8, s15, v2
	v_readfirstlane_b32 s26, v26
	v_readfirstlane_b32 s27, v34
	s_nop 4
	global_store_dwordx4 v31, v[8:11], s[26:27]
	global_store_dwordx4 v31, v[12:15], s[26:27] offset:16
	global_store_dwordx4 v31, v[16:19], s[26:27] offset:32
	;; [unrolled: 1-line block ×3, first 2 shown]
	s_and_saveexec_b64 s[26:27], s[4:5]
	s_cbranch_execz .LBB5_774
; %bb.767:                              ;   in Loop: Header=BB5_703 Depth=1
	global_load_dwordx2 v[12:13], v28, s[6:7] offset:32 glc
	global_load_dwordx2 v[2:3], v28, s[6:7] offset:40
	v_mov_b32_e32 v10, s24
	v_mov_b32_e32 v11, s25
	s_waitcnt vmcnt(0)
	v_readfirstlane_b32 s28, v2
	v_readfirstlane_b32 s29, v3
	s_and_b64 s[28:29], s[28:29], s[24:25]
	s_mul_i32 s15, s29, 24
	s_mul_hi_u32 s29, s28, 24
	s_mul_i32 s28, s28, 24
	s_add_i32 s15, s29, s15
	v_mov_b32_e32 v2, s15
	v_add_co_u32_e32 v8, vcc, s28, v24
	v_addc_co_u32_e32 v9, vcc, v25, v2, vcc
	global_store_dwordx2 v[8:9], v[12:13], off
	s_waitcnt vmcnt(0)
	global_atomic_cmpswap_x2 v[4:5], v28, v[10:13], s[6:7] offset:32 glc
	s_waitcnt vmcnt(0)
	v_cmp_ne_u64_e32 vcc, v[4:5], v[12:13]
	s_and_saveexec_b64 s[28:29], vcc
	s_cbranch_execz .LBB5_770
; %bb.768:                              ;   in Loop: Header=BB5_703 Depth=1
	s_mov_b64 s[30:31], 0
.LBB5_769:                              ;   Parent Loop BB5_703 Depth=1
                                        ; =>  This Inner Loop Header: Depth=2
	s_sleep 1
	global_store_dwordx2 v[8:9], v[4:5], off
	v_mov_b32_e32 v2, s24
	v_mov_b32_e32 v3, s25
	s_waitcnt vmcnt(0)
	global_atomic_cmpswap_x2 v[2:3], v28, v[2:5], s[6:7] offset:32 glc
	s_waitcnt vmcnt(0)
	v_cmp_eq_u64_e32 vcc, v[2:3], v[4:5]
	v_mov_b32_e32 v5, v3
	s_or_b64 s[30:31], vcc, s[30:31]
	v_mov_b32_e32 v4, v2
	s_andn2_b64 exec, exec, s[30:31]
	s_cbranch_execnz .LBB5_769
.LBB5_770:                              ;   in Loop: Header=BB5_703 Depth=1
	s_or_b64 exec, exec, s[28:29]
	global_load_dwordx2 v[2:3], v28, s[6:7] offset:16
	s_mov_b64 s[30:31], exec
	v_mbcnt_lo_u32_b32 v4, s30, 0
	v_mbcnt_hi_u32_b32 v4, s31, v4
	v_cmp_eq_u32_e32 vcc, 0, v4
	s_and_saveexec_b64 s[28:29], vcc
	s_cbranch_execz .LBB5_772
; %bb.771:                              ;   in Loop: Header=BB5_703 Depth=1
	s_bcnt1_i32_b64 s15, s[30:31]
	v_mov_b32_e32 v27, s15
	s_waitcnt vmcnt(0)
	global_atomic_add_x2 v[2:3], v[27:28], off offset:8
.LBB5_772:                              ;   in Loop: Header=BB5_703 Depth=1
	s_or_b64 exec, exec, s[28:29]
	s_waitcnt vmcnt(0)
	global_load_dwordx2 v[4:5], v[2:3], off offset:16
	s_waitcnt vmcnt(0)
	v_cmp_eq_u64_e32 vcc, 0, v[4:5]
	s_cbranch_vccnz .LBB5_774
; %bb.773:                              ;   in Loop: Header=BB5_703 Depth=1
	global_load_dword v27, v[2:3], off offset:24
	s_waitcnt vmcnt(0)
	v_and_b32_e32 v2, 0xffffff, v27
	v_readfirstlane_b32 m0, v2
	global_store_dwordx2 v[4:5], v[27:28], off
	s_sendmsg sendmsg(MSG_INTERRUPT)
.LBB5_774:                              ;   in Loop: Header=BB5_703 Depth=1
	s_or_b64 exec, exec, s[26:27]
	v_add_co_u32_e32 v2, vcc, v26, v31
	v_addc_co_u32_e32 v3, vcc, 0, v34, vcc
	s_branch .LBB5_778
.LBB5_775:                              ;   in Loop: Header=BB5_778 Depth=2
	s_or_b64 exec, exec, s[26:27]
	v_readfirstlane_b32 s15, v4
	s_cmp_eq_u32 s15, 0
	s_cbranch_scc1 .LBB5_777
; %bb.776:                              ;   in Loop: Header=BB5_778 Depth=2
	s_sleep 1
	s_cbranch_execnz .LBB5_778
	s_branch .LBB5_780
.LBB5_777:                              ;   in Loop: Header=BB5_703 Depth=1
	s_branch .LBB5_780
.LBB5_778:                              ;   Parent Loop BB5_703 Depth=1
                                        ; =>  This Inner Loop Header: Depth=2
	v_mov_b32_e32 v4, 1
	s_and_saveexec_b64 s[26:27], s[4:5]
	s_cbranch_execz .LBB5_775
; %bb.779:                              ;   in Loop: Header=BB5_778 Depth=2
	global_load_dword v4, v[29:30], off offset:20 glc
	s_waitcnt vmcnt(0)
	buffer_wbinvl1_vol
	v_and_b32_e32 v4, 1, v4
	s_branch .LBB5_775
.LBB5_780:                              ;   in Loop: Header=BB5_703 Depth=1
	global_load_dwordx4 v[2:5], v[2:3], off
	s_and_saveexec_b64 s[26:27], s[4:5]
	s_cbranch_execz .LBB5_702
; %bb.781:                              ;   in Loop: Header=BB5_703 Depth=1
	global_load_dwordx2 v[4:5], v28, s[6:7] offset:40
	global_load_dwordx2 v[12:13], v28, s[6:7] offset:24 glc
	global_load_dwordx2 v[14:15], v28, s[6:7]
	v_mov_b32_e32 v9, s25
	s_waitcnt vmcnt(2)
	v_add_co_u32_e32 v10, vcc, 1, v4
	v_addc_co_u32_e32 v11, vcc, 0, v5, vcc
	v_add_co_u32_e32 v8, vcc, s24, v10
	v_addc_co_u32_e32 v9, vcc, v11, v9, vcc
	v_cmp_eq_u64_e32 vcc, 0, v[8:9]
	v_cndmask_b32_e32 v9, v9, v11, vcc
	v_cndmask_b32_e32 v8, v8, v10, vcc
	v_and_b32_e32 v5, v9, v5
	v_and_b32_e32 v4, v8, v4
	v_mul_lo_u32 v5, v5, 24
	v_mul_hi_u32 v11, v4, 24
	v_mul_lo_u32 v4, v4, 24
	s_waitcnt vmcnt(1)
	v_mov_b32_e32 v10, v12
	v_add_u32_e32 v5, v11, v5
	s_waitcnt vmcnt(0)
	v_add_co_u32_e32 v4, vcc, v14, v4
	v_addc_co_u32_e32 v5, vcc, v15, v5, vcc
	global_store_dwordx2 v[4:5], v[12:13], off
	v_mov_b32_e32 v11, v13
	s_waitcnt vmcnt(0)
	global_atomic_cmpswap_x2 v[10:11], v28, v[8:11], s[6:7] offset:24 glc
	s_waitcnt vmcnt(0)
	v_cmp_ne_u64_e32 vcc, v[10:11], v[12:13]
	s_and_b64 exec, exec, vcc
	s_cbranch_execz .LBB5_702
; %bb.782:                              ;   in Loop: Header=BB5_703 Depth=1
	s_mov_b64 s[4:5], 0
.LBB5_783:                              ;   Parent Loop BB5_703 Depth=1
                                        ; =>  This Inner Loop Header: Depth=2
	s_sleep 1
	global_store_dwordx2 v[4:5], v[10:11], off
	s_waitcnt vmcnt(0)
	global_atomic_cmpswap_x2 v[12:13], v28, v[8:11], s[6:7] offset:24 glc
	s_waitcnt vmcnt(0)
	v_cmp_eq_u64_e32 vcc, v[12:13], v[10:11]
	v_mov_b32_e32 v10, v12
	s_or_b64 s[4:5], vcc, s[4:5]
	v_mov_b32_e32 v11, v13
	s_andn2_b64 exec, exec, s[4:5]
	s_cbranch_execnz .LBB5_783
	s_branch .LBB5_702
.LBB5_784:
	s_branch .LBB5_812
.LBB5_785:
                                        ; implicit-def: $vgpr2_vgpr3
	s_cbranch_execz .LBB5_812
; %bb.786:
	v_readfirstlane_b32 s4, v32
	v_mov_b32_e32 v8, 0
	v_mov_b32_e32 v9, 0
	v_cmp_eq_u32_e64 s[4:5], s4, v32
	s_and_saveexec_b64 s[18:19], s[4:5]
	s_cbranch_execz .LBB5_792
; %bb.787:
	s_waitcnt vmcnt(0)
	v_mov_b32_e32 v2, 0
	global_load_dwordx2 v[5:6], v2, s[6:7] offset:24 glc
	s_waitcnt vmcnt(0)
	buffer_wbinvl1_vol
	global_load_dwordx2 v[3:4], v2, s[6:7] offset:40
	global_load_dwordx2 v[7:8], v2, s[6:7]
	s_waitcnt vmcnt(1)
	v_and_b32_e32 v3, v3, v5
	v_and_b32_e32 v4, v4, v6
	v_mul_lo_u32 v4, v4, 24
	v_mul_hi_u32 v9, v3, 24
	v_mul_lo_u32 v3, v3, 24
	v_add_u32_e32 v4, v9, v4
	s_waitcnt vmcnt(0)
	v_add_co_u32_e32 v3, vcc, v7, v3
	v_addc_co_u32_e32 v4, vcc, v8, v4, vcc
	global_load_dwordx2 v[3:4], v[3:4], off glc
	s_waitcnt vmcnt(0)
	global_atomic_cmpswap_x2 v[8:9], v2, v[3:6], s[6:7] offset:24 glc
	s_waitcnt vmcnt(0)
	buffer_wbinvl1_vol
	v_cmp_ne_u64_e32 vcc, v[8:9], v[5:6]
	s_and_saveexec_b64 s[20:21], vcc
	s_cbranch_execz .LBB5_791
; %bb.788:
	s_mov_b64 s[22:23], 0
.LBB5_789:                              ; =>This Inner Loop Header: Depth=1
	s_sleep 1
	global_load_dwordx2 v[3:4], v2, s[6:7] offset:40
	global_load_dwordx2 v[10:11], v2, s[6:7]
	v_mov_b32_e32 v5, v8
	v_mov_b32_e32 v6, v9
	s_waitcnt vmcnt(1)
	v_and_b32_e32 v3, v3, v5
	s_waitcnt vmcnt(0)
	v_mad_u64_u32 v[7:8], s[24:25], v3, 24, v[10:11]
	v_and_b32_e32 v4, v4, v6
	v_mov_b32_e32 v3, v8
	v_mad_u64_u32 v[3:4], s[24:25], v4, 24, v[3:4]
	v_mov_b32_e32 v8, v3
	global_load_dwordx2 v[3:4], v[7:8], off glc
	s_waitcnt vmcnt(0)
	global_atomic_cmpswap_x2 v[8:9], v2, v[3:6], s[6:7] offset:24 glc
	s_waitcnt vmcnt(0)
	buffer_wbinvl1_vol
	v_cmp_eq_u64_e32 vcc, v[8:9], v[5:6]
	s_or_b64 s[22:23], vcc, s[22:23]
	s_andn2_b64 exec, exec, s[22:23]
	s_cbranch_execnz .LBB5_789
; %bb.790:
	s_or_b64 exec, exec, s[22:23]
.LBB5_791:
	s_or_b64 exec, exec, s[20:21]
.LBB5_792:
	s_or_b64 exec, exec, s[18:19]
	s_waitcnt vmcnt(0)
	v_mov_b32_e32 v2, 0
	global_load_dwordx2 v[10:11], v2, s[6:7] offset:40
	global_load_dwordx4 v[4:7], v2, s[6:7]
	v_readfirstlane_b32 s18, v8
	v_readfirstlane_b32 s19, v9
	s_mov_b64 s[20:21], exec
	s_waitcnt vmcnt(1)
	v_readfirstlane_b32 s22, v10
	v_readfirstlane_b32 s23, v11
	s_and_b64 s[22:23], s[18:19], s[22:23]
	s_mul_i32 s15, s23, 24
	s_mul_hi_u32 s24, s22, 24
	s_mul_i32 s25, s22, 24
	s_add_i32 s15, s24, s15
	v_mov_b32_e32 v3, s15
	s_waitcnt vmcnt(0)
	v_add_co_u32_e32 v8, vcc, s25, v4
	v_addc_co_u32_e32 v9, vcc, v5, v3, vcc
	s_and_saveexec_b64 s[24:25], s[4:5]
	s_cbranch_execz .LBB5_794
; %bb.793:
	v_mov_b32_e32 v10, s20
	v_mov_b32_e32 v11, s21
	;; [unrolled: 1-line block ×4, first 2 shown]
	global_store_dwordx4 v[8:9], v[10:13], off offset:8
.LBB5_794:
	s_or_b64 exec, exec, s[24:25]
	s_lshl_b64 s[20:21], s[22:23], 12
	v_mov_b32_e32 v3, s21
	v_add_co_u32_e32 v10, vcc, s20, v6
	v_addc_co_u32_e32 v11, vcc, v7, v3, vcc
	s_movk_i32 s15, 0xff1f
	v_and_or_b32 v0, v0, s15, 32
	s_mov_b32 s20, 0
	v_mov_b32_e32 v3, v2
	v_readfirstlane_b32 s24, v10
	v_readfirstlane_b32 s25, v11
	v_add_co_u32_e32 v6, vcc, v10, v31
	s_mov_b32 s21, s20
	s_mov_b32 s22, s20
	;; [unrolled: 1-line block ×3, first 2 shown]
	s_nop 0
	global_store_dwordx4 v31, v[0:3], s[24:25]
	v_addc_co_u32_e32 v7, vcc, 0, v11, vcc
	v_mov_b32_e32 v0, s20
	v_mov_b32_e32 v1, s21
	;; [unrolled: 1-line block ×4, first 2 shown]
	global_store_dwordx4 v31, v[0:3], s[24:25] offset:16
	global_store_dwordx4 v31, v[0:3], s[24:25] offset:32
	;; [unrolled: 1-line block ×3, first 2 shown]
	s_and_saveexec_b64 s[20:21], s[4:5]
	s_cbranch_execz .LBB5_802
; %bb.795:
	v_mov_b32_e32 v10, 0
	global_load_dwordx2 v[13:14], v10, s[6:7] offset:32 glc
	global_load_dwordx2 v[0:1], v10, s[6:7] offset:40
	v_mov_b32_e32 v11, s18
	v_mov_b32_e32 v12, s19
	s_waitcnt vmcnt(0)
	v_readfirstlane_b32 s22, v0
	v_readfirstlane_b32 s23, v1
	s_and_b64 s[22:23], s[22:23], s[18:19]
	s_mul_i32 s15, s23, 24
	s_mul_hi_u32 s23, s22, 24
	s_mul_i32 s22, s22, 24
	s_add_i32 s15, s23, s15
	v_mov_b32_e32 v0, s15
	v_add_co_u32_e32 v4, vcc, s22, v4
	v_addc_co_u32_e32 v5, vcc, v5, v0, vcc
	global_store_dwordx2 v[4:5], v[13:14], off
	s_waitcnt vmcnt(0)
	global_atomic_cmpswap_x2 v[2:3], v10, v[11:14], s[6:7] offset:32 glc
	s_waitcnt vmcnt(0)
	v_cmp_ne_u64_e32 vcc, v[2:3], v[13:14]
	s_and_saveexec_b64 s[22:23], vcc
	s_cbranch_execz .LBB5_798
; %bb.796:
	s_mov_b64 s[24:25], 0
.LBB5_797:                              ; =>This Inner Loop Header: Depth=1
	s_sleep 1
	global_store_dwordx2 v[4:5], v[2:3], off
	v_mov_b32_e32 v0, s18
	v_mov_b32_e32 v1, s19
	s_waitcnt vmcnt(0)
	global_atomic_cmpswap_x2 v[0:1], v10, v[0:3], s[6:7] offset:32 glc
	s_waitcnt vmcnt(0)
	v_cmp_eq_u64_e32 vcc, v[0:1], v[2:3]
	v_mov_b32_e32 v3, v1
	s_or_b64 s[24:25], vcc, s[24:25]
	v_mov_b32_e32 v2, v0
	s_andn2_b64 exec, exec, s[24:25]
	s_cbranch_execnz .LBB5_797
.LBB5_798:
	s_or_b64 exec, exec, s[22:23]
	v_mov_b32_e32 v3, 0
	global_load_dwordx2 v[0:1], v3, s[6:7] offset:16
	s_mov_b64 s[22:23], exec
	v_mbcnt_lo_u32_b32 v2, s22, 0
	v_mbcnt_hi_u32_b32 v2, s23, v2
	v_cmp_eq_u32_e32 vcc, 0, v2
	s_and_saveexec_b64 s[24:25], vcc
	s_cbranch_execz .LBB5_800
; %bb.799:
	s_bcnt1_i32_b64 s15, s[22:23]
	v_mov_b32_e32 v2, s15
	s_waitcnt vmcnt(0)
	global_atomic_add_x2 v[0:1], v[2:3], off offset:8
.LBB5_800:
	s_or_b64 exec, exec, s[24:25]
	s_waitcnt vmcnt(0)
	global_load_dwordx2 v[2:3], v[0:1], off offset:16
	s_waitcnt vmcnt(0)
	v_cmp_eq_u64_e32 vcc, 0, v[2:3]
	s_cbranch_vccnz .LBB5_802
; %bb.801:
	global_load_dword v0, v[0:1], off offset:24
	v_mov_b32_e32 v1, 0
	s_waitcnt vmcnt(0)
	global_store_dwordx2 v[2:3], v[0:1], off
	v_and_b32_e32 v0, 0xffffff, v0
	v_readfirstlane_b32 m0, v0
	s_sendmsg sendmsg(MSG_INTERRUPT)
.LBB5_802:
	s_or_b64 exec, exec, s[20:21]
	s_branch .LBB5_806
.LBB5_803:                              ;   in Loop: Header=BB5_806 Depth=1
	s_or_b64 exec, exec, s[20:21]
	v_readfirstlane_b32 s15, v0
	s_cmp_eq_u32 s15, 0
	s_cbranch_scc1 .LBB5_805
; %bb.804:                              ;   in Loop: Header=BB5_806 Depth=1
	s_sleep 1
	s_cbranch_execnz .LBB5_806
	s_branch .LBB5_808
.LBB5_805:
	s_branch .LBB5_808
.LBB5_806:                              ; =>This Inner Loop Header: Depth=1
	v_mov_b32_e32 v0, 1
	s_and_saveexec_b64 s[20:21], s[4:5]
	s_cbranch_execz .LBB5_803
; %bb.807:                              ;   in Loop: Header=BB5_806 Depth=1
	global_load_dword v0, v[8:9], off offset:20 glc
	s_waitcnt vmcnt(0)
	buffer_wbinvl1_vol
	v_and_b32_e32 v0, 1, v0
	s_branch .LBB5_803
.LBB5_808:
	global_load_dwordx2 v[2:3], v[6:7], off
	s_and_saveexec_b64 s[20:21], s[4:5]
	s_cbranch_execz .LBB5_811
; %bb.809:
	v_mov_b32_e32 v8, 0
	global_load_dwordx2 v[0:1], v8, s[6:7] offset:40
	global_load_dwordx2 v[9:10], v8, s[6:7] offset:24 glc
	global_load_dwordx2 v[11:12], v8, s[6:7]
	v_mov_b32_e32 v5, s19
	s_mov_b64 s[4:5], 0
	s_waitcnt vmcnt(2)
	v_add_co_u32_e32 v6, vcc, 1, v0
	v_addc_co_u32_e32 v7, vcc, 0, v1, vcc
	v_add_co_u32_e32 v4, vcc, s18, v6
	v_addc_co_u32_e32 v5, vcc, v7, v5, vcc
	v_cmp_eq_u64_e32 vcc, 0, v[4:5]
	v_cndmask_b32_e32 v5, v5, v7, vcc
	v_cndmask_b32_e32 v4, v4, v6, vcc
	v_and_b32_e32 v1, v5, v1
	v_and_b32_e32 v0, v4, v0
	v_mul_lo_u32 v1, v1, 24
	v_mul_hi_u32 v7, v0, 24
	v_mul_lo_u32 v0, v0, 24
	s_waitcnt vmcnt(1)
	v_mov_b32_e32 v6, v9
	v_add_u32_e32 v1, v7, v1
	s_waitcnt vmcnt(0)
	v_add_co_u32_e32 v0, vcc, v11, v0
	v_addc_co_u32_e32 v1, vcc, v12, v1, vcc
	global_store_dwordx2 v[0:1], v[9:10], off
	v_mov_b32_e32 v7, v10
	s_waitcnt vmcnt(0)
	global_atomic_cmpswap_x2 v[6:7], v8, v[4:7], s[6:7] offset:24 glc
	s_waitcnt vmcnt(0)
	v_cmp_ne_u64_e32 vcc, v[6:7], v[9:10]
	s_and_b64 exec, exec, vcc
	s_cbranch_execz .LBB5_811
.LBB5_810:                              ; =>This Inner Loop Header: Depth=1
	s_sleep 1
	global_store_dwordx2 v[0:1], v[6:7], off
	s_waitcnt vmcnt(0)
	global_atomic_cmpswap_x2 v[9:10], v8, v[4:7], s[6:7] offset:24 glc
	s_waitcnt vmcnt(0)
	v_cmp_eq_u64_e32 vcc, v[9:10], v[6:7]
	v_mov_b32_e32 v6, v9
	s_or_b64 s[4:5], vcc, s[4:5]
	v_mov_b32_e32 v7, v10
	s_andn2_b64 exec, exec, s[4:5]
	s_cbranch_execnz .LBB5_810
.LBB5_811:
	s_or_b64 exec, exec, s[20:21]
.LBB5_812:
	v_readfirstlane_b32 s4, v32
	s_waitcnt vmcnt(0)
	v_mov_b32_e32 v0, 0
	v_mov_b32_e32 v1, 0
	v_cmp_eq_u32_e64 s[4:5], s4, v32
	s_and_saveexec_b64 s[18:19], s[4:5]
	s_cbranch_execz .LBB5_818
; %bb.813:
	v_mov_b32_e32 v4, 0
	global_load_dwordx2 v[7:8], v4, s[6:7] offset:24 glc
	s_waitcnt vmcnt(0)
	buffer_wbinvl1_vol
	global_load_dwordx2 v[0:1], v4, s[6:7] offset:40
	global_load_dwordx2 v[5:6], v4, s[6:7]
	s_waitcnt vmcnt(1)
	v_and_b32_e32 v0, v0, v7
	v_and_b32_e32 v1, v1, v8
	v_mul_lo_u32 v1, v1, 24
	v_mul_hi_u32 v9, v0, 24
	v_mul_lo_u32 v0, v0, 24
	v_add_u32_e32 v1, v9, v1
	s_waitcnt vmcnt(0)
	v_add_co_u32_e32 v0, vcc, v5, v0
	v_addc_co_u32_e32 v1, vcc, v6, v1, vcc
	global_load_dwordx2 v[5:6], v[0:1], off glc
	s_waitcnt vmcnt(0)
	global_atomic_cmpswap_x2 v[0:1], v4, v[5:8], s[6:7] offset:24 glc
	s_waitcnt vmcnt(0)
	buffer_wbinvl1_vol
	v_cmp_ne_u64_e32 vcc, v[0:1], v[7:8]
	s_and_saveexec_b64 s[20:21], vcc
	s_cbranch_execz .LBB5_817
; %bb.814:
	s_mov_b64 s[22:23], 0
.LBB5_815:                              ; =>This Inner Loop Header: Depth=1
	s_sleep 1
	global_load_dwordx2 v[5:6], v4, s[6:7] offset:40
	global_load_dwordx2 v[9:10], v4, s[6:7]
	v_mov_b32_e32 v8, v1
	v_mov_b32_e32 v7, v0
	s_waitcnt vmcnt(1)
	v_and_b32_e32 v0, v5, v7
	s_waitcnt vmcnt(0)
	v_mad_u64_u32 v[0:1], s[24:25], v0, 24, v[9:10]
	v_and_b32_e32 v5, v6, v8
	v_mad_u64_u32 v[5:6], s[24:25], v5, 24, v[1:2]
	v_mov_b32_e32 v1, v5
	global_load_dwordx2 v[5:6], v[0:1], off glc
	s_waitcnt vmcnt(0)
	global_atomic_cmpswap_x2 v[0:1], v4, v[5:8], s[6:7] offset:24 glc
	s_waitcnt vmcnt(0)
	buffer_wbinvl1_vol
	v_cmp_eq_u64_e32 vcc, v[0:1], v[7:8]
	s_or_b64 s[22:23], vcc, s[22:23]
	s_andn2_b64 exec, exec, s[22:23]
	s_cbranch_execnz .LBB5_815
; %bb.816:
	s_or_b64 exec, exec, s[22:23]
.LBB5_817:
	s_or_b64 exec, exec, s[20:21]
.LBB5_818:
	s_or_b64 exec, exec, s[18:19]
	v_mov_b32_e32 v5, 0
	global_load_dwordx2 v[10:11], v5, s[6:7] offset:40
	global_load_dwordx4 v[6:9], v5, s[6:7]
	v_readfirstlane_b32 s18, v0
	v_readfirstlane_b32 s19, v1
	s_mov_b64 s[20:21], exec
	s_waitcnt vmcnt(1)
	v_readfirstlane_b32 s22, v10
	v_readfirstlane_b32 s23, v11
	s_and_b64 s[22:23], s[18:19], s[22:23]
	s_mul_i32 s15, s23, 24
	s_mul_hi_u32 s24, s22, 24
	s_mul_i32 s25, s22, 24
	s_add_i32 s15, s24, s15
	v_mov_b32_e32 v0, s15
	s_waitcnt vmcnt(0)
	v_add_co_u32_e32 v10, vcc, s25, v6
	v_addc_co_u32_e32 v11, vcc, v7, v0, vcc
	s_and_saveexec_b64 s[24:25], s[4:5]
	s_cbranch_execz .LBB5_820
; %bb.819:
	v_mov_b32_e32 v12, s20
	v_mov_b32_e32 v13, s21
	;; [unrolled: 1-line block ×4, first 2 shown]
	global_store_dwordx4 v[10:11], v[12:15], off offset:8
.LBB5_820:
	s_or_b64 exec, exec, s[24:25]
	s_lshl_b64 s[20:21], s[22:23], 12
	v_mov_b32_e32 v0, s21
	v_add_co_u32_e32 v1, vcc, s20, v8
	v_addc_co_u32_e32 v0, vcc, v9, v0, vcc
	s_movk_i32 s15, 0xff1d
	v_and_or_b32 v2, v2, s15, 34
	s_mov_b32 s20, 0
	v_mov_b32_e32 v4, 58
	v_readfirstlane_b32 s24, v1
	v_readfirstlane_b32 s25, v0
	s_mov_b32 s21, s20
	s_mov_b32 s22, s20
	;; [unrolled: 1-line block ×3, first 2 shown]
	s_nop 1
	global_store_dwordx4 v31, v[2:5], s[24:25]
	v_mov_b32_e32 v0, s20
	v_mov_b32_e32 v1, s21
	;; [unrolled: 1-line block ×4, first 2 shown]
	global_store_dwordx4 v31, v[0:3], s[24:25] offset:16
	global_store_dwordx4 v31, v[0:3], s[24:25] offset:32
	;; [unrolled: 1-line block ×3, first 2 shown]
	s_and_saveexec_b64 s[20:21], s[4:5]
	s_cbranch_execz .LBB5_828
; %bb.821:
	v_mov_b32_e32 v8, 0
	global_load_dwordx2 v[14:15], v8, s[6:7] offset:32 glc
	global_load_dwordx2 v[0:1], v8, s[6:7] offset:40
	v_mov_b32_e32 v12, s18
	v_mov_b32_e32 v13, s19
	s_waitcnt vmcnt(0)
	v_readfirstlane_b32 s22, v0
	v_readfirstlane_b32 s23, v1
	s_and_b64 s[22:23], s[22:23], s[18:19]
	s_mul_i32 s15, s23, 24
	s_mul_hi_u32 s23, s22, 24
	s_mul_i32 s22, s22, 24
	s_add_i32 s15, s23, s15
	v_mov_b32_e32 v0, s15
	v_add_co_u32_e32 v4, vcc, s22, v6
	v_addc_co_u32_e32 v5, vcc, v7, v0, vcc
	global_store_dwordx2 v[4:5], v[14:15], off
	s_waitcnt vmcnt(0)
	global_atomic_cmpswap_x2 v[2:3], v8, v[12:15], s[6:7] offset:32 glc
	s_waitcnt vmcnt(0)
	v_cmp_ne_u64_e32 vcc, v[2:3], v[14:15]
	s_and_saveexec_b64 s[22:23], vcc
	s_cbranch_execz .LBB5_824
; %bb.822:
	s_mov_b64 s[24:25], 0
.LBB5_823:                              ; =>This Inner Loop Header: Depth=1
	s_sleep 1
	global_store_dwordx2 v[4:5], v[2:3], off
	v_mov_b32_e32 v0, s18
	v_mov_b32_e32 v1, s19
	s_waitcnt vmcnt(0)
	global_atomic_cmpswap_x2 v[0:1], v8, v[0:3], s[6:7] offset:32 glc
	s_waitcnt vmcnt(0)
	v_cmp_eq_u64_e32 vcc, v[0:1], v[2:3]
	v_mov_b32_e32 v3, v1
	s_or_b64 s[24:25], vcc, s[24:25]
	v_mov_b32_e32 v2, v0
	s_andn2_b64 exec, exec, s[24:25]
	s_cbranch_execnz .LBB5_823
.LBB5_824:
	s_or_b64 exec, exec, s[22:23]
	v_mov_b32_e32 v3, 0
	global_load_dwordx2 v[0:1], v3, s[6:7] offset:16
	s_mov_b64 s[22:23], exec
	v_mbcnt_lo_u32_b32 v2, s22, 0
	v_mbcnt_hi_u32_b32 v2, s23, v2
	v_cmp_eq_u32_e32 vcc, 0, v2
	s_and_saveexec_b64 s[24:25], vcc
	s_cbranch_execz .LBB5_826
; %bb.825:
	s_bcnt1_i32_b64 s15, s[22:23]
	v_mov_b32_e32 v2, s15
	s_waitcnt vmcnt(0)
	global_atomic_add_x2 v[0:1], v[2:3], off offset:8
.LBB5_826:
	s_or_b64 exec, exec, s[24:25]
	s_waitcnt vmcnt(0)
	global_load_dwordx2 v[2:3], v[0:1], off offset:16
	s_waitcnt vmcnt(0)
	v_cmp_eq_u64_e32 vcc, 0, v[2:3]
	s_cbranch_vccnz .LBB5_828
; %bb.827:
	global_load_dword v0, v[0:1], off offset:24
	v_mov_b32_e32 v1, 0
	s_waitcnt vmcnt(0)
	global_store_dwordx2 v[2:3], v[0:1], off
	v_and_b32_e32 v0, 0xffffff, v0
	v_readfirstlane_b32 m0, v0
	s_sendmsg sendmsg(MSG_INTERRUPT)
.LBB5_828:
	s_or_b64 exec, exec, s[20:21]
	s_branch .LBB5_832
.LBB5_829:                              ;   in Loop: Header=BB5_832 Depth=1
	s_or_b64 exec, exec, s[20:21]
	v_readfirstlane_b32 s15, v0
	s_cmp_eq_u32 s15, 0
	s_cbranch_scc1 .LBB5_831
; %bb.830:                              ;   in Loop: Header=BB5_832 Depth=1
	s_sleep 1
	s_cbranch_execnz .LBB5_832
	s_branch .LBB5_834
.LBB5_831:
	s_branch .LBB5_834
.LBB5_832:                              ; =>This Inner Loop Header: Depth=1
	v_mov_b32_e32 v0, 1
	s_and_saveexec_b64 s[20:21], s[4:5]
	s_cbranch_execz .LBB5_829
; %bb.833:                              ;   in Loop: Header=BB5_832 Depth=1
	global_load_dword v0, v[10:11], off offset:20 glc
	s_waitcnt vmcnt(0)
	buffer_wbinvl1_vol
	v_and_b32_e32 v0, 1, v0
	s_branch .LBB5_829
.LBB5_834:
	s_and_saveexec_b64 s[20:21], s[4:5]
	s_cbranch_execz .LBB5_837
; %bb.835:
	v_mov_b32_e32 v6, 0
	global_load_dwordx2 v[2:3], v6, s[6:7] offset:40
	global_load_dwordx2 v[7:8], v6, s[6:7] offset:24 glc
	global_load_dwordx2 v[4:5], v6, s[6:7]
	v_mov_b32_e32 v1, s19
	s_mov_b64 s[4:5], 0
	s_waitcnt vmcnt(2)
	v_add_co_u32_e32 v9, vcc, 1, v2
	v_addc_co_u32_e32 v10, vcc, 0, v3, vcc
	v_add_co_u32_e32 v0, vcc, s18, v9
	v_addc_co_u32_e32 v1, vcc, v10, v1, vcc
	v_cmp_eq_u64_e32 vcc, 0, v[0:1]
	v_cndmask_b32_e32 v1, v1, v10, vcc
	v_cndmask_b32_e32 v0, v0, v9, vcc
	v_and_b32_e32 v3, v1, v3
	v_and_b32_e32 v2, v0, v2
	v_mul_lo_u32 v3, v3, 24
	v_mul_hi_u32 v9, v2, 24
	v_mul_lo_u32 v10, v2, 24
	s_waitcnt vmcnt(1)
	v_mov_b32_e32 v2, v7
	v_add_u32_e32 v3, v9, v3
	s_waitcnt vmcnt(0)
	v_add_co_u32_e32 v4, vcc, v4, v10
	v_addc_co_u32_e32 v5, vcc, v5, v3, vcc
	global_store_dwordx2 v[4:5], v[7:8], off
	v_mov_b32_e32 v3, v8
	s_waitcnt vmcnt(0)
	global_atomic_cmpswap_x2 v[2:3], v6, v[0:3], s[6:7] offset:24 glc
	s_waitcnt vmcnt(0)
	v_cmp_ne_u64_e32 vcc, v[2:3], v[7:8]
	s_and_b64 exec, exec, vcc
	s_cbranch_execz .LBB5_837
.LBB5_836:                              ; =>This Inner Loop Header: Depth=1
	s_sleep 1
	global_store_dwordx2 v[4:5], v[2:3], off
	s_waitcnt vmcnt(0)
	global_atomic_cmpswap_x2 v[7:8], v6, v[0:3], s[6:7] offset:24 glc
	s_waitcnt vmcnt(0)
	v_cmp_eq_u64_e32 vcc, v[7:8], v[2:3]
	v_mov_b32_e32 v2, v7
	s_or_b64 s[4:5], vcc, s[4:5]
	v_mov_b32_e32 v3, v8
	s_andn2_b64 exec, exec, s[4:5]
	s_cbranch_execnz .LBB5_836
.LBB5_837:
	s_or_b64 exec, exec, s[20:21]
	v_readfirstlane_b32 s4, v32
	v_mov_b32_e32 v5, 0
	v_mov_b32_e32 v6, 0
	v_cmp_eq_u32_e64 s[4:5], s4, v32
	s_and_saveexec_b64 s[18:19], s[4:5]
	s_cbranch_execz .LBB5_843
; %bb.838:
	v_mov_b32_e32 v0, 0
	global_load_dwordx2 v[3:4], v0, s[6:7] offset:24 glc
	s_waitcnt vmcnt(0)
	buffer_wbinvl1_vol
	global_load_dwordx2 v[1:2], v0, s[6:7] offset:40
	global_load_dwordx2 v[5:6], v0, s[6:7]
	s_waitcnt vmcnt(1)
	v_and_b32_e32 v1, v1, v3
	v_and_b32_e32 v2, v2, v4
	v_mul_lo_u32 v2, v2, 24
	v_mul_hi_u32 v7, v1, 24
	v_mul_lo_u32 v1, v1, 24
	v_add_u32_e32 v2, v7, v2
	s_waitcnt vmcnt(0)
	v_add_co_u32_e32 v1, vcc, v5, v1
	v_addc_co_u32_e32 v2, vcc, v6, v2, vcc
	global_load_dwordx2 v[1:2], v[1:2], off glc
	s_waitcnt vmcnt(0)
	global_atomic_cmpswap_x2 v[5:6], v0, v[1:4], s[6:7] offset:24 glc
	s_waitcnt vmcnt(0)
	buffer_wbinvl1_vol
	v_cmp_ne_u64_e32 vcc, v[5:6], v[3:4]
	s_and_saveexec_b64 s[20:21], vcc
	s_cbranch_execz .LBB5_842
; %bb.839:
	s_mov_b64 s[22:23], 0
.LBB5_840:                              ; =>This Inner Loop Header: Depth=1
	s_sleep 1
	global_load_dwordx2 v[1:2], v0, s[6:7] offset:40
	global_load_dwordx2 v[7:8], v0, s[6:7]
	v_mov_b32_e32 v3, v5
	v_mov_b32_e32 v4, v6
	s_waitcnt vmcnt(1)
	v_and_b32_e32 v1, v1, v3
	s_waitcnt vmcnt(0)
	v_mad_u64_u32 v[5:6], s[24:25], v1, 24, v[7:8]
	v_and_b32_e32 v2, v2, v4
	v_mov_b32_e32 v1, v6
	v_mad_u64_u32 v[1:2], s[24:25], v2, 24, v[1:2]
	v_mov_b32_e32 v6, v1
	global_load_dwordx2 v[1:2], v[5:6], off glc
	s_waitcnt vmcnt(0)
	global_atomic_cmpswap_x2 v[5:6], v0, v[1:4], s[6:7] offset:24 glc
	s_waitcnt vmcnt(0)
	buffer_wbinvl1_vol
	v_cmp_eq_u64_e32 vcc, v[5:6], v[3:4]
	s_or_b64 s[22:23], vcc, s[22:23]
	s_andn2_b64 exec, exec, s[22:23]
	s_cbranch_execnz .LBB5_840
; %bb.841:
	s_or_b64 exec, exec, s[22:23]
.LBB5_842:
	s_or_b64 exec, exec, s[20:21]
.LBB5_843:
	s_or_b64 exec, exec, s[18:19]
	v_mov_b32_e32 v4, 0
	global_load_dwordx2 v[7:8], v4, s[6:7] offset:40
	global_load_dwordx4 v[0:3], v4, s[6:7]
	v_readfirstlane_b32 s18, v5
	v_readfirstlane_b32 s19, v6
	s_mov_b64 s[20:21], exec
	s_waitcnt vmcnt(1)
	v_readfirstlane_b32 s22, v7
	v_readfirstlane_b32 s23, v8
	s_and_b64 s[22:23], s[18:19], s[22:23]
	s_mul_i32 s15, s23, 24
	s_mul_hi_u32 s24, s22, 24
	s_mul_i32 s25, s22, 24
	s_add_i32 s15, s24, s15
	v_mov_b32_e32 v5, s15
	s_waitcnt vmcnt(0)
	v_add_co_u32_e32 v7, vcc, s25, v0
	v_addc_co_u32_e32 v8, vcc, v1, v5, vcc
	s_and_saveexec_b64 s[24:25], s[4:5]
	s_cbranch_execz .LBB5_845
; %bb.844:
	v_mov_b32_e32 v9, s20
	v_mov_b32_e32 v10, s21
	;; [unrolled: 1-line block ×4, first 2 shown]
	global_store_dwordx4 v[7:8], v[9:12], off offset:8
.LBB5_845:
	s_or_b64 exec, exec, s[24:25]
	s_lshl_b64 s[20:21], s[22:23], 12
	v_mov_b32_e32 v5, s21
	v_add_co_u32_e32 v2, vcc, s20, v2
	v_addc_co_u32_e32 v11, vcc, v3, v5, vcc
	s_mov_b32 s20, 0
	v_mov_b32_e32 v3, 33
	v_mov_b32_e32 v5, v4
	;; [unrolled: 1-line block ×3, first 2 shown]
	v_readfirstlane_b32 s24, v2
	v_readfirstlane_b32 s25, v11
	v_add_co_u32_e32 v9, vcc, v2, v31
	s_mov_b32 s21, s20
	s_mov_b32 s22, s20
	;; [unrolled: 1-line block ×3, first 2 shown]
	s_nop 0
	global_store_dwordx4 v31, v[3:6], s[24:25]
	v_mov_b32_e32 v2, s20
	v_addc_co_u32_e32 v10, vcc, 0, v11, vcc
	v_mov_b32_e32 v3, s21
	v_mov_b32_e32 v4, s22
	;; [unrolled: 1-line block ×3, first 2 shown]
	global_store_dwordx4 v31, v[2:5], s[24:25] offset:16
	global_store_dwordx4 v31, v[2:5], s[24:25] offset:32
	;; [unrolled: 1-line block ×3, first 2 shown]
	s_and_saveexec_b64 s[20:21], s[4:5]
	s_cbranch_execz .LBB5_853
; %bb.846:
	v_mov_b32_e32 v6, 0
	global_load_dwordx2 v[13:14], v6, s[6:7] offset:32 glc
	global_load_dwordx2 v[2:3], v6, s[6:7] offset:40
	v_mov_b32_e32 v11, s18
	v_mov_b32_e32 v12, s19
	s_waitcnt vmcnt(0)
	v_readfirstlane_b32 s22, v2
	v_readfirstlane_b32 s23, v3
	s_and_b64 s[22:23], s[22:23], s[18:19]
	s_mul_i32 s15, s23, 24
	s_mul_hi_u32 s23, s22, 24
	s_mul_i32 s22, s22, 24
	s_add_i32 s15, s23, s15
	v_mov_b32_e32 v2, s15
	v_add_co_u32_e32 v4, vcc, s22, v0
	v_addc_co_u32_e32 v5, vcc, v1, v2, vcc
	global_store_dwordx2 v[4:5], v[13:14], off
	s_waitcnt vmcnt(0)
	global_atomic_cmpswap_x2 v[2:3], v6, v[11:14], s[6:7] offset:32 glc
	s_waitcnt vmcnt(0)
	v_cmp_ne_u64_e32 vcc, v[2:3], v[13:14]
	s_and_saveexec_b64 s[22:23], vcc
	s_cbranch_execz .LBB5_849
; %bb.847:
	s_mov_b64 s[24:25], 0
.LBB5_848:                              ; =>This Inner Loop Header: Depth=1
	s_sleep 1
	global_store_dwordx2 v[4:5], v[2:3], off
	v_mov_b32_e32 v0, s18
	v_mov_b32_e32 v1, s19
	s_waitcnt vmcnt(0)
	global_atomic_cmpswap_x2 v[0:1], v6, v[0:3], s[6:7] offset:32 glc
	s_waitcnt vmcnt(0)
	v_cmp_eq_u64_e32 vcc, v[0:1], v[2:3]
	v_mov_b32_e32 v3, v1
	s_or_b64 s[24:25], vcc, s[24:25]
	v_mov_b32_e32 v2, v0
	s_andn2_b64 exec, exec, s[24:25]
	s_cbranch_execnz .LBB5_848
.LBB5_849:
	s_or_b64 exec, exec, s[22:23]
	v_mov_b32_e32 v3, 0
	global_load_dwordx2 v[0:1], v3, s[6:7] offset:16
	s_mov_b64 s[22:23], exec
	v_mbcnt_lo_u32_b32 v2, s22, 0
	v_mbcnt_hi_u32_b32 v2, s23, v2
	v_cmp_eq_u32_e32 vcc, 0, v2
	s_and_saveexec_b64 s[24:25], vcc
	s_cbranch_execz .LBB5_851
; %bb.850:
	s_bcnt1_i32_b64 s15, s[22:23]
	v_mov_b32_e32 v2, s15
	s_waitcnt vmcnt(0)
	global_atomic_add_x2 v[0:1], v[2:3], off offset:8
.LBB5_851:
	s_or_b64 exec, exec, s[24:25]
	s_waitcnt vmcnt(0)
	global_load_dwordx2 v[2:3], v[0:1], off offset:16
	s_waitcnt vmcnt(0)
	v_cmp_eq_u64_e32 vcc, 0, v[2:3]
	s_cbranch_vccnz .LBB5_853
; %bb.852:
	global_load_dword v0, v[0:1], off offset:24
	v_mov_b32_e32 v1, 0
	s_waitcnt vmcnt(0)
	global_store_dwordx2 v[2:3], v[0:1], off
	v_and_b32_e32 v0, 0xffffff, v0
	v_readfirstlane_b32 m0, v0
	s_sendmsg sendmsg(MSG_INTERRUPT)
.LBB5_853:
	s_or_b64 exec, exec, s[20:21]
	s_branch .LBB5_857
.LBB5_854:                              ;   in Loop: Header=BB5_857 Depth=1
	s_or_b64 exec, exec, s[20:21]
	v_readfirstlane_b32 s15, v0
	s_cmp_eq_u32 s15, 0
	s_cbranch_scc1 .LBB5_856
; %bb.855:                              ;   in Loop: Header=BB5_857 Depth=1
	s_sleep 1
	s_cbranch_execnz .LBB5_857
	s_branch .LBB5_859
.LBB5_856:
	s_branch .LBB5_859
.LBB5_857:                              ; =>This Inner Loop Header: Depth=1
	v_mov_b32_e32 v0, 1
	s_and_saveexec_b64 s[20:21], s[4:5]
	s_cbranch_execz .LBB5_854
; %bb.858:                              ;   in Loop: Header=BB5_857 Depth=1
	global_load_dword v0, v[7:8], off offset:20 glc
	s_waitcnt vmcnt(0)
	buffer_wbinvl1_vol
	v_and_b32_e32 v0, 1, v0
	s_branch .LBB5_854
.LBB5_859:
	global_load_dwordx2 v[0:1], v[9:10], off
	s_and_saveexec_b64 s[20:21], s[4:5]
	s_cbranch_execz .LBB5_862
; %bb.860:
	v_mov_b32_e32 v8, 0
	global_load_dwordx2 v[4:5], v8, s[6:7] offset:40
	global_load_dwordx2 v[9:10], v8, s[6:7] offset:24 glc
	global_load_dwordx2 v[6:7], v8, s[6:7]
	v_mov_b32_e32 v3, s19
	s_mov_b64 s[4:5], 0
	s_waitcnt vmcnt(2)
	v_add_co_u32_e32 v11, vcc, 1, v4
	v_addc_co_u32_e32 v12, vcc, 0, v5, vcc
	v_add_co_u32_e32 v2, vcc, s18, v11
	v_addc_co_u32_e32 v3, vcc, v12, v3, vcc
	v_cmp_eq_u64_e32 vcc, 0, v[2:3]
	v_cndmask_b32_e32 v3, v3, v12, vcc
	v_cndmask_b32_e32 v2, v2, v11, vcc
	v_and_b32_e32 v5, v3, v5
	v_and_b32_e32 v4, v2, v4
	v_mul_lo_u32 v5, v5, 24
	v_mul_hi_u32 v11, v4, 24
	v_mul_lo_u32 v12, v4, 24
	s_waitcnt vmcnt(1)
	v_mov_b32_e32 v4, v9
	v_add_u32_e32 v5, v11, v5
	s_waitcnt vmcnt(0)
	v_add_co_u32_e32 v6, vcc, v6, v12
	v_addc_co_u32_e32 v7, vcc, v7, v5, vcc
	global_store_dwordx2 v[6:7], v[9:10], off
	v_mov_b32_e32 v5, v10
	s_waitcnt vmcnt(0)
	global_atomic_cmpswap_x2 v[4:5], v8, v[2:5], s[6:7] offset:24 glc
	s_waitcnt vmcnt(0)
	v_cmp_ne_u64_e32 vcc, v[4:5], v[9:10]
	s_and_b64 exec, exec, vcc
	s_cbranch_execz .LBB5_862
.LBB5_861:                              ; =>This Inner Loop Header: Depth=1
	s_sleep 1
	global_store_dwordx2 v[6:7], v[4:5], off
	s_waitcnt vmcnt(0)
	global_atomic_cmpswap_x2 v[9:10], v8, v[2:5], s[6:7] offset:24 glc
	s_waitcnt vmcnt(0)
	v_cmp_eq_u64_e32 vcc, v[9:10], v[4:5]
	v_mov_b32_e32 v4, v9
	s_or_b64 s[4:5], vcc, s[4:5]
	v_mov_b32_e32 v5, v10
	s_andn2_b64 exec, exec, s[4:5]
	s_cbranch_execnz .LBB5_861
.LBB5_862:
	s_or_b64 exec, exec, s[20:21]
	s_getpc_b64 s[18:19]
	s_add_u32 s18, s18, .str.7@rel32@lo+4
	s_addc_u32 s19, s19, .str.7@rel32@hi+12
	s_cmp_lg_u64 s[18:19], 0
	s_cbranch_scc0 .LBB5_947
; %bb.863:
	s_waitcnt vmcnt(0)
	v_and_b32_e32 v33, 2, v0
	v_mov_b32_e32 v28, 0
	v_and_b32_e32 v2, -3, v0
	v_mov_b32_e32 v3, v1
	s_mov_b64 s[20:21], 4
	v_mov_b32_e32 v6, 2
	v_mov_b32_e32 v7, 1
	s_branch .LBB5_865
.LBB5_864:                              ;   in Loop: Header=BB5_865 Depth=1
	s_or_b64 exec, exec, s[26:27]
	s_sub_u32 s20, s20, s22
	s_subb_u32 s21, s21, s23
	s_add_u32 s18, s18, s22
	s_addc_u32 s19, s19, s23
	s_cmp_lg_u64 s[20:21], 0
	s_cbranch_scc0 .LBB5_946
.LBB5_865:                              ; =>This Loop Header: Depth=1
                                        ;     Child Loop BB5_868 Depth 2
                                        ;     Child Loop BB5_875 Depth 2
	;; [unrolled: 1-line block ×11, first 2 shown]
	v_cmp_lt_u64_e64 s[4:5], s[20:21], 56
	v_cmp_gt_u64_e64 s[24:25], s[20:21], 7
	s_and_b64 s[4:5], s[4:5], exec
	s_cselect_b32 s23, s21, 0
	s_cselect_b32 s22, s20, 56
	s_and_b64 vcc, exec, s[24:25]
	s_cbranch_vccnz .LBB5_870
; %bb.866:                              ;   in Loop: Header=BB5_865 Depth=1
	v_mov_b32_e32 v10, 0
	s_cmp_eq_u64 s[20:21], 0
	v_mov_b32_e32 v11, 0
	s_mov_b64 s[4:5], 0
	s_cbranch_scc1 .LBB5_869
; %bb.867:                              ;   in Loop: Header=BB5_865 Depth=1
	v_mov_b32_e32 v10, 0
	s_lshl_b64 s[24:25], s[22:23], 3
	s_mov_b64 s[26:27], 0
	v_mov_b32_e32 v11, 0
	s_mov_b64 s[28:29], s[18:19]
.LBB5_868:                              ;   Parent Loop BB5_865 Depth=1
                                        ; =>  This Inner Loop Header: Depth=2
	global_load_ubyte v4, v28, s[28:29]
	s_waitcnt vmcnt(0)
	v_and_b32_e32 v27, 0xffff, v4
	v_lshlrev_b64 v[4:5], s26, v[27:28]
	s_add_u32 s26, s26, 8
	s_addc_u32 s27, s27, 0
	s_add_u32 s28, s28, 1
	s_addc_u32 s29, s29, 0
	v_or_b32_e32 v10, v4, v10
	s_cmp_lg_u32 s24, s26
	v_or_b32_e32 v11, v5, v11
	s_cbranch_scc1 .LBB5_868
.LBB5_869:                              ;   in Loop: Header=BB5_865 Depth=1
	s_mov_b32 s15, 0
	s_andn2_b64 vcc, exec, s[4:5]
	s_mov_b64 s[4:5], s[18:19]
	s_cbranch_vccz .LBB5_871
	s_branch .LBB5_872
.LBB5_870:                              ;   in Loop: Header=BB5_865 Depth=1
                                        ; implicit-def: $vgpr10_vgpr11
                                        ; implicit-def: $sgpr15
	s_mov_b64 s[4:5], s[18:19]
.LBB5_871:                              ;   in Loop: Header=BB5_865 Depth=1
	global_load_dwordx2 v[10:11], v28, s[18:19]
	s_add_i32 s15, s22, -8
	s_add_u32 s4, s18, 8
	s_addc_u32 s5, s19, 0
.LBB5_872:                              ;   in Loop: Header=BB5_865 Depth=1
	s_cmp_gt_u32 s15, 7
	s_cbranch_scc1 .LBB5_876
; %bb.873:                              ;   in Loop: Header=BB5_865 Depth=1
	s_cmp_eq_u32 s15, 0
	s_cbranch_scc1 .LBB5_877
; %bb.874:                              ;   in Loop: Header=BB5_865 Depth=1
	v_mov_b32_e32 v12, 0
	s_mov_b64 s[24:25], 0
	v_mov_b32_e32 v13, 0
	s_mov_b64 s[26:27], 0
.LBB5_875:                              ;   Parent Loop BB5_865 Depth=1
                                        ; =>  This Inner Loop Header: Depth=2
	s_add_u32 s28, s4, s26
	s_addc_u32 s29, s5, s27
	global_load_ubyte v4, v28, s[28:29]
	s_add_u32 s26, s26, 1
	s_addc_u32 s27, s27, 0
	s_waitcnt vmcnt(0)
	v_and_b32_e32 v27, 0xffff, v4
	v_lshlrev_b64 v[4:5], s24, v[27:28]
	s_add_u32 s24, s24, 8
	s_addc_u32 s25, s25, 0
	v_or_b32_e32 v12, v4, v12
	s_cmp_lg_u32 s15, s26
	v_or_b32_e32 v13, v5, v13
	s_cbranch_scc1 .LBB5_875
	s_branch .LBB5_878
.LBB5_876:                              ;   in Loop: Header=BB5_865 Depth=1
                                        ; implicit-def: $vgpr12_vgpr13
                                        ; implicit-def: $sgpr28
	s_branch .LBB5_879
.LBB5_877:                              ;   in Loop: Header=BB5_865 Depth=1
	v_mov_b32_e32 v12, 0
	v_mov_b32_e32 v13, 0
.LBB5_878:                              ;   in Loop: Header=BB5_865 Depth=1
	s_mov_b32 s28, 0
	s_cbranch_execnz .LBB5_880
.LBB5_879:                              ;   in Loop: Header=BB5_865 Depth=1
	global_load_dwordx2 v[12:13], v28, s[4:5]
	s_add_i32 s28, s15, -8
	s_add_u32 s4, s4, 8
	s_addc_u32 s5, s5, 0
.LBB5_880:                              ;   in Loop: Header=BB5_865 Depth=1
	s_cmp_gt_u32 s28, 7
	s_cbranch_scc1 .LBB5_884
; %bb.881:                              ;   in Loop: Header=BB5_865 Depth=1
	s_cmp_eq_u32 s28, 0
	s_cbranch_scc1 .LBB5_885
; %bb.882:                              ;   in Loop: Header=BB5_865 Depth=1
	v_mov_b32_e32 v14, 0
	s_mov_b64 s[24:25], 0
	v_mov_b32_e32 v15, 0
	s_mov_b64 s[26:27], 0
.LBB5_883:                              ;   Parent Loop BB5_865 Depth=1
                                        ; =>  This Inner Loop Header: Depth=2
	s_add_u32 vcc_lo, s4, s26
	s_addc_u32 vcc_hi, s5, s27
	global_load_ubyte v4, v28, vcc
	s_add_u32 s26, s26, 1
	s_addc_u32 s27, s27, 0
	s_waitcnt vmcnt(0)
	v_and_b32_e32 v27, 0xffff, v4
	v_lshlrev_b64 v[4:5], s24, v[27:28]
	s_add_u32 s24, s24, 8
	s_addc_u32 s25, s25, 0
	v_or_b32_e32 v14, v4, v14
	s_cmp_lg_u32 s28, s26
	v_or_b32_e32 v15, v5, v15
	s_cbranch_scc1 .LBB5_883
	s_branch .LBB5_886
.LBB5_884:                              ;   in Loop: Header=BB5_865 Depth=1
                                        ; implicit-def: $sgpr15
	s_branch .LBB5_887
.LBB5_885:                              ;   in Loop: Header=BB5_865 Depth=1
	v_mov_b32_e32 v14, 0
	v_mov_b32_e32 v15, 0
.LBB5_886:                              ;   in Loop: Header=BB5_865 Depth=1
	s_mov_b32 s15, 0
	s_cbranch_execnz .LBB5_888
.LBB5_887:                              ;   in Loop: Header=BB5_865 Depth=1
	global_load_dwordx2 v[14:15], v28, s[4:5]
	s_add_i32 s15, s28, -8
	s_add_u32 s4, s4, 8
	s_addc_u32 s5, s5, 0
.LBB5_888:                              ;   in Loop: Header=BB5_865 Depth=1
	s_cmp_gt_u32 s15, 7
	s_cbranch_scc1 .LBB5_892
; %bb.889:                              ;   in Loop: Header=BB5_865 Depth=1
	s_cmp_eq_u32 s15, 0
	s_cbranch_scc1 .LBB5_893
; %bb.890:                              ;   in Loop: Header=BB5_865 Depth=1
	v_mov_b32_e32 v16, 0
	s_mov_b64 s[24:25], 0
	v_mov_b32_e32 v17, 0
	s_mov_b64 s[26:27], 0
.LBB5_891:                              ;   Parent Loop BB5_865 Depth=1
                                        ; =>  This Inner Loop Header: Depth=2
	s_add_u32 s28, s4, s26
	s_addc_u32 s29, s5, s27
	global_load_ubyte v4, v28, s[28:29]
	s_add_u32 s26, s26, 1
	s_addc_u32 s27, s27, 0
	s_waitcnt vmcnt(0)
	v_and_b32_e32 v27, 0xffff, v4
	v_lshlrev_b64 v[4:5], s24, v[27:28]
	s_add_u32 s24, s24, 8
	s_addc_u32 s25, s25, 0
	v_or_b32_e32 v16, v4, v16
	s_cmp_lg_u32 s15, s26
	v_or_b32_e32 v17, v5, v17
	s_cbranch_scc1 .LBB5_891
	s_branch .LBB5_894
.LBB5_892:                              ;   in Loop: Header=BB5_865 Depth=1
                                        ; implicit-def: $vgpr16_vgpr17
                                        ; implicit-def: $sgpr28
	s_branch .LBB5_895
.LBB5_893:                              ;   in Loop: Header=BB5_865 Depth=1
	v_mov_b32_e32 v16, 0
	v_mov_b32_e32 v17, 0
.LBB5_894:                              ;   in Loop: Header=BB5_865 Depth=1
	s_mov_b32 s28, 0
	s_cbranch_execnz .LBB5_896
.LBB5_895:                              ;   in Loop: Header=BB5_865 Depth=1
	global_load_dwordx2 v[16:17], v28, s[4:5]
	s_add_i32 s28, s15, -8
	s_add_u32 s4, s4, 8
	s_addc_u32 s5, s5, 0
.LBB5_896:                              ;   in Loop: Header=BB5_865 Depth=1
	s_cmp_gt_u32 s28, 7
	s_cbranch_scc1 .LBB5_900
; %bb.897:                              ;   in Loop: Header=BB5_865 Depth=1
	s_cmp_eq_u32 s28, 0
	s_cbranch_scc1 .LBB5_901
; %bb.898:                              ;   in Loop: Header=BB5_865 Depth=1
	v_mov_b32_e32 v18, 0
	s_mov_b64 s[24:25], 0
	v_mov_b32_e32 v19, 0
	s_mov_b64 s[26:27], 0
.LBB5_899:                              ;   Parent Loop BB5_865 Depth=1
                                        ; =>  This Inner Loop Header: Depth=2
	s_add_u32 vcc_lo, s4, s26
	s_addc_u32 vcc_hi, s5, s27
	global_load_ubyte v4, v28, vcc
	s_add_u32 s26, s26, 1
	s_addc_u32 s27, s27, 0
	s_waitcnt vmcnt(0)
	v_and_b32_e32 v27, 0xffff, v4
	v_lshlrev_b64 v[4:5], s24, v[27:28]
	s_add_u32 s24, s24, 8
	s_addc_u32 s25, s25, 0
	v_or_b32_e32 v18, v4, v18
	s_cmp_lg_u32 s28, s26
	v_or_b32_e32 v19, v5, v19
	s_cbranch_scc1 .LBB5_899
	s_branch .LBB5_902
.LBB5_900:                              ;   in Loop: Header=BB5_865 Depth=1
                                        ; implicit-def: $sgpr15
	s_branch .LBB5_903
.LBB5_901:                              ;   in Loop: Header=BB5_865 Depth=1
	v_mov_b32_e32 v18, 0
	v_mov_b32_e32 v19, 0
.LBB5_902:                              ;   in Loop: Header=BB5_865 Depth=1
	s_mov_b32 s15, 0
	s_cbranch_execnz .LBB5_904
.LBB5_903:                              ;   in Loop: Header=BB5_865 Depth=1
	global_load_dwordx2 v[18:19], v28, s[4:5]
	s_add_i32 s15, s28, -8
	s_add_u32 s4, s4, 8
	s_addc_u32 s5, s5, 0
.LBB5_904:                              ;   in Loop: Header=BB5_865 Depth=1
	s_cmp_gt_u32 s15, 7
	s_cbranch_scc1 .LBB5_908
; %bb.905:                              ;   in Loop: Header=BB5_865 Depth=1
	s_cmp_eq_u32 s15, 0
	s_cbranch_scc1 .LBB5_909
; %bb.906:                              ;   in Loop: Header=BB5_865 Depth=1
	v_mov_b32_e32 v20, 0
	s_mov_b64 s[24:25], 0
	v_mov_b32_e32 v21, 0
	s_mov_b64 s[26:27], 0
.LBB5_907:                              ;   Parent Loop BB5_865 Depth=1
                                        ; =>  This Inner Loop Header: Depth=2
	s_add_u32 s28, s4, s26
	s_addc_u32 s29, s5, s27
	global_load_ubyte v4, v28, s[28:29]
	s_add_u32 s26, s26, 1
	s_addc_u32 s27, s27, 0
	s_waitcnt vmcnt(0)
	v_and_b32_e32 v27, 0xffff, v4
	v_lshlrev_b64 v[4:5], s24, v[27:28]
	s_add_u32 s24, s24, 8
	s_addc_u32 s25, s25, 0
	v_or_b32_e32 v20, v4, v20
	s_cmp_lg_u32 s15, s26
	v_or_b32_e32 v21, v5, v21
	s_cbranch_scc1 .LBB5_907
	s_branch .LBB5_910
.LBB5_908:                              ;   in Loop: Header=BB5_865 Depth=1
                                        ; implicit-def: $vgpr20_vgpr21
                                        ; implicit-def: $sgpr28
	s_branch .LBB5_911
.LBB5_909:                              ;   in Loop: Header=BB5_865 Depth=1
	v_mov_b32_e32 v20, 0
	v_mov_b32_e32 v21, 0
.LBB5_910:                              ;   in Loop: Header=BB5_865 Depth=1
	s_mov_b32 s28, 0
	s_cbranch_execnz .LBB5_912
.LBB5_911:                              ;   in Loop: Header=BB5_865 Depth=1
	global_load_dwordx2 v[20:21], v28, s[4:5]
	s_add_i32 s28, s15, -8
	s_add_u32 s4, s4, 8
	s_addc_u32 s5, s5, 0
.LBB5_912:                              ;   in Loop: Header=BB5_865 Depth=1
	s_cmp_gt_u32 s28, 7
	s_cbranch_scc1 .LBB5_916
; %bb.913:                              ;   in Loop: Header=BB5_865 Depth=1
	s_cmp_eq_u32 s28, 0
	s_cbranch_scc1 .LBB5_917
; %bb.914:                              ;   in Loop: Header=BB5_865 Depth=1
	v_mov_b32_e32 v22, 0
	s_mov_b64 s[24:25], 0
	v_mov_b32_e32 v23, 0
	s_mov_b64 s[26:27], s[4:5]
.LBB5_915:                              ;   Parent Loop BB5_865 Depth=1
                                        ; =>  This Inner Loop Header: Depth=2
	global_load_ubyte v4, v28, s[26:27]
	s_add_i32 s28, s28, -1
	s_waitcnt vmcnt(0)
	v_and_b32_e32 v27, 0xffff, v4
	v_lshlrev_b64 v[4:5], s24, v[27:28]
	s_add_u32 s24, s24, 8
	s_addc_u32 s25, s25, 0
	s_add_u32 s26, s26, 1
	s_addc_u32 s27, s27, 0
	v_or_b32_e32 v22, v4, v22
	s_cmp_lg_u32 s28, 0
	v_or_b32_e32 v23, v5, v23
	s_cbranch_scc1 .LBB5_915
	s_branch .LBB5_918
.LBB5_916:                              ;   in Loop: Header=BB5_865 Depth=1
	s_branch .LBB5_919
.LBB5_917:                              ;   in Loop: Header=BB5_865 Depth=1
	v_mov_b32_e32 v22, 0
	v_mov_b32_e32 v23, 0
.LBB5_918:                              ;   in Loop: Header=BB5_865 Depth=1
	s_cbranch_execnz .LBB5_920
.LBB5_919:                              ;   in Loop: Header=BB5_865 Depth=1
	global_load_dwordx2 v[22:23], v28, s[4:5]
.LBB5_920:                              ;   in Loop: Header=BB5_865 Depth=1
	v_readfirstlane_b32 s4, v32
	s_waitcnt vmcnt(0)
	v_mov_b32_e32 v4, 0
	v_mov_b32_e32 v5, 0
	v_cmp_eq_u32_e64 s[4:5], s4, v32
	s_and_saveexec_b64 s[24:25], s[4:5]
	s_cbranch_execz .LBB5_926
; %bb.921:                              ;   in Loop: Header=BB5_865 Depth=1
	global_load_dwordx2 v[26:27], v28, s[6:7] offset:24 glc
	s_waitcnt vmcnt(0)
	buffer_wbinvl1_vol
	global_load_dwordx2 v[4:5], v28, s[6:7] offset:40
	global_load_dwordx2 v[8:9], v28, s[6:7]
	s_waitcnt vmcnt(1)
	v_and_b32_e32 v4, v4, v26
	v_and_b32_e32 v5, v5, v27
	v_mul_lo_u32 v5, v5, 24
	v_mul_hi_u32 v24, v4, 24
	v_mul_lo_u32 v4, v4, 24
	v_add_u32_e32 v5, v24, v5
	s_waitcnt vmcnt(0)
	v_add_co_u32_e32 v4, vcc, v8, v4
	v_addc_co_u32_e32 v5, vcc, v9, v5, vcc
	global_load_dwordx2 v[24:25], v[4:5], off glc
	s_waitcnt vmcnt(0)
	global_atomic_cmpswap_x2 v[4:5], v28, v[24:27], s[6:7] offset:24 glc
	s_waitcnt vmcnt(0)
	buffer_wbinvl1_vol
	v_cmp_ne_u64_e32 vcc, v[4:5], v[26:27]
	s_and_saveexec_b64 s[26:27], vcc
	s_cbranch_execz .LBB5_925
; %bb.922:                              ;   in Loop: Header=BB5_865 Depth=1
	s_mov_b64 s[28:29], 0
.LBB5_923:                              ;   Parent Loop BB5_865 Depth=1
                                        ; =>  This Inner Loop Header: Depth=2
	s_sleep 1
	global_load_dwordx2 v[8:9], v28, s[6:7] offset:40
	global_load_dwordx2 v[24:25], v28, s[6:7]
	v_mov_b32_e32 v27, v5
	v_mov_b32_e32 v26, v4
	s_waitcnt vmcnt(1)
	v_and_b32_e32 v4, v8, v26
	s_waitcnt vmcnt(0)
	v_mad_u64_u32 v[4:5], vcc, v4, 24, v[24:25]
	v_and_b32_e32 v8, v9, v27
	v_mad_u64_u32 v[8:9], vcc, v8, 24, v[5:6]
	v_mov_b32_e32 v5, v8
	global_load_dwordx2 v[24:25], v[4:5], off glc
	s_waitcnt vmcnt(0)
	global_atomic_cmpswap_x2 v[4:5], v28, v[24:27], s[6:7] offset:24 glc
	s_waitcnt vmcnt(0)
	buffer_wbinvl1_vol
	v_cmp_eq_u64_e32 vcc, v[4:5], v[26:27]
	s_or_b64 s[28:29], vcc, s[28:29]
	s_andn2_b64 exec, exec, s[28:29]
	s_cbranch_execnz .LBB5_923
; %bb.924:                              ;   in Loop: Header=BB5_865 Depth=1
	s_or_b64 exec, exec, s[28:29]
.LBB5_925:                              ;   in Loop: Header=BB5_865 Depth=1
	s_or_b64 exec, exec, s[26:27]
.LBB5_926:                              ;   in Loop: Header=BB5_865 Depth=1
	s_or_b64 exec, exec, s[24:25]
	global_load_dwordx2 v[8:9], v28, s[6:7] offset:40
	global_load_dwordx4 v[24:27], v28, s[6:7]
	v_readfirstlane_b32 s24, v4
	v_readfirstlane_b32 s25, v5
	s_mov_b64 s[26:27], exec
	s_waitcnt vmcnt(1)
	v_readfirstlane_b32 s28, v8
	v_readfirstlane_b32 s29, v9
	s_and_b64 s[28:29], s[24:25], s[28:29]
	s_mul_i32 s15, s29, 24
	s_mul_hi_u32 vcc_lo, s28, 24
	s_mul_i32 vcc_hi, s28, 24
	s_add_i32 s15, vcc_lo, s15
	v_mov_b32_e32 v4, s15
	s_waitcnt vmcnt(0)
	v_add_co_u32_e32 v29, vcc, vcc_hi, v24
	v_addc_co_u32_e32 v30, vcc, v25, v4, vcc
	s_and_saveexec_b64 vcc, s[4:5]
	s_cbranch_execz .LBB5_928
; %bb.927:                              ;   in Loop: Header=BB5_865 Depth=1
	v_mov_b32_e32 v4, s26
	v_mov_b32_e32 v5, s27
	global_store_dwordx4 v[29:30], v[4:7], off offset:8
.LBB5_928:                              ;   in Loop: Header=BB5_865 Depth=1
	s_or_b64 exec, exec, vcc
	s_lshl_b64 s[26:27], s[28:29], 12
	v_mov_b32_e32 v4, s27
	v_add_co_u32_e32 v26, vcc, s26, v26
	v_addc_co_u32_e32 v34, vcc, v27, v4, vcc
	v_cmp_gt_u64_e64 vcc, s[20:21], 56
	v_or_b32_e32 v5, v2, v33
	s_lshl_b32 s15, s22, 2
	v_cndmask_b32_e32 v2, v5, v2, vcc
	s_add_i32 s15, s15, 28
	v_or_b32_e32 v4, 0, v3
	s_and_b32 s15, s15, 0x1e0
	v_and_b32_e32 v2, 0xffffff1f, v2
	v_cndmask_b32_e32 v9, v4, v3, vcc
	v_or_b32_e32 v8, s15, v2
	v_readfirstlane_b32 s26, v26
	v_readfirstlane_b32 s27, v34
	s_nop 4
	global_store_dwordx4 v31, v[8:11], s[26:27]
	global_store_dwordx4 v31, v[12:15], s[26:27] offset:16
	global_store_dwordx4 v31, v[16:19], s[26:27] offset:32
	;; [unrolled: 1-line block ×3, first 2 shown]
	s_and_saveexec_b64 s[26:27], s[4:5]
	s_cbranch_execz .LBB5_936
; %bb.929:                              ;   in Loop: Header=BB5_865 Depth=1
	global_load_dwordx2 v[12:13], v28, s[6:7] offset:32 glc
	global_load_dwordx2 v[2:3], v28, s[6:7] offset:40
	v_mov_b32_e32 v10, s24
	v_mov_b32_e32 v11, s25
	s_waitcnt vmcnt(0)
	v_readfirstlane_b32 s28, v2
	v_readfirstlane_b32 s29, v3
	s_and_b64 s[28:29], s[28:29], s[24:25]
	s_mul_i32 s15, s29, 24
	s_mul_hi_u32 s29, s28, 24
	s_mul_i32 s28, s28, 24
	s_add_i32 s15, s29, s15
	v_mov_b32_e32 v2, s15
	v_add_co_u32_e32 v8, vcc, s28, v24
	v_addc_co_u32_e32 v9, vcc, v25, v2, vcc
	global_store_dwordx2 v[8:9], v[12:13], off
	s_waitcnt vmcnt(0)
	global_atomic_cmpswap_x2 v[4:5], v28, v[10:13], s[6:7] offset:32 glc
	s_waitcnt vmcnt(0)
	v_cmp_ne_u64_e32 vcc, v[4:5], v[12:13]
	s_and_saveexec_b64 s[28:29], vcc
	s_cbranch_execz .LBB5_932
; %bb.930:                              ;   in Loop: Header=BB5_865 Depth=1
	s_mov_b64 s[30:31], 0
.LBB5_931:                              ;   Parent Loop BB5_865 Depth=1
                                        ; =>  This Inner Loop Header: Depth=2
	s_sleep 1
	global_store_dwordx2 v[8:9], v[4:5], off
	v_mov_b32_e32 v2, s24
	v_mov_b32_e32 v3, s25
	s_waitcnt vmcnt(0)
	global_atomic_cmpswap_x2 v[2:3], v28, v[2:5], s[6:7] offset:32 glc
	s_waitcnt vmcnt(0)
	v_cmp_eq_u64_e32 vcc, v[2:3], v[4:5]
	v_mov_b32_e32 v5, v3
	s_or_b64 s[30:31], vcc, s[30:31]
	v_mov_b32_e32 v4, v2
	s_andn2_b64 exec, exec, s[30:31]
	s_cbranch_execnz .LBB5_931
.LBB5_932:                              ;   in Loop: Header=BB5_865 Depth=1
	s_or_b64 exec, exec, s[28:29]
	global_load_dwordx2 v[2:3], v28, s[6:7] offset:16
	s_mov_b64 s[30:31], exec
	v_mbcnt_lo_u32_b32 v4, s30, 0
	v_mbcnt_hi_u32_b32 v4, s31, v4
	v_cmp_eq_u32_e32 vcc, 0, v4
	s_and_saveexec_b64 s[28:29], vcc
	s_cbranch_execz .LBB5_934
; %bb.933:                              ;   in Loop: Header=BB5_865 Depth=1
	s_bcnt1_i32_b64 s15, s[30:31]
	v_mov_b32_e32 v27, s15
	s_waitcnt vmcnt(0)
	global_atomic_add_x2 v[2:3], v[27:28], off offset:8
.LBB5_934:                              ;   in Loop: Header=BB5_865 Depth=1
	s_or_b64 exec, exec, s[28:29]
	s_waitcnt vmcnt(0)
	global_load_dwordx2 v[4:5], v[2:3], off offset:16
	s_waitcnt vmcnt(0)
	v_cmp_eq_u64_e32 vcc, 0, v[4:5]
	s_cbranch_vccnz .LBB5_936
; %bb.935:                              ;   in Loop: Header=BB5_865 Depth=1
	global_load_dword v27, v[2:3], off offset:24
	s_waitcnt vmcnt(0)
	v_and_b32_e32 v2, 0xffffff, v27
	v_readfirstlane_b32 m0, v2
	global_store_dwordx2 v[4:5], v[27:28], off
	s_sendmsg sendmsg(MSG_INTERRUPT)
.LBB5_936:                              ;   in Loop: Header=BB5_865 Depth=1
	s_or_b64 exec, exec, s[26:27]
	v_add_co_u32_e32 v2, vcc, v26, v31
	v_addc_co_u32_e32 v3, vcc, 0, v34, vcc
	s_branch .LBB5_940
.LBB5_937:                              ;   in Loop: Header=BB5_940 Depth=2
	s_or_b64 exec, exec, s[26:27]
	v_readfirstlane_b32 s15, v4
	s_cmp_eq_u32 s15, 0
	s_cbranch_scc1 .LBB5_939
; %bb.938:                              ;   in Loop: Header=BB5_940 Depth=2
	s_sleep 1
	s_cbranch_execnz .LBB5_940
	s_branch .LBB5_942
.LBB5_939:                              ;   in Loop: Header=BB5_865 Depth=1
	s_branch .LBB5_942
.LBB5_940:                              ;   Parent Loop BB5_865 Depth=1
                                        ; =>  This Inner Loop Header: Depth=2
	v_mov_b32_e32 v4, 1
	s_and_saveexec_b64 s[26:27], s[4:5]
	s_cbranch_execz .LBB5_937
; %bb.941:                              ;   in Loop: Header=BB5_940 Depth=2
	global_load_dword v4, v[29:30], off offset:20 glc
	s_waitcnt vmcnt(0)
	buffer_wbinvl1_vol
	v_and_b32_e32 v4, 1, v4
	s_branch .LBB5_937
.LBB5_942:                              ;   in Loop: Header=BB5_865 Depth=1
	global_load_dwordx4 v[2:5], v[2:3], off
	s_and_saveexec_b64 s[26:27], s[4:5]
	s_cbranch_execz .LBB5_864
; %bb.943:                              ;   in Loop: Header=BB5_865 Depth=1
	global_load_dwordx2 v[4:5], v28, s[6:7] offset:40
	global_load_dwordx2 v[12:13], v28, s[6:7] offset:24 glc
	global_load_dwordx2 v[14:15], v28, s[6:7]
	v_mov_b32_e32 v9, s25
	s_waitcnt vmcnt(2)
	v_add_co_u32_e32 v10, vcc, 1, v4
	v_addc_co_u32_e32 v11, vcc, 0, v5, vcc
	v_add_co_u32_e32 v8, vcc, s24, v10
	v_addc_co_u32_e32 v9, vcc, v11, v9, vcc
	v_cmp_eq_u64_e32 vcc, 0, v[8:9]
	v_cndmask_b32_e32 v9, v9, v11, vcc
	v_cndmask_b32_e32 v8, v8, v10, vcc
	v_and_b32_e32 v5, v9, v5
	v_and_b32_e32 v4, v8, v4
	v_mul_lo_u32 v5, v5, 24
	v_mul_hi_u32 v11, v4, 24
	v_mul_lo_u32 v4, v4, 24
	s_waitcnt vmcnt(1)
	v_mov_b32_e32 v10, v12
	v_add_u32_e32 v5, v11, v5
	s_waitcnt vmcnt(0)
	v_add_co_u32_e32 v4, vcc, v14, v4
	v_addc_co_u32_e32 v5, vcc, v15, v5, vcc
	global_store_dwordx2 v[4:5], v[12:13], off
	v_mov_b32_e32 v11, v13
	s_waitcnt vmcnt(0)
	global_atomic_cmpswap_x2 v[10:11], v28, v[8:11], s[6:7] offset:24 glc
	s_waitcnt vmcnt(0)
	v_cmp_ne_u64_e32 vcc, v[10:11], v[12:13]
	s_and_b64 exec, exec, vcc
	s_cbranch_execz .LBB5_864
; %bb.944:                              ;   in Loop: Header=BB5_865 Depth=1
	s_mov_b64 s[4:5], 0
.LBB5_945:                              ;   Parent Loop BB5_865 Depth=1
                                        ; =>  This Inner Loop Header: Depth=2
	s_sleep 1
	global_store_dwordx2 v[4:5], v[10:11], off
	s_waitcnt vmcnt(0)
	global_atomic_cmpswap_x2 v[12:13], v28, v[8:11], s[6:7] offset:24 glc
	s_waitcnt vmcnt(0)
	v_cmp_eq_u64_e32 vcc, v[12:13], v[10:11]
	v_mov_b32_e32 v10, v12
	s_or_b64 s[4:5], vcc, s[4:5]
	v_mov_b32_e32 v11, v13
	s_andn2_b64 exec, exec, s[4:5]
	s_cbranch_execnz .LBB5_945
	s_branch .LBB5_864
.LBB5_946:
	s_branch .LBB5_974
.LBB5_947:
                                        ; implicit-def: $vgpr2_vgpr3
	s_cbranch_execz .LBB5_974
; %bb.948:
	v_readfirstlane_b32 s4, v32
	v_mov_b32_e32 v8, 0
	v_mov_b32_e32 v9, 0
	v_cmp_eq_u32_e64 s[4:5], s4, v32
	s_and_saveexec_b64 s[18:19], s[4:5]
	s_cbranch_execz .LBB5_954
; %bb.949:
	s_waitcnt vmcnt(0)
	v_mov_b32_e32 v2, 0
	global_load_dwordx2 v[5:6], v2, s[6:7] offset:24 glc
	s_waitcnt vmcnt(0)
	buffer_wbinvl1_vol
	global_load_dwordx2 v[3:4], v2, s[6:7] offset:40
	global_load_dwordx2 v[7:8], v2, s[6:7]
	s_waitcnt vmcnt(1)
	v_and_b32_e32 v3, v3, v5
	v_and_b32_e32 v4, v4, v6
	v_mul_lo_u32 v4, v4, 24
	v_mul_hi_u32 v9, v3, 24
	v_mul_lo_u32 v3, v3, 24
	v_add_u32_e32 v4, v9, v4
	s_waitcnt vmcnt(0)
	v_add_co_u32_e32 v3, vcc, v7, v3
	v_addc_co_u32_e32 v4, vcc, v8, v4, vcc
	global_load_dwordx2 v[3:4], v[3:4], off glc
	s_waitcnt vmcnt(0)
	global_atomic_cmpswap_x2 v[8:9], v2, v[3:6], s[6:7] offset:24 glc
	s_waitcnt vmcnt(0)
	buffer_wbinvl1_vol
	v_cmp_ne_u64_e32 vcc, v[8:9], v[5:6]
	s_and_saveexec_b64 s[20:21], vcc
	s_cbranch_execz .LBB5_953
; %bb.950:
	s_mov_b64 s[22:23], 0
.LBB5_951:                              ; =>This Inner Loop Header: Depth=1
	s_sleep 1
	global_load_dwordx2 v[3:4], v2, s[6:7] offset:40
	global_load_dwordx2 v[10:11], v2, s[6:7]
	v_mov_b32_e32 v5, v8
	v_mov_b32_e32 v6, v9
	s_waitcnt vmcnt(1)
	v_and_b32_e32 v3, v3, v5
	s_waitcnt vmcnt(0)
	v_mad_u64_u32 v[7:8], s[24:25], v3, 24, v[10:11]
	v_and_b32_e32 v4, v4, v6
	v_mov_b32_e32 v3, v8
	v_mad_u64_u32 v[3:4], s[24:25], v4, 24, v[3:4]
	v_mov_b32_e32 v8, v3
	global_load_dwordx2 v[3:4], v[7:8], off glc
	s_waitcnt vmcnt(0)
	global_atomic_cmpswap_x2 v[8:9], v2, v[3:6], s[6:7] offset:24 glc
	s_waitcnt vmcnt(0)
	buffer_wbinvl1_vol
	v_cmp_eq_u64_e32 vcc, v[8:9], v[5:6]
	s_or_b64 s[22:23], vcc, s[22:23]
	s_andn2_b64 exec, exec, s[22:23]
	s_cbranch_execnz .LBB5_951
; %bb.952:
	s_or_b64 exec, exec, s[22:23]
.LBB5_953:
	s_or_b64 exec, exec, s[20:21]
.LBB5_954:
	s_or_b64 exec, exec, s[18:19]
	s_waitcnt vmcnt(0)
	v_mov_b32_e32 v2, 0
	global_load_dwordx2 v[10:11], v2, s[6:7] offset:40
	global_load_dwordx4 v[4:7], v2, s[6:7]
	v_readfirstlane_b32 s18, v8
	v_readfirstlane_b32 s19, v9
	s_mov_b64 s[20:21], exec
	s_waitcnt vmcnt(1)
	v_readfirstlane_b32 s22, v10
	v_readfirstlane_b32 s23, v11
	s_and_b64 s[22:23], s[18:19], s[22:23]
	s_mul_i32 s15, s23, 24
	s_mul_hi_u32 s24, s22, 24
	s_mul_i32 s25, s22, 24
	s_add_i32 s15, s24, s15
	v_mov_b32_e32 v3, s15
	s_waitcnt vmcnt(0)
	v_add_co_u32_e32 v8, vcc, s25, v4
	v_addc_co_u32_e32 v9, vcc, v5, v3, vcc
	s_and_saveexec_b64 s[24:25], s[4:5]
	s_cbranch_execz .LBB5_956
; %bb.955:
	v_mov_b32_e32 v10, s20
	v_mov_b32_e32 v11, s21
	;; [unrolled: 1-line block ×4, first 2 shown]
	global_store_dwordx4 v[8:9], v[10:13], off offset:8
.LBB5_956:
	s_or_b64 exec, exec, s[24:25]
	s_lshl_b64 s[20:21], s[22:23], 12
	v_mov_b32_e32 v3, s21
	v_add_co_u32_e32 v10, vcc, s20, v6
	v_addc_co_u32_e32 v11, vcc, v7, v3, vcc
	s_movk_i32 s15, 0xff1f
	v_and_or_b32 v0, v0, s15, 32
	s_mov_b32 s20, 0
	v_mov_b32_e32 v3, v2
	v_readfirstlane_b32 s24, v10
	v_readfirstlane_b32 s25, v11
	v_add_co_u32_e32 v6, vcc, v10, v31
	s_mov_b32 s21, s20
	s_mov_b32 s22, s20
	;; [unrolled: 1-line block ×3, first 2 shown]
	s_nop 0
	global_store_dwordx4 v31, v[0:3], s[24:25]
	v_addc_co_u32_e32 v7, vcc, 0, v11, vcc
	v_mov_b32_e32 v0, s20
	v_mov_b32_e32 v1, s21
	;; [unrolled: 1-line block ×4, first 2 shown]
	global_store_dwordx4 v31, v[0:3], s[24:25] offset:16
	global_store_dwordx4 v31, v[0:3], s[24:25] offset:32
	global_store_dwordx4 v31, v[0:3], s[24:25] offset:48
	s_and_saveexec_b64 s[20:21], s[4:5]
	s_cbranch_execz .LBB5_964
; %bb.957:
	v_mov_b32_e32 v10, 0
	global_load_dwordx2 v[13:14], v10, s[6:7] offset:32 glc
	global_load_dwordx2 v[0:1], v10, s[6:7] offset:40
	v_mov_b32_e32 v11, s18
	v_mov_b32_e32 v12, s19
	s_waitcnt vmcnt(0)
	v_readfirstlane_b32 s22, v0
	v_readfirstlane_b32 s23, v1
	s_and_b64 s[22:23], s[22:23], s[18:19]
	s_mul_i32 s15, s23, 24
	s_mul_hi_u32 s23, s22, 24
	s_mul_i32 s22, s22, 24
	s_add_i32 s15, s23, s15
	v_mov_b32_e32 v0, s15
	v_add_co_u32_e32 v4, vcc, s22, v4
	v_addc_co_u32_e32 v5, vcc, v5, v0, vcc
	global_store_dwordx2 v[4:5], v[13:14], off
	s_waitcnt vmcnt(0)
	global_atomic_cmpswap_x2 v[2:3], v10, v[11:14], s[6:7] offset:32 glc
	s_waitcnt vmcnt(0)
	v_cmp_ne_u64_e32 vcc, v[2:3], v[13:14]
	s_and_saveexec_b64 s[22:23], vcc
	s_cbranch_execz .LBB5_960
; %bb.958:
	s_mov_b64 s[24:25], 0
.LBB5_959:                              ; =>This Inner Loop Header: Depth=1
	s_sleep 1
	global_store_dwordx2 v[4:5], v[2:3], off
	v_mov_b32_e32 v0, s18
	v_mov_b32_e32 v1, s19
	s_waitcnt vmcnt(0)
	global_atomic_cmpswap_x2 v[0:1], v10, v[0:3], s[6:7] offset:32 glc
	s_waitcnt vmcnt(0)
	v_cmp_eq_u64_e32 vcc, v[0:1], v[2:3]
	v_mov_b32_e32 v3, v1
	s_or_b64 s[24:25], vcc, s[24:25]
	v_mov_b32_e32 v2, v0
	s_andn2_b64 exec, exec, s[24:25]
	s_cbranch_execnz .LBB5_959
.LBB5_960:
	s_or_b64 exec, exec, s[22:23]
	v_mov_b32_e32 v3, 0
	global_load_dwordx2 v[0:1], v3, s[6:7] offset:16
	s_mov_b64 s[22:23], exec
	v_mbcnt_lo_u32_b32 v2, s22, 0
	v_mbcnt_hi_u32_b32 v2, s23, v2
	v_cmp_eq_u32_e32 vcc, 0, v2
	s_and_saveexec_b64 s[24:25], vcc
	s_cbranch_execz .LBB5_962
; %bb.961:
	s_bcnt1_i32_b64 s15, s[22:23]
	v_mov_b32_e32 v2, s15
	s_waitcnt vmcnt(0)
	global_atomic_add_x2 v[0:1], v[2:3], off offset:8
.LBB5_962:
	s_or_b64 exec, exec, s[24:25]
	s_waitcnt vmcnt(0)
	global_load_dwordx2 v[2:3], v[0:1], off offset:16
	s_waitcnt vmcnt(0)
	v_cmp_eq_u64_e32 vcc, 0, v[2:3]
	s_cbranch_vccnz .LBB5_964
; %bb.963:
	global_load_dword v0, v[0:1], off offset:24
	v_mov_b32_e32 v1, 0
	s_waitcnt vmcnt(0)
	global_store_dwordx2 v[2:3], v[0:1], off
	v_and_b32_e32 v0, 0xffffff, v0
	v_readfirstlane_b32 m0, v0
	s_sendmsg sendmsg(MSG_INTERRUPT)
.LBB5_964:
	s_or_b64 exec, exec, s[20:21]
	s_branch .LBB5_968
.LBB5_965:                              ;   in Loop: Header=BB5_968 Depth=1
	s_or_b64 exec, exec, s[20:21]
	v_readfirstlane_b32 s15, v0
	s_cmp_eq_u32 s15, 0
	s_cbranch_scc1 .LBB5_967
; %bb.966:                              ;   in Loop: Header=BB5_968 Depth=1
	s_sleep 1
	s_cbranch_execnz .LBB5_968
	s_branch .LBB5_970
.LBB5_967:
	s_branch .LBB5_970
.LBB5_968:                              ; =>This Inner Loop Header: Depth=1
	v_mov_b32_e32 v0, 1
	s_and_saveexec_b64 s[20:21], s[4:5]
	s_cbranch_execz .LBB5_965
; %bb.969:                              ;   in Loop: Header=BB5_968 Depth=1
	global_load_dword v0, v[8:9], off offset:20 glc
	s_waitcnt vmcnt(0)
	buffer_wbinvl1_vol
	v_and_b32_e32 v0, 1, v0
	s_branch .LBB5_965
.LBB5_970:
	global_load_dwordx2 v[2:3], v[6:7], off
	s_and_saveexec_b64 s[20:21], s[4:5]
	s_cbranch_execz .LBB5_973
; %bb.971:
	v_mov_b32_e32 v8, 0
	global_load_dwordx2 v[0:1], v8, s[6:7] offset:40
	global_load_dwordx2 v[9:10], v8, s[6:7] offset:24 glc
	global_load_dwordx2 v[11:12], v8, s[6:7]
	v_mov_b32_e32 v5, s19
	s_mov_b64 s[4:5], 0
	s_waitcnt vmcnt(2)
	v_add_co_u32_e32 v6, vcc, 1, v0
	v_addc_co_u32_e32 v7, vcc, 0, v1, vcc
	v_add_co_u32_e32 v4, vcc, s18, v6
	v_addc_co_u32_e32 v5, vcc, v7, v5, vcc
	v_cmp_eq_u64_e32 vcc, 0, v[4:5]
	v_cndmask_b32_e32 v5, v5, v7, vcc
	v_cndmask_b32_e32 v4, v4, v6, vcc
	v_and_b32_e32 v1, v5, v1
	v_and_b32_e32 v0, v4, v0
	v_mul_lo_u32 v1, v1, 24
	v_mul_hi_u32 v7, v0, 24
	v_mul_lo_u32 v0, v0, 24
	s_waitcnt vmcnt(1)
	v_mov_b32_e32 v6, v9
	v_add_u32_e32 v1, v7, v1
	s_waitcnt vmcnt(0)
	v_add_co_u32_e32 v0, vcc, v11, v0
	v_addc_co_u32_e32 v1, vcc, v12, v1, vcc
	global_store_dwordx2 v[0:1], v[9:10], off
	v_mov_b32_e32 v7, v10
	s_waitcnt vmcnt(0)
	global_atomic_cmpswap_x2 v[6:7], v8, v[4:7], s[6:7] offset:24 glc
	s_waitcnt vmcnt(0)
	v_cmp_ne_u64_e32 vcc, v[6:7], v[9:10]
	s_and_b64 exec, exec, vcc
	s_cbranch_execz .LBB5_973
.LBB5_972:                              ; =>This Inner Loop Header: Depth=1
	s_sleep 1
	global_store_dwordx2 v[0:1], v[6:7], off
	s_waitcnt vmcnt(0)
	global_atomic_cmpswap_x2 v[9:10], v8, v[4:7], s[6:7] offset:24 glc
	s_waitcnt vmcnt(0)
	v_cmp_eq_u64_e32 vcc, v[9:10], v[6:7]
	v_mov_b32_e32 v6, v9
	s_or_b64 s[4:5], vcc, s[4:5]
	v_mov_b32_e32 v7, v10
	s_andn2_b64 exec, exec, s[4:5]
	s_cbranch_execnz .LBB5_972
.LBB5_973:
	s_or_b64 exec, exec, s[20:21]
.LBB5_974:
	v_readfirstlane_b32 s4, v32
	s_waitcnt vmcnt(0)
	v_mov_b32_e32 v0, 0
	v_mov_b32_e32 v1, 0
	v_cmp_eq_u32_e64 s[4:5], s4, v32
	s_and_saveexec_b64 s[18:19], s[4:5]
	s_cbranch_execz .LBB5_980
; %bb.975:
	v_mov_b32_e32 v4, 0
	global_load_dwordx2 v[7:8], v4, s[6:7] offset:24 glc
	s_waitcnt vmcnt(0)
	buffer_wbinvl1_vol
	global_load_dwordx2 v[0:1], v4, s[6:7] offset:40
	global_load_dwordx2 v[5:6], v4, s[6:7]
	s_waitcnt vmcnt(1)
	v_and_b32_e32 v0, v0, v7
	v_and_b32_e32 v1, v1, v8
	v_mul_lo_u32 v1, v1, 24
	v_mul_hi_u32 v9, v0, 24
	v_mul_lo_u32 v0, v0, 24
	v_add_u32_e32 v1, v9, v1
	s_waitcnt vmcnt(0)
	v_add_co_u32_e32 v0, vcc, v5, v0
	v_addc_co_u32_e32 v1, vcc, v6, v1, vcc
	global_load_dwordx2 v[5:6], v[0:1], off glc
	s_waitcnt vmcnt(0)
	global_atomic_cmpswap_x2 v[0:1], v4, v[5:8], s[6:7] offset:24 glc
	s_waitcnt vmcnt(0)
	buffer_wbinvl1_vol
	v_cmp_ne_u64_e32 vcc, v[0:1], v[7:8]
	s_and_saveexec_b64 s[20:21], vcc
	s_cbranch_execz .LBB5_979
; %bb.976:
	s_mov_b64 s[22:23], 0
.LBB5_977:                              ; =>This Inner Loop Header: Depth=1
	s_sleep 1
	global_load_dwordx2 v[5:6], v4, s[6:7] offset:40
	global_load_dwordx2 v[9:10], v4, s[6:7]
	v_mov_b32_e32 v8, v1
	v_mov_b32_e32 v7, v0
	s_waitcnt vmcnt(1)
	v_and_b32_e32 v0, v5, v7
	s_waitcnt vmcnt(0)
	v_mad_u64_u32 v[0:1], s[24:25], v0, 24, v[9:10]
	v_and_b32_e32 v5, v6, v8
	v_mad_u64_u32 v[5:6], s[24:25], v5, 24, v[1:2]
	v_mov_b32_e32 v1, v5
	global_load_dwordx2 v[5:6], v[0:1], off glc
	s_waitcnt vmcnt(0)
	global_atomic_cmpswap_x2 v[0:1], v4, v[5:8], s[6:7] offset:24 glc
	s_waitcnt vmcnt(0)
	buffer_wbinvl1_vol
	v_cmp_eq_u64_e32 vcc, v[0:1], v[7:8]
	s_or_b64 s[22:23], vcc, s[22:23]
	s_andn2_b64 exec, exec, s[22:23]
	s_cbranch_execnz .LBB5_977
; %bb.978:
	s_or_b64 exec, exec, s[22:23]
.LBB5_979:
	s_or_b64 exec, exec, s[20:21]
.LBB5_980:
	s_or_b64 exec, exec, s[18:19]
	v_mov_b32_e32 v5, 0
	global_load_dwordx2 v[10:11], v5, s[6:7] offset:40
	global_load_dwordx4 v[6:9], v5, s[6:7]
	v_readfirstlane_b32 s18, v0
	v_readfirstlane_b32 s19, v1
	s_mov_b64 s[20:21], exec
	s_waitcnt vmcnt(1)
	v_readfirstlane_b32 s22, v10
	v_readfirstlane_b32 s23, v11
	s_and_b64 s[22:23], s[18:19], s[22:23]
	s_mul_i32 s15, s23, 24
	s_mul_hi_u32 s24, s22, 24
	s_mul_i32 s25, s22, 24
	s_add_i32 s15, s24, s15
	v_mov_b32_e32 v0, s15
	s_waitcnt vmcnt(0)
	v_add_co_u32_e32 v10, vcc, s25, v6
	v_addc_co_u32_e32 v11, vcc, v7, v0, vcc
	s_and_saveexec_b64 s[24:25], s[4:5]
	s_cbranch_execz .LBB5_982
; %bb.981:
	v_mov_b32_e32 v12, s20
	v_mov_b32_e32 v13, s21
	;; [unrolled: 1-line block ×4, first 2 shown]
	global_store_dwordx4 v[10:11], v[12:15], off offset:8
.LBB5_982:
	s_or_b64 exec, exec, s[24:25]
	s_lshl_b64 s[20:21], s[22:23], 12
	v_mov_b32_e32 v0, s21
	v_add_co_u32_e32 v1, vcc, s20, v8
	v_addc_co_u32_e32 v0, vcc, v9, v0, vcc
	s_movk_i32 s15, 0xff1d
	v_and_or_b32 v2, v2, s15, 34
	s_mov_b32 s20, 0
	v_mov_b32_e32 v4, 0x450
	v_readfirstlane_b32 s24, v1
	v_readfirstlane_b32 s25, v0
	s_mov_b32 s21, s20
	s_mov_b32 s22, s20
	s_mov_b32 s23, s20
	s_nop 1
	global_store_dwordx4 v31, v[2:5], s[24:25]
	v_mov_b32_e32 v0, s20
	v_mov_b32_e32 v1, s21
	;; [unrolled: 1-line block ×4, first 2 shown]
	global_store_dwordx4 v31, v[0:3], s[24:25] offset:16
	global_store_dwordx4 v31, v[0:3], s[24:25] offset:32
	;; [unrolled: 1-line block ×3, first 2 shown]
	s_and_saveexec_b64 s[20:21], s[4:5]
	s_cbranch_execz .LBB5_990
; %bb.983:
	v_mov_b32_e32 v8, 0
	global_load_dwordx2 v[14:15], v8, s[6:7] offset:32 glc
	global_load_dwordx2 v[0:1], v8, s[6:7] offset:40
	v_mov_b32_e32 v12, s18
	v_mov_b32_e32 v13, s19
	s_waitcnt vmcnt(0)
	v_readfirstlane_b32 s22, v0
	v_readfirstlane_b32 s23, v1
	s_and_b64 s[22:23], s[22:23], s[18:19]
	s_mul_i32 s15, s23, 24
	s_mul_hi_u32 s23, s22, 24
	s_mul_i32 s22, s22, 24
	s_add_i32 s15, s23, s15
	v_mov_b32_e32 v0, s15
	v_add_co_u32_e32 v4, vcc, s22, v6
	v_addc_co_u32_e32 v5, vcc, v7, v0, vcc
	global_store_dwordx2 v[4:5], v[14:15], off
	s_waitcnt vmcnt(0)
	global_atomic_cmpswap_x2 v[2:3], v8, v[12:15], s[6:7] offset:32 glc
	s_waitcnt vmcnt(0)
	v_cmp_ne_u64_e32 vcc, v[2:3], v[14:15]
	s_and_saveexec_b64 s[22:23], vcc
	s_cbranch_execz .LBB5_986
; %bb.984:
	s_mov_b64 s[24:25], 0
.LBB5_985:                              ; =>This Inner Loop Header: Depth=1
	s_sleep 1
	global_store_dwordx2 v[4:5], v[2:3], off
	v_mov_b32_e32 v0, s18
	v_mov_b32_e32 v1, s19
	s_waitcnt vmcnt(0)
	global_atomic_cmpswap_x2 v[0:1], v8, v[0:3], s[6:7] offset:32 glc
	s_waitcnt vmcnt(0)
	v_cmp_eq_u64_e32 vcc, v[0:1], v[2:3]
	v_mov_b32_e32 v3, v1
	s_or_b64 s[24:25], vcc, s[24:25]
	v_mov_b32_e32 v2, v0
	s_andn2_b64 exec, exec, s[24:25]
	s_cbranch_execnz .LBB5_985
.LBB5_986:
	s_or_b64 exec, exec, s[22:23]
	v_mov_b32_e32 v3, 0
	global_load_dwordx2 v[0:1], v3, s[6:7] offset:16
	s_mov_b64 s[22:23], exec
	v_mbcnt_lo_u32_b32 v2, s22, 0
	v_mbcnt_hi_u32_b32 v2, s23, v2
	v_cmp_eq_u32_e32 vcc, 0, v2
	s_and_saveexec_b64 s[24:25], vcc
	s_cbranch_execz .LBB5_988
; %bb.987:
	s_bcnt1_i32_b64 s15, s[22:23]
	v_mov_b32_e32 v2, s15
	s_waitcnt vmcnt(0)
	global_atomic_add_x2 v[0:1], v[2:3], off offset:8
.LBB5_988:
	s_or_b64 exec, exec, s[24:25]
	s_waitcnt vmcnt(0)
	global_load_dwordx2 v[2:3], v[0:1], off offset:16
	s_waitcnt vmcnt(0)
	v_cmp_eq_u64_e32 vcc, 0, v[2:3]
	s_cbranch_vccnz .LBB5_990
; %bb.989:
	global_load_dword v0, v[0:1], off offset:24
	v_mov_b32_e32 v1, 0
	s_waitcnt vmcnt(0)
	global_store_dwordx2 v[2:3], v[0:1], off
	v_and_b32_e32 v0, 0xffffff, v0
	v_readfirstlane_b32 m0, v0
	s_sendmsg sendmsg(MSG_INTERRUPT)
.LBB5_990:
	s_or_b64 exec, exec, s[20:21]
	s_branch .LBB5_994
.LBB5_991:                              ;   in Loop: Header=BB5_994 Depth=1
	s_or_b64 exec, exec, s[20:21]
	v_readfirstlane_b32 s15, v0
	s_cmp_eq_u32 s15, 0
	s_cbranch_scc1 .LBB5_993
; %bb.992:                              ;   in Loop: Header=BB5_994 Depth=1
	s_sleep 1
	s_cbranch_execnz .LBB5_994
	s_branch .LBB5_996
.LBB5_993:
	s_branch .LBB5_996
.LBB5_994:                              ; =>This Inner Loop Header: Depth=1
	v_mov_b32_e32 v0, 1
	s_and_saveexec_b64 s[20:21], s[4:5]
	s_cbranch_execz .LBB5_991
; %bb.995:                              ;   in Loop: Header=BB5_994 Depth=1
	global_load_dword v0, v[10:11], off offset:20 glc
	s_waitcnt vmcnt(0)
	buffer_wbinvl1_vol
	v_and_b32_e32 v0, 1, v0
	s_branch .LBB5_991
.LBB5_996:
	s_and_saveexec_b64 s[20:21], s[4:5]
	s_cbranch_execz .LBB5_999
; %bb.997:
	v_mov_b32_e32 v6, 0
	global_load_dwordx2 v[2:3], v6, s[6:7] offset:40
	global_load_dwordx2 v[7:8], v6, s[6:7] offset:24 glc
	global_load_dwordx2 v[4:5], v6, s[6:7]
	v_mov_b32_e32 v1, s19
	s_mov_b64 s[4:5], 0
	s_waitcnt vmcnt(2)
	v_add_co_u32_e32 v9, vcc, 1, v2
	v_addc_co_u32_e32 v10, vcc, 0, v3, vcc
	v_add_co_u32_e32 v0, vcc, s18, v9
	v_addc_co_u32_e32 v1, vcc, v10, v1, vcc
	v_cmp_eq_u64_e32 vcc, 0, v[0:1]
	v_cndmask_b32_e32 v1, v1, v10, vcc
	v_cndmask_b32_e32 v0, v0, v9, vcc
	v_and_b32_e32 v3, v1, v3
	v_and_b32_e32 v2, v0, v2
	v_mul_lo_u32 v3, v3, 24
	v_mul_hi_u32 v9, v2, 24
	v_mul_lo_u32 v10, v2, 24
	s_waitcnt vmcnt(1)
	v_mov_b32_e32 v2, v7
	v_add_u32_e32 v3, v9, v3
	s_waitcnt vmcnt(0)
	v_add_co_u32_e32 v4, vcc, v4, v10
	v_addc_co_u32_e32 v5, vcc, v5, v3, vcc
	global_store_dwordx2 v[4:5], v[7:8], off
	v_mov_b32_e32 v3, v8
	s_waitcnt vmcnt(0)
	global_atomic_cmpswap_x2 v[2:3], v6, v[0:3], s[6:7] offset:24 glc
	s_waitcnt vmcnt(0)
	v_cmp_ne_u64_e32 vcc, v[2:3], v[7:8]
	s_and_b64 exec, exec, vcc
	s_cbranch_execz .LBB5_999
.LBB5_998:                              ; =>This Inner Loop Header: Depth=1
	s_sleep 1
	global_store_dwordx2 v[4:5], v[2:3], off
	s_waitcnt vmcnt(0)
	global_atomic_cmpswap_x2 v[7:8], v6, v[0:3], s[6:7] offset:24 glc
	s_waitcnt vmcnt(0)
	v_cmp_eq_u64_e32 vcc, v[7:8], v[2:3]
	v_mov_b32_e32 v2, v7
	s_or_b64 s[4:5], vcc, s[4:5]
	v_mov_b32_e32 v3, v8
	s_andn2_b64 exec, exec, s[4:5]
	s_cbranch_execnz .LBB5_998
.LBB5_999:
	s_or_b64 exec, exec, s[20:21]
	v_readfirstlane_b32 s4, v32
	v_mov_b32_e32 v5, 0
	v_mov_b32_e32 v6, 0
	v_cmp_eq_u32_e64 s[4:5], s4, v32
	s_and_saveexec_b64 s[18:19], s[4:5]
	s_cbranch_execz .LBB5_1005
; %bb.1000:
	v_mov_b32_e32 v0, 0
	global_load_dwordx2 v[3:4], v0, s[6:7] offset:24 glc
	s_waitcnt vmcnt(0)
	buffer_wbinvl1_vol
	global_load_dwordx2 v[1:2], v0, s[6:7] offset:40
	global_load_dwordx2 v[5:6], v0, s[6:7]
	s_waitcnt vmcnt(1)
	v_and_b32_e32 v1, v1, v3
	v_and_b32_e32 v2, v2, v4
	v_mul_lo_u32 v2, v2, 24
	v_mul_hi_u32 v7, v1, 24
	v_mul_lo_u32 v1, v1, 24
	v_add_u32_e32 v2, v7, v2
	s_waitcnt vmcnt(0)
	v_add_co_u32_e32 v1, vcc, v5, v1
	v_addc_co_u32_e32 v2, vcc, v6, v2, vcc
	global_load_dwordx2 v[1:2], v[1:2], off glc
	s_waitcnt vmcnt(0)
	global_atomic_cmpswap_x2 v[5:6], v0, v[1:4], s[6:7] offset:24 glc
	s_waitcnt vmcnt(0)
	buffer_wbinvl1_vol
	v_cmp_ne_u64_e32 vcc, v[5:6], v[3:4]
	s_and_saveexec_b64 s[20:21], vcc
	s_cbranch_execz .LBB5_1004
; %bb.1001:
	s_mov_b64 s[22:23], 0
.LBB5_1002:                             ; =>This Inner Loop Header: Depth=1
	s_sleep 1
	global_load_dwordx2 v[1:2], v0, s[6:7] offset:40
	global_load_dwordx2 v[7:8], v0, s[6:7]
	v_mov_b32_e32 v3, v5
	v_mov_b32_e32 v4, v6
	s_waitcnt vmcnt(1)
	v_and_b32_e32 v1, v1, v3
	s_waitcnt vmcnt(0)
	v_mad_u64_u32 v[5:6], s[24:25], v1, 24, v[7:8]
	v_and_b32_e32 v2, v2, v4
	v_mov_b32_e32 v1, v6
	v_mad_u64_u32 v[1:2], s[24:25], v2, 24, v[1:2]
	v_mov_b32_e32 v6, v1
	global_load_dwordx2 v[1:2], v[5:6], off glc
	s_waitcnt vmcnt(0)
	global_atomic_cmpswap_x2 v[5:6], v0, v[1:4], s[6:7] offset:24 glc
	s_waitcnt vmcnt(0)
	buffer_wbinvl1_vol
	v_cmp_eq_u64_e32 vcc, v[5:6], v[3:4]
	s_or_b64 s[22:23], vcc, s[22:23]
	s_andn2_b64 exec, exec, s[22:23]
	s_cbranch_execnz .LBB5_1002
; %bb.1003:
	s_or_b64 exec, exec, s[22:23]
.LBB5_1004:
	s_or_b64 exec, exec, s[20:21]
.LBB5_1005:
	s_or_b64 exec, exec, s[18:19]
	v_mov_b32_e32 v4, 0
	global_load_dwordx2 v[7:8], v4, s[6:7] offset:40
	global_load_dwordx4 v[0:3], v4, s[6:7]
	v_readfirstlane_b32 s18, v5
	v_readfirstlane_b32 s19, v6
	s_mov_b64 s[20:21], exec
	s_waitcnt vmcnt(1)
	v_readfirstlane_b32 s22, v7
	v_readfirstlane_b32 s23, v8
	s_and_b64 s[22:23], s[18:19], s[22:23]
	s_mul_i32 s15, s23, 24
	s_mul_hi_u32 s24, s22, 24
	s_mul_i32 s25, s22, 24
	s_add_i32 s15, s24, s15
	v_mov_b32_e32 v5, s15
	s_waitcnt vmcnt(0)
	v_add_co_u32_e32 v7, vcc, s25, v0
	v_addc_co_u32_e32 v8, vcc, v1, v5, vcc
	s_and_saveexec_b64 s[24:25], s[4:5]
	s_cbranch_execz .LBB5_1007
; %bb.1006:
	v_mov_b32_e32 v9, s20
	v_mov_b32_e32 v10, s21
	;; [unrolled: 1-line block ×4, first 2 shown]
	global_store_dwordx4 v[7:8], v[9:12], off offset:8
.LBB5_1007:
	s_or_b64 exec, exec, s[24:25]
	s_lshl_b64 s[20:21], s[22:23], 12
	v_mov_b32_e32 v5, s21
	v_add_co_u32_e32 v2, vcc, s20, v2
	v_addc_co_u32_e32 v11, vcc, v3, v5, vcc
	s_mov_b32 s20, 0
	v_mov_b32_e32 v3, 33
	v_mov_b32_e32 v5, v4
	v_mov_b32_e32 v6, v4
	v_readfirstlane_b32 s24, v2
	v_readfirstlane_b32 s25, v11
	v_add_co_u32_e32 v9, vcc, v2, v31
	s_mov_b32 s21, s20
	s_mov_b32 s22, s20
	;; [unrolled: 1-line block ×3, first 2 shown]
	s_nop 0
	global_store_dwordx4 v31, v[3:6], s[24:25]
	v_mov_b32_e32 v2, s20
	v_addc_co_u32_e32 v10, vcc, 0, v11, vcc
	v_mov_b32_e32 v3, s21
	v_mov_b32_e32 v4, s22
	;; [unrolled: 1-line block ×3, first 2 shown]
	global_store_dwordx4 v31, v[2:5], s[24:25] offset:16
	global_store_dwordx4 v31, v[2:5], s[24:25] offset:32
	;; [unrolled: 1-line block ×3, first 2 shown]
	s_and_saveexec_b64 s[20:21], s[4:5]
	s_cbranch_execz .LBB5_1015
; %bb.1008:
	v_mov_b32_e32 v6, 0
	global_load_dwordx2 v[13:14], v6, s[6:7] offset:32 glc
	global_load_dwordx2 v[2:3], v6, s[6:7] offset:40
	v_mov_b32_e32 v11, s18
	v_mov_b32_e32 v12, s19
	s_waitcnt vmcnt(0)
	v_readfirstlane_b32 s22, v2
	v_readfirstlane_b32 s23, v3
	s_and_b64 s[22:23], s[22:23], s[18:19]
	s_mul_i32 s15, s23, 24
	s_mul_hi_u32 s23, s22, 24
	s_mul_i32 s22, s22, 24
	s_add_i32 s15, s23, s15
	v_mov_b32_e32 v2, s15
	v_add_co_u32_e32 v4, vcc, s22, v0
	v_addc_co_u32_e32 v5, vcc, v1, v2, vcc
	global_store_dwordx2 v[4:5], v[13:14], off
	s_waitcnt vmcnt(0)
	global_atomic_cmpswap_x2 v[2:3], v6, v[11:14], s[6:7] offset:32 glc
	s_waitcnt vmcnt(0)
	v_cmp_ne_u64_e32 vcc, v[2:3], v[13:14]
	s_and_saveexec_b64 s[22:23], vcc
	s_cbranch_execz .LBB5_1011
; %bb.1009:
	s_mov_b64 s[24:25], 0
.LBB5_1010:                             ; =>This Inner Loop Header: Depth=1
	s_sleep 1
	global_store_dwordx2 v[4:5], v[2:3], off
	v_mov_b32_e32 v0, s18
	v_mov_b32_e32 v1, s19
	s_waitcnt vmcnt(0)
	global_atomic_cmpswap_x2 v[0:1], v6, v[0:3], s[6:7] offset:32 glc
	s_waitcnt vmcnt(0)
	v_cmp_eq_u64_e32 vcc, v[0:1], v[2:3]
	v_mov_b32_e32 v3, v1
	s_or_b64 s[24:25], vcc, s[24:25]
	v_mov_b32_e32 v2, v0
	s_andn2_b64 exec, exec, s[24:25]
	s_cbranch_execnz .LBB5_1010
.LBB5_1011:
	s_or_b64 exec, exec, s[22:23]
	v_mov_b32_e32 v3, 0
	global_load_dwordx2 v[0:1], v3, s[6:7] offset:16
	s_mov_b64 s[22:23], exec
	v_mbcnt_lo_u32_b32 v2, s22, 0
	v_mbcnt_hi_u32_b32 v2, s23, v2
	v_cmp_eq_u32_e32 vcc, 0, v2
	s_and_saveexec_b64 s[24:25], vcc
	s_cbranch_execz .LBB5_1013
; %bb.1012:
	s_bcnt1_i32_b64 s15, s[22:23]
	v_mov_b32_e32 v2, s15
	s_waitcnt vmcnt(0)
	global_atomic_add_x2 v[0:1], v[2:3], off offset:8
.LBB5_1013:
	s_or_b64 exec, exec, s[24:25]
	s_waitcnt vmcnt(0)
	global_load_dwordx2 v[2:3], v[0:1], off offset:16
	s_waitcnt vmcnt(0)
	v_cmp_eq_u64_e32 vcc, 0, v[2:3]
	s_cbranch_vccnz .LBB5_1015
; %bb.1014:
	global_load_dword v0, v[0:1], off offset:24
	v_mov_b32_e32 v1, 0
	s_waitcnt vmcnt(0)
	global_store_dwordx2 v[2:3], v[0:1], off
	v_and_b32_e32 v0, 0xffffff, v0
	v_readfirstlane_b32 m0, v0
	s_sendmsg sendmsg(MSG_INTERRUPT)
.LBB5_1015:
	s_or_b64 exec, exec, s[20:21]
	s_branch .LBB5_1019
.LBB5_1016:                             ;   in Loop: Header=BB5_1019 Depth=1
	s_or_b64 exec, exec, s[20:21]
	v_readfirstlane_b32 s15, v0
	s_cmp_eq_u32 s15, 0
	s_cbranch_scc1 .LBB5_1018
; %bb.1017:                             ;   in Loop: Header=BB5_1019 Depth=1
	s_sleep 1
	s_cbranch_execnz .LBB5_1019
	s_branch .LBB5_1021
.LBB5_1018:
	s_branch .LBB5_1021
.LBB5_1019:                             ; =>This Inner Loop Header: Depth=1
	v_mov_b32_e32 v0, 1
	s_and_saveexec_b64 s[20:21], s[4:5]
	s_cbranch_execz .LBB5_1016
; %bb.1020:                             ;   in Loop: Header=BB5_1019 Depth=1
	global_load_dword v0, v[7:8], off offset:20 glc
	s_waitcnt vmcnt(0)
	buffer_wbinvl1_vol
	v_and_b32_e32 v0, 1, v0
	s_branch .LBB5_1016
.LBB5_1021:
	global_load_dwordx2 v[0:1], v[9:10], off
	s_and_saveexec_b64 s[20:21], s[4:5]
	s_cbranch_execz .LBB5_1024
; %bb.1022:
	v_mov_b32_e32 v8, 0
	global_load_dwordx2 v[4:5], v8, s[6:7] offset:40
	global_load_dwordx2 v[9:10], v8, s[6:7] offset:24 glc
	global_load_dwordx2 v[6:7], v8, s[6:7]
	v_mov_b32_e32 v3, s19
	s_mov_b64 s[4:5], 0
	s_waitcnt vmcnt(2)
	v_add_co_u32_e32 v11, vcc, 1, v4
	v_addc_co_u32_e32 v12, vcc, 0, v5, vcc
	v_add_co_u32_e32 v2, vcc, s18, v11
	v_addc_co_u32_e32 v3, vcc, v12, v3, vcc
	v_cmp_eq_u64_e32 vcc, 0, v[2:3]
	v_cndmask_b32_e32 v3, v3, v12, vcc
	v_cndmask_b32_e32 v2, v2, v11, vcc
	v_and_b32_e32 v5, v3, v5
	v_and_b32_e32 v4, v2, v4
	v_mul_lo_u32 v5, v5, 24
	v_mul_hi_u32 v11, v4, 24
	v_mul_lo_u32 v12, v4, 24
	s_waitcnt vmcnt(1)
	v_mov_b32_e32 v4, v9
	v_add_u32_e32 v5, v11, v5
	s_waitcnt vmcnt(0)
	v_add_co_u32_e32 v6, vcc, v6, v12
	v_addc_co_u32_e32 v7, vcc, v7, v5, vcc
	global_store_dwordx2 v[6:7], v[9:10], off
	v_mov_b32_e32 v5, v10
	s_waitcnt vmcnt(0)
	global_atomic_cmpswap_x2 v[4:5], v8, v[2:5], s[6:7] offset:24 glc
	s_waitcnt vmcnt(0)
	v_cmp_ne_u64_e32 vcc, v[4:5], v[9:10]
	s_and_b64 exec, exec, vcc
	s_cbranch_execz .LBB5_1024
.LBB5_1023:                             ; =>This Inner Loop Header: Depth=1
	s_sleep 1
	global_store_dwordx2 v[6:7], v[4:5], off
	s_waitcnt vmcnt(0)
	global_atomic_cmpswap_x2 v[9:10], v8, v[2:5], s[6:7] offset:24 glc
	s_waitcnt vmcnt(0)
	v_cmp_eq_u64_e32 vcc, v[9:10], v[4:5]
	v_mov_b32_e32 v4, v9
	s_or_b64 s[4:5], vcc, s[4:5]
	v_mov_b32_e32 v5, v10
	s_andn2_b64 exec, exec, s[4:5]
	s_cbranch_execnz .LBB5_1023
.LBB5_1024:
	s_or_b64 exec, exec, s[20:21]
	s_and_b64 vcc, exec, s[16:17]
	s_cbranch_vccz .LBB5_1109
; %bb.1025:
	s_waitcnt vmcnt(0)
	v_and_b32_e32 v33, 2, v0
	v_mov_b32_e32 v28, 0
	v_and_b32_e32 v2, -3, v0
	v_mov_b32_e32 v3, v1
	s_mov_b64 s[20:21], 3
	v_mov_b32_e32 v6, 2
	v_mov_b32_e32 v7, 1
	s_getpc_b64 s[18:19]
	s_add_u32 s18, s18, .str.6@rel32@lo+4
	s_addc_u32 s19, s19, .str.6@rel32@hi+12
	s_branch .LBB5_1027
.LBB5_1026:                             ;   in Loop: Header=BB5_1027 Depth=1
	s_or_b64 exec, exec, s[26:27]
	s_sub_u32 s20, s20, s22
	s_subb_u32 s21, s21, s23
	s_add_u32 s18, s18, s22
	s_addc_u32 s19, s19, s23
	s_cmp_lg_u64 s[20:21], 0
	s_cbranch_scc0 .LBB5_1108
.LBB5_1027:                             ; =>This Loop Header: Depth=1
                                        ;     Child Loop BB5_1030 Depth 2
                                        ;     Child Loop BB5_1037 Depth 2
	;; [unrolled: 1-line block ×11, first 2 shown]
	v_cmp_lt_u64_e64 s[4:5], s[20:21], 56
	v_cmp_gt_u64_e64 s[24:25], s[20:21], 7
	s_and_b64 s[4:5], s[4:5], exec
	s_cselect_b32 s23, s21, 0
	s_cselect_b32 s22, s20, 56
	s_and_b64 vcc, exec, s[24:25]
	s_cbranch_vccnz .LBB5_1032
; %bb.1028:                             ;   in Loop: Header=BB5_1027 Depth=1
	v_mov_b32_e32 v10, 0
	s_cmp_eq_u64 s[20:21], 0
	v_mov_b32_e32 v11, 0
	s_mov_b64 s[4:5], 0
	s_cbranch_scc1 .LBB5_1031
; %bb.1029:                             ;   in Loop: Header=BB5_1027 Depth=1
	v_mov_b32_e32 v10, 0
	s_lshl_b64 s[24:25], s[22:23], 3
	s_mov_b64 s[26:27], 0
	v_mov_b32_e32 v11, 0
	s_mov_b64 s[28:29], s[18:19]
.LBB5_1030:                             ;   Parent Loop BB5_1027 Depth=1
                                        ; =>  This Inner Loop Header: Depth=2
	global_load_ubyte v4, v28, s[28:29]
	s_waitcnt vmcnt(0)
	v_and_b32_e32 v27, 0xffff, v4
	v_lshlrev_b64 v[4:5], s26, v[27:28]
	s_add_u32 s26, s26, 8
	s_addc_u32 s27, s27, 0
	s_add_u32 s28, s28, 1
	s_addc_u32 s29, s29, 0
	v_or_b32_e32 v10, v4, v10
	s_cmp_lg_u32 s24, s26
	v_or_b32_e32 v11, v5, v11
	s_cbranch_scc1 .LBB5_1030
.LBB5_1031:                             ;   in Loop: Header=BB5_1027 Depth=1
	s_mov_b32 s15, 0
	s_andn2_b64 vcc, exec, s[4:5]
	s_mov_b64 s[4:5], s[18:19]
	s_cbranch_vccz .LBB5_1033
	s_branch .LBB5_1034
.LBB5_1032:                             ;   in Loop: Header=BB5_1027 Depth=1
                                        ; implicit-def: $vgpr10_vgpr11
                                        ; implicit-def: $sgpr15
	s_mov_b64 s[4:5], s[18:19]
.LBB5_1033:                             ;   in Loop: Header=BB5_1027 Depth=1
	global_load_dwordx2 v[10:11], v28, s[18:19]
	s_add_i32 s15, s22, -8
	s_add_u32 s4, s18, 8
	s_addc_u32 s5, s19, 0
.LBB5_1034:                             ;   in Loop: Header=BB5_1027 Depth=1
	s_cmp_gt_u32 s15, 7
	s_cbranch_scc1 .LBB5_1038
; %bb.1035:                             ;   in Loop: Header=BB5_1027 Depth=1
	s_cmp_eq_u32 s15, 0
	s_cbranch_scc1 .LBB5_1039
; %bb.1036:                             ;   in Loop: Header=BB5_1027 Depth=1
	v_mov_b32_e32 v12, 0
	s_mov_b64 s[24:25], 0
	v_mov_b32_e32 v13, 0
	s_mov_b64 s[26:27], 0
.LBB5_1037:                             ;   Parent Loop BB5_1027 Depth=1
                                        ; =>  This Inner Loop Header: Depth=2
	s_add_u32 s28, s4, s26
	s_addc_u32 s29, s5, s27
	global_load_ubyte v4, v28, s[28:29]
	s_add_u32 s26, s26, 1
	s_addc_u32 s27, s27, 0
	s_waitcnt vmcnt(0)
	v_and_b32_e32 v27, 0xffff, v4
	v_lshlrev_b64 v[4:5], s24, v[27:28]
	s_add_u32 s24, s24, 8
	s_addc_u32 s25, s25, 0
	v_or_b32_e32 v12, v4, v12
	s_cmp_lg_u32 s15, s26
	v_or_b32_e32 v13, v5, v13
	s_cbranch_scc1 .LBB5_1037
	s_branch .LBB5_1040
.LBB5_1038:                             ;   in Loop: Header=BB5_1027 Depth=1
                                        ; implicit-def: $vgpr12_vgpr13
                                        ; implicit-def: $sgpr28
	s_branch .LBB5_1041
.LBB5_1039:                             ;   in Loop: Header=BB5_1027 Depth=1
	v_mov_b32_e32 v12, 0
	v_mov_b32_e32 v13, 0
.LBB5_1040:                             ;   in Loop: Header=BB5_1027 Depth=1
	s_mov_b32 s28, 0
	s_cbranch_execnz .LBB5_1042
.LBB5_1041:                             ;   in Loop: Header=BB5_1027 Depth=1
	global_load_dwordx2 v[12:13], v28, s[4:5]
	s_add_i32 s28, s15, -8
	s_add_u32 s4, s4, 8
	s_addc_u32 s5, s5, 0
.LBB5_1042:                             ;   in Loop: Header=BB5_1027 Depth=1
	s_cmp_gt_u32 s28, 7
	s_cbranch_scc1 .LBB5_1046
; %bb.1043:                             ;   in Loop: Header=BB5_1027 Depth=1
	s_cmp_eq_u32 s28, 0
	s_cbranch_scc1 .LBB5_1047
; %bb.1044:                             ;   in Loop: Header=BB5_1027 Depth=1
	v_mov_b32_e32 v14, 0
	s_mov_b64 s[24:25], 0
	v_mov_b32_e32 v15, 0
	s_mov_b64 s[26:27], 0
.LBB5_1045:                             ;   Parent Loop BB5_1027 Depth=1
                                        ; =>  This Inner Loop Header: Depth=2
	s_add_u32 vcc_lo, s4, s26
	s_addc_u32 vcc_hi, s5, s27
	global_load_ubyte v4, v28, vcc
	s_add_u32 s26, s26, 1
	s_addc_u32 s27, s27, 0
	s_waitcnt vmcnt(0)
	v_and_b32_e32 v27, 0xffff, v4
	v_lshlrev_b64 v[4:5], s24, v[27:28]
	s_add_u32 s24, s24, 8
	s_addc_u32 s25, s25, 0
	v_or_b32_e32 v14, v4, v14
	s_cmp_lg_u32 s28, s26
	v_or_b32_e32 v15, v5, v15
	s_cbranch_scc1 .LBB5_1045
	s_branch .LBB5_1048
.LBB5_1046:                             ;   in Loop: Header=BB5_1027 Depth=1
                                        ; implicit-def: $sgpr15
	s_branch .LBB5_1049
.LBB5_1047:                             ;   in Loop: Header=BB5_1027 Depth=1
	v_mov_b32_e32 v14, 0
	v_mov_b32_e32 v15, 0
.LBB5_1048:                             ;   in Loop: Header=BB5_1027 Depth=1
	s_mov_b32 s15, 0
	s_cbranch_execnz .LBB5_1050
.LBB5_1049:                             ;   in Loop: Header=BB5_1027 Depth=1
	global_load_dwordx2 v[14:15], v28, s[4:5]
	s_add_i32 s15, s28, -8
	s_add_u32 s4, s4, 8
	s_addc_u32 s5, s5, 0
.LBB5_1050:                             ;   in Loop: Header=BB5_1027 Depth=1
	s_cmp_gt_u32 s15, 7
	s_cbranch_scc1 .LBB5_1054
; %bb.1051:                             ;   in Loop: Header=BB5_1027 Depth=1
	s_cmp_eq_u32 s15, 0
	s_cbranch_scc1 .LBB5_1055
; %bb.1052:                             ;   in Loop: Header=BB5_1027 Depth=1
	v_mov_b32_e32 v16, 0
	s_mov_b64 s[24:25], 0
	v_mov_b32_e32 v17, 0
	s_mov_b64 s[26:27], 0
.LBB5_1053:                             ;   Parent Loop BB5_1027 Depth=1
                                        ; =>  This Inner Loop Header: Depth=2
	s_add_u32 s28, s4, s26
	s_addc_u32 s29, s5, s27
	global_load_ubyte v4, v28, s[28:29]
	s_add_u32 s26, s26, 1
	s_addc_u32 s27, s27, 0
	s_waitcnt vmcnt(0)
	v_and_b32_e32 v27, 0xffff, v4
	v_lshlrev_b64 v[4:5], s24, v[27:28]
	s_add_u32 s24, s24, 8
	s_addc_u32 s25, s25, 0
	v_or_b32_e32 v16, v4, v16
	s_cmp_lg_u32 s15, s26
	v_or_b32_e32 v17, v5, v17
	s_cbranch_scc1 .LBB5_1053
	s_branch .LBB5_1056
.LBB5_1054:                             ;   in Loop: Header=BB5_1027 Depth=1
                                        ; implicit-def: $vgpr16_vgpr17
                                        ; implicit-def: $sgpr28
	s_branch .LBB5_1057
.LBB5_1055:                             ;   in Loop: Header=BB5_1027 Depth=1
	v_mov_b32_e32 v16, 0
	v_mov_b32_e32 v17, 0
.LBB5_1056:                             ;   in Loop: Header=BB5_1027 Depth=1
	s_mov_b32 s28, 0
	s_cbranch_execnz .LBB5_1058
.LBB5_1057:                             ;   in Loop: Header=BB5_1027 Depth=1
	global_load_dwordx2 v[16:17], v28, s[4:5]
	s_add_i32 s28, s15, -8
	s_add_u32 s4, s4, 8
	s_addc_u32 s5, s5, 0
.LBB5_1058:                             ;   in Loop: Header=BB5_1027 Depth=1
	s_cmp_gt_u32 s28, 7
	s_cbranch_scc1 .LBB5_1062
; %bb.1059:                             ;   in Loop: Header=BB5_1027 Depth=1
	s_cmp_eq_u32 s28, 0
	s_cbranch_scc1 .LBB5_1063
; %bb.1060:                             ;   in Loop: Header=BB5_1027 Depth=1
	v_mov_b32_e32 v18, 0
	s_mov_b64 s[24:25], 0
	v_mov_b32_e32 v19, 0
	s_mov_b64 s[26:27], 0
.LBB5_1061:                             ;   Parent Loop BB5_1027 Depth=1
                                        ; =>  This Inner Loop Header: Depth=2
	s_add_u32 vcc_lo, s4, s26
	s_addc_u32 vcc_hi, s5, s27
	global_load_ubyte v4, v28, vcc
	s_add_u32 s26, s26, 1
	s_addc_u32 s27, s27, 0
	s_waitcnt vmcnt(0)
	v_and_b32_e32 v27, 0xffff, v4
	v_lshlrev_b64 v[4:5], s24, v[27:28]
	s_add_u32 s24, s24, 8
	s_addc_u32 s25, s25, 0
	v_or_b32_e32 v18, v4, v18
	s_cmp_lg_u32 s28, s26
	v_or_b32_e32 v19, v5, v19
	s_cbranch_scc1 .LBB5_1061
	s_branch .LBB5_1064
.LBB5_1062:                             ;   in Loop: Header=BB5_1027 Depth=1
                                        ; implicit-def: $sgpr15
	s_branch .LBB5_1065
.LBB5_1063:                             ;   in Loop: Header=BB5_1027 Depth=1
	v_mov_b32_e32 v18, 0
	v_mov_b32_e32 v19, 0
.LBB5_1064:                             ;   in Loop: Header=BB5_1027 Depth=1
	s_mov_b32 s15, 0
	s_cbranch_execnz .LBB5_1066
.LBB5_1065:                             ;   in Loop: Header=BB5_1027 Depth=1
	global_load_dwordx2 v[18:19], v28, s[4:5]
	s_add_i32 s15, s28, -8
	s_add_u32 s4, s4, 8
	s_addc_u32 s5, s5, 0
.LBB5_1066:                             ;   in Loop: Header=BB5_1027 Depth=1
	s_cmp_gt_u32 s15, 7
	s_cbranch_scc1 .LBB5_1070
; %bb.1067:                             ;   in Loop: Header=BB5_1027 Depth=1
	s_cmp_eq_u32 s15, 0
	s_cbranch_scc1 .LBB5_1071
; %bb.1068:                             ;   in Loop: Header=BB5_1027 Depth=1
	v_mov_b32_e32 v20, 0
	s_mov_b64 s[24:25], 0
	v_mov_b32_e32 v21, 0
	s_mov_b64 s[26:27], 0
.LBB5_1069:                             ;   Parent Loop BB5_1027 Depth=1
                                        ; =>  This Inner Loop Header: Depth=2
	s_add_u32 s28, s4, s26
	s_addc_u32 s29, s5, s27
	global_load_ubyte v4, v28, s[28:29]
	s_add_u32 s26, s26, 1
	s_addc_u32 s27, s27, 0
	s_waitcnt vmcnt(0)
	v_and_b32_e32 v27, 0xffff, v4
	v_lshlrev_b64 v[4:5], s24, v[27:28]
	s_add_u32 s24, s24, 8
	s_addc_u32 s25, s25, 0
	v_or_b32_e32 v20, v4, v20
	s_cmp_lg_u32 s15, s26
	v_or_b32_e32 v21, v5, v21
	s_cbranch_scc1 .LBB5_1069
	s_branch .LBB5_1072
.LBB5_1070:                             ;   in Loop: Header=BB5_1027 Depth=1
                                        ; implicit-def: $vgpr20_vgpr21
                                        ; implicit-def: $sgpr28
	s_branch .LBB5_1073
.LBB5_1071:                             ;   in Loop: Header=BB5_1027 Depth=1
	v_mov_b32_e32 v20, 0
	v_mov_b32_e32 v21, 0
.LBB5_1072:                             ;   in Loop: Header=BB5_1027 Depth=1
	s_mov_b32 s28, 0
	s_cbranch_execnz .LBB5_1074
.LBB5_1073:                             ;   in Loop: Header=BB5_1027 Depth=1
	global_load_dwordx2 v[20:21], v28, s[4:5]
	s_add_i32 s28, s15, -8
	s_add_u32 s4, s4, 8
	s_addc_u32 s5, s5, 0
.LBB5_1074:                             ;   in Loop: Header=BB5_1027 Depth=1
	s_cmp_gt_u32 s28, 7
	s_cbranch_scc1 .LBB5_1078
; %bb.1075:                             ;   in Loop: Header=BB5_1027 Depth=1
	s_cmp_eq_u32 s28, 0
	s_cbranch_scc1 .LBB5_1079
; %bb.1076:                             ;   in Loop: Header=BB5_1027 Depth=1
	v_mov_b32_e32 v22, 0
	s_mov_b64 s[24:25], 0
	v_mov_b32_e32 v23, 0
	s_mov_b64 s[26:27], s[4:5]
.LBB5_1077:                             ;   Parent Loop BB5_1027 Depth=1
                                        ; =>  This Inner Loop Header: Depth=2
	global_load_ubyte v4, v28, s[26:27]
	s_add_i32 s28, s28, -1
	s_waitcnt vmcnt(0)
	v_and_b32_e32 v27, 0xffff, v4
	v_lshlrev_b64 v[4:5], s24, v[27:28]
	s_add_u32 s24, s24, 8
	s_addc_u32 s25, s25, 0
	s_add_u32 s26, s26, 1
	s_addc_u32 s27, s27, 0
	v_or_b32_e32 v22, v4, v22
	s_cmp_lg_u32 s28, 0
	v_or_b32_e32 v23, v5, v23
	s_cbranch_scc1 .LBB5_1077
	s_branch .LBB5_1080
.LBB5_1078:                             ;   in Loop: Header=BB5_1027 Depth=1
	s_branch .LBB5_1081
.LBB5_1079:                             ;   in Loop: Header=BB5_1027 Depth=1
	v_mov_b32_e32 v22, 0
	v_mov_b32_e32 v23, 0
.LBB5_1080:                             ;   in Loop: Header=BB5_1027 Depth=1
	s_cbranch_execnz .LBB5_1082
.LBB5_1081:                             ;   in Loop: Header=BB5_1027 Depth=1
	global_load_dwordx2 v[22:23], v28, s[4:5]
.LBB5_1082:                             ;   in Loop: Header=BB5_1027 Depth=1
	v_readfirstlane_b32 s4, v32
	s_waitcnt vmcnt(0)
	v_mov_b32_e32 v4, 0
	v_mov_b32_e32 v5, 0
	v_cmp_eq_u32_e64 s[4:5], s4, v32
	s_and_saveexec_b64 s[24:25], s[4:5]
	s_cbranch_execz .LBB5_1088
; %bb.1083:                             ;   in Loop: Header=BB5_1027 Depth=1
	global_load_dwordx2 v[26:27], v28, s[6:7] offset:24 glc
	s_waitcnt vmcnt(0)
	buffer_wbinvl1_vol
	global_load_dwordx2 v[4:5], v28, s[6:7] offset:40
	global_load_dwordx2 v[8:9], v28, s[6:7]
	s_waitcnt vmcnt(1)
	v_and_b32_e32 v4, v4, v26
	v_and_b32_e32 v5, v5, v27
	v_mul_lo_u32 v5, v5, 24
	v_mul_hi_u32 v24, v4, 24
	v_mul_lo_u32 v4, v4, 24
	v_add_u32_e32 v5, v24, v5
	s_waitcnt vmcnt(0)
	v_add_co_u32_e32 v4, vcc, v8, v4
	v_addc_co_u32_e32 v5, vcc, v9, v5, vcc
	global_load_dwordx2 v[24:25], v[4:5], off glc
	s_waitcnt vmcnt(0)
	global_atomic_cmpswap_x2 v[4:5], v28, v[24:27], s[6:7] offset:24 glc
	s_waitcnt vmcnt(0)
	buffer_wbinvl1_vol
	v_cmp_ne_u64_e32 vcc, v[4:5], v[26:27]
	s_and_saveexec_b64 s[26:27], vcc
	s_cbranch_execz .LBB5_1087
; %bb.1084:                             ;   in Loop: Header=BB5_1027 Depth=1
	s_mov_b64 s[28:29], 0
.LBB5_1085:                             ;   Parent Loop BB5_1027 Depth=1
                                        ; =>  This Inner Loop Header: Depth=2
	s_sleep 1
	global_load_dwordx2 v[8:9], v28, s[6:7] offset:40
	global_load_dwordx2 v[24:25], v28, s[6:7]
	v_mov_b32_e32 v27, v5
	v_mov_b32_e32 v26, v4
	s_waitcnt vmcnt(1)
	v_and_b32_e32 v4, v8, v26
	s_waitcnt vmcnt(0)
	v_mad_u64_u32 v[4:5], vcc, v4, 24, v[24:25]
	v_and_b32_e32 v8, v9, v27
	v_mad_u64_u32 v[8:9], vcc, v8, 24, v[5:6]
	v_mov_b32_e32 v5, v8
	global_load_dwordx2 v[24:25], v[4:5], off glc
	s_waitcnt vmcnt(0)
	global_atomic_cmpswap_x2 v[4:5], v28, v[24:27], s[6:7] offset:24 glc
	s_waitcnt vmcnt(0)
	buffer_wbinvl1_vol
	v_cmp_eq_u64_e32 vcc, v[4:5], v[26:27]
	s_or_b64 s[28:29], vcc, s[28:29]
	s_andn2_b64 exec, exec, s[28:29]
	s_cbranch_execnz .LBB5_1085
; %bb.1086:                             ;   in Loop: Header=BB5_1027 Depth=1
	s_or_b64 exec, exec, s[28:29]
.LBB5_1087:                             ;   in Loop: Header=BB5_1027 Depth=1
	s_or_b64 exec, exec, s[26:27]
.LBB5_1088:                             ;   in Loop: Header=BB5_1027 Depth=1
	s_or_b64 exec, exec, s[24:25]
	global_load_dwordx2 v[8:9], v28, s[6:7] offset:40
	global_load_dwordx4 v[24:27], v28, s[6:7]
	v_readfirstlane_b32 s24, v4
	v_readfirstlane_b32 s25, v5
	s_mov_b64 s[26:27], exec
	s_waitcnt vmcnt(1)
	v_readfirstlane_b32 s28, v8
	v_readfirstlane_b32 s29, v9
	s_and_b64 s[28:29], s[24:25], s[28:29]
	s_mul_i32 s15, s29, 24
	s_mul_hi_u32 vcc_lo, s28, 24
	s_mul_i32 vcc_hi, s28, 24
	s_add_i32 s15, vcc_lo, s15
	v_mov_b32_e32 v4, s15
	s_waitcnt vmcnt(0)
	v_add_co_u32_e32 v29, vcc, vcc_hi, v24
	v_addc_co_u32_e32 v30, vcc, v25, v4, vcc
	s_and_saveexec_b64 vcc, s[4:5]
	s_cbranch_execz .LBB5_1090
; %bb.1089:                             ;   in Loop: Header=BB5_1027 Depth=1
	v_mov_b32_e32 v4, s26
	v_mov_b32_e32 v5, s27
	global_store_dwordx4 v[29:30], v[4:7], off offset:8
.LBB5_1090:                             ;   in Loop: Header=BB5_1027 Depth=1
	s_or_b64 exec, exec, vcc
	s_lshl_b64 s[26:27], s[28:29], 12
	v_mov_b32_e32 v4, s27
	v_add_co_u32_e32 v26, vcc, s26, v26
	v_addc_co_u32_e32 v34, vcc, v27, v4, vcc
	v_cmp_gt_u64_e64 vcc, s[20:21], 56
	v_or_b32_e32 v5, v2, v33
	s_lshl_b32 s15, s22, 2
	v_cndmask_b32_e32 v2, v5, v2, vcc
	s_add_i32 s15, s15, 28
	v_or_b32_e32 v4, 0, v3
	s_and_b32 s15, s15, 0x1e0
	v_and_b32_e32 v2, 0xffffff1f, v2
	v_cndmask_b32_e32 v9, v4, v3, vcc
	v_or_b32_e32 v8, s15, v2
	v_readfirstlane_b32 s26, v26
	v_readfirstlane_b32 s27, v34
	s_nop 4
	global_store_dwordx4 v31, v[8:11], s[26:27]
	global_store_dwordx4 v31, v[12:15], s[26:27] offset:16
	global_store_dwordx4 v31, v[16:19], s[26:27] offset:32
	;; [unrolled: 1-line block ×3, first 2 shown]
	s_and_saveexec_b64 s[26:27], s[4:5]
	s_cbranch_execz .LBB5_1098
; %bb.1091:                             ;   in Loop: Header=BB5_1027 Depth=1
	global_load_dwordx2 v[12:13], v28, s[6:7] offset:32 glc
	global_load_dwordx2 v[2:3], v28, s[6:7] offset:40
	v_mov_b32_e32 v10, s24
	v_mov_b32_e32 v11, s25
	s_waitcnt vmcnt(0)
	v_readfirstlane_b32 s28, v2
	v_readfirstlane_b32 s29, v3
	s_and_b64 s[28:29], s[28:29], s[24:25]
	s_mul_i32 s15, s29, 24
	s_mul_hi_u32 s29, s28, 24
	s_mul_i32 s28, s28, 24
	s_add_i32 s15, s29, s15
	v_mov_b32_e32 v2, s15
	v_add_co_u32_e32 v8, vcc, s28, v24
	v_addc_co_u32_e32 v9, vcc, v25, v2, vcc
	global_store_dwordx2 v[8:9], v[12:13], off
	s_waitcnt vmcnt(0)
	global_atomic_cmpswap_x2 v[4:5], v28, v[10:13], s[6:7] offset:32 glc
	s_waitcnt vmcnt(0)
	v_cmp_ne_u64_e32 vcc, v[4:5], v[12:13]
	s_and_saveexec_b64 s[28:29], vcc
	s_cbranch_execz .LBB5_1094
; %bb.1092:                             ;   in Loop: Header=BB5_1027 Depth=1
	s_mov_b64 s[30:31], 0
.LBB5_1093:                             ;   Parent Loop BB5_1027 Depth=1
                                        ; =>  This Inner Loop Header: Depth=2
	s_sleep 1
	global_store_dwordx2 v[8:9], v[4:5], off
	v_mov_b32_e32 v2, s24
	v_mov_b32_e32 v3, s25
	s_waitcnt vmcnt(0)
	global_atomic_cmpswap_x2 v[2:3], v28, v[2:5], s[6:7] offset:32 glc
	s_waitcnt vmcnt(0)
	v_cmp_eq_u64_e32 vcc, v[2:3], v[4:5]
	v_mov_b32_e32 v5, v3
	s_or_b64 s[30:31], vcc, s[30:31]
	v_mov_b32_e32 v4, v2
	s_andn2_b64 exec, exec, s[30:31]
	s_cbranch_execnz .LBB5_1093
.LBB5_1094:                             ;   in Loop: Header=BB5_1027 Depth=1
	s_or_b64 exec, exec, s[28:29]
	global_load_dwordx2 v[2:3], v28, s[6:7] offset:16
	s_mov_b64 s[30:31], exec
	v_mbcnt_lo_u32_b32 v4, s30, 0
	v_mbcnt_hi_u32_b32 v4, s31, v4
	v_cmp_eq_u32_e32 vcc, 0, v4
	s_and_saveexec_b64 s[28:29], vcc
	s_cbranch_execz .LBB5_1096
; %bb.1095:                             ;   in Loop: Header=BB5_1027 Depth=1
	s_bcnt1_i32_b64 s15, s[30:31]
	v_mov_b32_e32 v27, s15
	s_waitcnt vmcnt(0)
	global_atomic_add_x2 v[2:3], v[27:28], off offset:8
.LBB5_1096:                             ;   in Loop: Header=BB5_1027 Depth=1
	s_or_b64 exec, exec, s[28:29]
	s_waitcnt vmcnt(0)
	global_load_dwordx2 v[4:5], v[2:3], off offset:16
	s_waitcnt vmcnt(0)
	v_cmp_eq_u64_e32 vcc, 0, v[4:5]
	s_cbranch_vccnz .LBB5_1098
; %bb.1097:                             ;   in Loop: Header=BB5_1027 Depth=1
	global_load_dword v27, v[2:3], off offset:24
	s_waitcnt vmcnt(0)
	v_and_b32_e32 v2, 0xffffff, v27
	v_readfirstlane_b32 m0, v2
	global_store_dwordx2 v[4:5], v[27:28], off
	s_sendmsg sendmsg(MSG_INTERRUPT)
.LBB5_1098:                             ;   in Loop: Header=BB5_1027 Depth=1
	s_or_b64 exec, exec, s[26:27]
	v_add_co_u32_e32 v2, vcc, v26, v31
	v_addc_co_u32_e32 v3, vcc, 0, v34, vcc
	s_branch .LBB5_1102
.LBB5_1099:                             ;   in Loop: Header=BB5_1102 Depth=2
	s_or_b64 exec, exec, s[26:27]
	v_readfirstlane_b32 s15, v4
	s_cmp_eq_u32 s15, 0
	s_cbranch_scc1 .LBB5_1101
; %bb.1100:                             ;   in Loop: Header=BB5_1102 Depth=2
	s_sleep 1
	s_cbranch_execnz .LBB5_1102
	s_branch .LBB5_1104
.LBB5_1101:                             ;   in Loop: Header=BB5_1027 Depth=1
	s_branch .LBB5_1104
.LBB5_1102:                             ;   Parent Loop BB5_1027 Depth=1
                                        ; =>  This Inner Loop Header: Depth=2
	v_mov_b32_e32 v4, 1
	s_and_saveexec_b64 s[26:27], s[4:5]
	s_cbranch_execz .LBB5_1099
; %bb.1103:                             ;   in Loop: Header=BB5_1102 Depth=2
	global_load_dword v4, v[29:30], off offset:20 glc
	s_waitcnt vmcnt(0)
	buffer_wbinvl1_vol
	v_and_b32_e32 v4, 1, v4
	s_branch .LBB5_1099
.LBB5_1104:                             ;   in Loop: Header=BB5_1027 Depth=1
	global_load_dwordx4 v[2:5], v[2:3], off
	s_and_saveexec_b64 s[26:27], s[4:5]
	s_cbranch_execz .LBB5_1026
; %bb.1105:                             ;   in Loop: Header=BB5_1027 Depth=1
	global_load_dwordx2 v[4:5], v28, s[6:7] offset:40
	global_load_dwordx2 v[12:13], v28, s[6:7] offset:24 glc
	global_load_dwordx2 v[14:15], v28, s[6:7]
	v_mov_b32_e32 v9, s25
	s_waitcnt vmcnt(2)
	v_add_co_u32_e32 v10, vcc, 1, v4
	v_addc_co_u32_e32 v11, vcc, 0, v5, vcc
	v_add_co_u32_e32 v8, vcc, s24, v10
	v_addc_co_u32_e32 v9, vcc, v11, v9, vcc
	v_cmp_eq_u64_e32 vcc, 0, v[8:9]
	v_cndmask_b32_e32 v9, v9, v11, vcc
	v_cndmask_b32_e32 v8, v8, v10, vcc
	v_and_b32_e32 v5, v9, v5
	v_and_b32_e32 v4, v8, v4
	v_mul_lo_u32 v5, v5, 24
	v_mul_hi_u32 v11, v4, 24
	v_mul_lo_u32 v4, v4, 24
	s_waitcnt vmcnt(1)
	v_mov_b32_e32 v10, v12
	v_add_u32_e32 v5, v11, v5
	s_waitcnt vmcnt(0)
	v_add_co_u32_e32 v4, vcc, v14, v4
	v_addc_co_u32_e32 v5, vcc, v15, v5, vcc
	global_store_dwordx2 v[4:5], v[12:13], off
	v_mov_b32_e32 v11, v13
	s_waitcnt vmcnt(0)
	global_atomic_cmpswap_x2 v[10:11], v28, v[8:11], s[6:7] offset:24 glc
	s_waitcnt vmcnt(0)
	v_cmp_ne_u64_e32 vcc, v[10:11], v[12:13]
	s_and_b64 exec, exec, vcc
	s_cbranch_execz .LBB5_1026
; %bb.1106:                             ;   in Loop: Header=BB5_1027 Depth=1
	s_mov_b64 s[4:5], 0
.LBB5_1107:                             ;   Parent Loop BB5_1027 Depth=1
                                        ; =>  This Inner Loop Header: Depth=2
	s_sleep 1
	global_store_dwordx2 v[4:5], v[10:11], off
	s_waitcnt vmcnt(0)
	global_atomic_cmpswap_x2 v[12:13], v28, v[8:11], s[6:7] offset:24 glc
	s_waitcnt vmcnt(0)
	v_cmp_eq_u64_e32 vcc, v[12:13], v[10:11]
	v_mov_b32_e32 v10, v12
	s_or_b64 s[4:5], vcc, s[4:5]
	v_mov_b32_e32 v11, v13
	s_andn2_b64 exec, exec, s[4:5]
	s_cbranch_execnz .LBB5_1107
	s_branch .LBB5_1026
.LBB5_1108:
	s_branch .LBB5_1136
.LBB5_1109:
                                        ; implicit-def: $vgpr2_vgpr3
	s_cbranch_execz .LBB5_1136
; %bb.1110:
	v_readfirstlane_b32 s4, v32
	v_mov_b32_e32 v8, 0
	v_mov_b32_e32 v9, 0
	v_cmp_eq_u32_e64 s[4:5], s4, v32
	s_and_saveexec_b64 s[18:19], s[4:5]
	s_cbranch_execz .LBB5_1116
; %bb.1111:
	s_waitcnt vmcnt(0)
	v_mov_b32_e32 v2, 0
	global_load_dwordx2 v[5:6], v2, s[6:7] offset:24 glc
	s_waitcnt vmcnt(0)
	buffer_wbinvl1_vol
	global_load_dwordx2 v[3:4], v2, s[6:7] offset:40
	global_load_dwordx2 v[7:8], v2, s[6:7]
	s_waitcnt vmcnt(1)
	v_and_b32_e32 v3, v3, v5
	v_and_b32_e32 v4, v4, v6
	v_mul_lo_u32 v4, v4, 24
	v_mul_hi_u32 v9, v3, 24
	v_mul_lo_u32 v3, v3, 24
	v_add_u32_e32 v4, v9, v4
	s_waitcnt vmcnt(0)
	v_add_co_u32_e32 v3, vcc, v7, v3
	v_addc_co_u32_e32 v4, vcc, v8, v4, vcc
	global_load_dwordx2 v[3:4], v[3:4], off glc
	s_waitcnt vmcnt(0)
	global_atomic_cmpswap_x2 v[8:9], v2, v[3:6], s[6:7] offset:24 glc
	s_waitcnt vmcnt(0)
	buffer_wbinvl1_vol
	v_cmp_ne_u64_e32 vcc, v[8:9], v[5:6]
	s_and_saveexec_b64 s[20:21], vcc
	s_cbranch_execz .LBB5_1115
; %bb.1112:
	s_mov_b64 s[22:23], 0
.LBB5_1113:                             ; =>This Inner Loop Header: Depth=1
	s_sleep 1
	global_load_dwordx2 v[3:4], v2, s[6:7] offset:40
	global_load_dwordx2 v[10:11], v2, s[6:7]
	v_mov_b32_e32 v5, v8
	v_mov_b32_e32 v6, v9
	s_waitcnt vmcnt(1)
	v_and_b32_e32 v3, v3, v5
	s_waitcnt vmcnt(0)
	v_mad_u64_u32 v[7:8], s[24:25], v3, 24, v[10:11]
	v_and_b32_e32 v4, v4, v6
	v_mov_b32_e32 v3, v8
	v_mad_u64_u32 v[3:4], s[24:25], v4, 24, v[3:4]
	v_mov_b32_e32 v8, v3
	global_load_dwordx2 v[3:4], v[7:8], off glc
	s_waitcnt vmcnt(0)
	global_atomic_cmpswap_x2 v[8:9], v2, v[3:6], s[6:7] offset:24 glc
	s_waitcnt vmcnt(0)
	buffer_wbinvl1_vol
	v_cmp_eq_u64_e32 vcc, v[8:9], v[5:6]
	s_or_b64 s[22:23], vcc, s[22:23]
	s_andn2_b64 exec, exec, s[22:23]
	s_cbranch_execnz .LBB5_1113
; %bb.1114:
	s_or_b64 exec, exec, s[22:23]
.LBB5_1115:
	s_or_b64 exec, exec, s[20:21]
.LBB5_1116:
	s_or_b64 exec, exec, s[18:19]
	s_waitcnt vmcnt(0)
	v_mov_b32_e32 v2, 0
	global_load_dwordx2 v[10:11], v2, s[6:7] offset:40
	global_load_dwordx4 v[4:7], v2, s[6:7]
	v_readfirstlane_b32 s18, v8
	v_readfirstlane_b32 s19, v9
	s_mov_b64 s[20:21], exec
	s_waitcnt vmcnt(1)
	v_readfirstlane_b32 s22, v10
	v_readfirstlane_b32 s23, v11
	s_and_b64 s[22:23], s[18:19], s[22:23]
	s_mul_i32 s15, s23, 24
	s_mul_hi_u32 s24, s22, 24
	s_mul_i32 s25, s22, 24
	s_add_i32 s15, s24, s15
	v_mov_b32_e32 v3, s15
	s_waitcnt vmcnt(0)
	v_add_co_u32_e32 v8, vcc, s25, v4
	v_addc_co_u32_e32 v9, vcc, v5, v3, vcc
	s_and_saveexec_b64 s[24:25], s[4:5]
	s_cbranch_execz .LBB5_1118
; %bb.1117:
	v_mov_b32_e32 v10, s20
	v_mov_b32_e32 v11, s21
	;; [unrolled: 1-line block ×4, first 2 shown]
	global_store_dwordx4 v[8:9], v[10:13], off offset:8
.LBB5_1118:
	s_or_b64 exec, exec, s[24:25]
	s_lshl_b64 s[20:21], s[22:23], 12
	v_mov_b32_e32 v3, s21
	v_add_co_u32_e32 v10, vcc, s20, v6
	v_addc_co_u32_e32 v11, vcc, v7, v3, vcc
	s_movk_i32 s15, 0xff1f
	v_and_or_b32 v0, v0, s15, 32
	s_mov_b32 s20, 0
	v_mov_b32_e32 v3, v2
	v_readfirstlane_b32 s24, v10
	v_readfirstlane_b32 s25, v11
	v_add_co_u32_e32 v6, vcc, v10, v31
	s_mov_b32 s21, s20
	s_mov_b32 s22, s20
	;; [unrolled: 1-line block ×3, first 2 shown]
	s_nop 0
	global_store_dwordx4 v31, v[0:3], s[24:25]
	v_addc_co_u32_e32 v7, vcc, 0, v11, vcc
	v_mov_b32_e32 v0, s20
	v_mov_b32_e32 v1, s21
	;; [unrolled: 1-line block ×4, first 2 shown]
	global_store_dwordx4 v31, v[0:3], s[24:25] offset:16
	global_store_dwordx4 v31, v[0:3], s[24:25] offset:32
	;; [unrolled: 1-line block ×3, first 2 shown]
	s_and_saveexec_b64 s[20:21], s[4:5]
	s_cbranch_execz .LBB5_1126
; %bb.1119:
	v_mov_b32_e32 v10, 0
	global_load_dwordx2 v[13:14], v10, s[6:7] offset:32 glc
	global_load_dwordx2 v[0:1], v10, s[6:7] offset:40
	v_mov_b32_e32 v11, s18
	v_mov_b32_e32 v12, s19
	s_waitcnt vmcnt(0)
	v_readfirstlane_b32 s22, v0
	v_readfirstlane_b32 s23, v1
	s_and_b64 s[22:23], s[22:23], s[18:19]
	s_mul_i32 s15, s23, 24
	s_mul_hi_u32 s23, s22, 24
	s_mul_i32 s22, s22, 24
	s_add_i32 s15, s23, s15
	v_mov_b32_e32 v0, s15
	v_add_co_u32_e32 v4, vcc, s22, v4
	v_addc_co_u32_e32 v5, vcc, v5, v0, vcc
	global_store_dwordx2 v[4:5], v[13:14], off
	s_waitcnt vmcnt(0)
	global_atomic_cmpswap_x2 v[2:3], v10, v[11:14], s[6:7] offset:32 glc
	s_waitcnt vmcnt(0)
	v_cmp_ne_u64_e32 vcc, v[2:3], v[13:14]
	s_and_saveexec_b64 s[22:23], vcc
	s_cbranch_execz .LBB5_1122
; %bb.1120:
	s_mov_b64 s[24:25], 0
.LBB5_1121:                             ; =>This Inner Loop Header: Depth=1
	s_sleep 1
	global_store_dwordx2 v[4:5], v[2:3], off
	v_mov_b32_e32 v0, s18
	v_mov_b32_e32 v1, s19
	s_waitcnt vmcnt(0)
	global_atomic_cmpswap_x2 v[0:1], v10, v[0:3], s[6:7] offset:32 glc
	s_waitcnt vmcnt(0)
	v_cmp_eq_u64_e32 vcc, v[0:1], v[2:3]
	v_mov_b32_e32 v3, v1
	s_or_b64 s[24:25], vcc, s[24:25]
	v_mov_b32_e32 v2, v0
	s_andn2_b64 exec, exec, s[24:25]
	s_cbranch_execnz .LBB5_1121
.LBB5_1122:
	s_or_b64 exec, exec, s[22:23]
	v_mov_b32_e32 v3, 0
	global_load_dwordx2 v[0:1], v3, s[6:7] offset:16
	s_mov_b64 s[22:23], exec
	v_mbcnt_lo_u32_b32 v2, s22, 0
	v_mbcnt_hi_u32_b32 v2, s23, v2
	v_cmp_eq_u32_e32 vcc, 0, v2
	s_and_saveexec_b64 s[24:25], vcc
	s_cbranch_execz .LBB5_1124
; %bb.1123:
	s_bcnt1_i32_b64 s15, s[22:23]
	v_mov_b32_e32 v2, s15
	s_waitcnt vmcnt(0)
	global_atomic_add_x2 v[0:1], v[2:3], off offset:8
.LBB5_1124:
	s_or_b64 exec, exec, s[24:25]
	s_waitcnt vmcnt(0)
	global_load_dwordx2 v[2:3], v[0:1], off offset:16
	s_waitcnt vmcnt(0)
	v_cmp_eq_u64_e32 vcc, 0, v[2:3]
	s_cbranch_vccnz .LBB5_1126
; %bb.1125:
	global_load_dword v0, v[0:1], off offset:24
	v_mov_b32_e32 v1, 0
	s_waitcnt vmcnt(0)
	global_store_dwordx2 v[2:3], v[0:1], off
	v_and_b32_e32 v0, 0xffffff, v0
	v_readfirstlane_b32 m0, v0
	s_sendmsg sendmsg(MSG_INTERRUPT)
.LBB5_1126:
	s_or_b64 exec, exec, s[20:21]
	s_branch .LBB5_1130
.LBB5_1127:                             ;   in Loop: Header=BB5_1130 Depth=1
	s_or_b64 exec, exec, s[20:21]
	v_readfirstlane_b32 s15, v0
	s_cmp_eq_u32 s15, 0
	s_cbranch_scc1 .LBB5_1129
; %bb.1128:                             ;   in Loop: Header=BB5_1130 Depth=1
	s_sleep 1
	s_cbranch_execnz .LBB5_1130
	s_branch .LBB5_1132
.LBB5_1129:
	s_branch .LBB5_1132
.LBB5_1130:                             ; =>This Inner Loop Header: Depth=1
	v_mov_b32_e32 v0, 1
	s_and_saveexec_b64 s[20:21], s[4:5]
	s_cbranch_execz .LBB5_1127
; %bb.1131:                             ;   in Loop: Header=BB5_1130 Depth=1
	global_load_dword v0, v[8:9], off offset:20 glc
	s_waitcnt vmcnt(0)
	buffer_wbinvl1_vol
	v_and_b32_e32 v0, 1, v0
	s_branch .LBB5_1127
.LBB5_1132:
	global_load_dwordx2 v[2:3], v[6:7], off
	s_and_saveexec_b64 s[20:21], s[4:5]
	s_cbranch_execz .LBB5_1135
; %bb.1133:
	v_mov_b32_e32 v8, 0
	global_load_dwordx2 v[0:1], v8, s[6:7] offset:40
	global_load_dwordx2 v[9:10], v8, s[6:7] offset:24 glc
	global_load_dwordx2 v[11:12], v8, s[6:7]
	v_mov_b32_e32 v5, s19
	s_mov_b64 s[4:5], 0
	s_waitcnt vmcnt(2)
	v_add_co_u32_e32 v6, vcc, 1, v0
	v_addc_co_u32_e32 v7, vcc, 0, v1, vcc
	v_add_co_u32_e32 v4, vcc, s18, v6
	v_addc_co_u32_e32 v5, vcc, v7, v5, vcc
	v_cmp_eq_u64_e32 vcc, 0, v[4:5]
	v_cndmask_b32_e32 v5, v5, v7, vcc
	v_cndmask_b32_e32 v4, v4, v6, vcc
	v_and_b32_e32 v1, v5, v1
	v_and_b32_e32 v0, v4, v0
	v_mul_lo_u32 v1, v1, 24
	v_mul_hi_u32 v7, v0, 24
	v_mul_lo_u32 v0, v0, 24
	s_waitcnt vmcnt(1)
	v_mov_b32_e32 v6, v9
	v_add_u32_e32 v1, v7, v1
	s_waitcnt vmcnt(0)
	v_add_co_u32_e32 v0, vcc, v11, v0
	v_addc_co_u32_e32 v1, vcc, v12, v1, vcc
	global_store_dwordx2 v[0:1], v[9:10], off
	v_mov_b32_e32 v7, v10
	s_waitcnt vmcnt(0)
	global_atomic_cmpswap_x2 v[6:7], v8, v[4:7], s[6:7] offset:24 glc
	s_waitcnt vmcnt(0)
	v_cmp_ne_u64_e32 vcc, v[6:7], v[9:10]
	s_and_b64 exec, exec, vcc
	s_cbranch_execz .LBB5_1135
.LBB5_1134:                             ; =>This Inner Loop Header: Depth=1
	s_sleep 1
	global_store_dwordx2 v[0:1], v[6:7], off
	s_waitcnt vmcnt(0)
	global_atomic_cmpswap_x2 v[9:10], v8, v[4:7], s[6:7] offset:24 glc
	s_waitcnt vmcnt(0)
	v_cmp_eq_u64_e32 vcc, v[9:10], v[6:7]
	v_mov_b32_e32 v6, v9
	s_or_b64 s[4:5], vcc, s[4:5]
	v_mov_b32_e32 v7, v10
	s_andn2_b64 exec, exec, s[4:5]
	s_cbranch_execnz .LBB5_1134
.LBB5_1135:
	s_or_b64 exec, exec, s[20:21]
.LBB5_1136:
	v_readfirstlane_b32 s4, v32
	s_waitcnt vmcnt(0)
	v_mov_b32_e32 v0, 0
	v_mov_b32_e32 v1, 0
	v_cmp_eq_u32_e64 s[4:5], s4, v32
	s_and_saveexec_b64 s[18:19], s[4:5]
	s_cbranch_execz .LBB5_1142
; %bb.1137:
	v_mov_b32_e32 v4, 0
	global_load_dwordx2 v[7:8], v4, s[6:7] offset:24 glc
	s_waitcnt vmcnt(0)
	buffer_wbinvl1_vol
	global_load_dwordx2 v[0:1], v4, s[6:7] offset:40
	global_load_dwordx2 v[5:6], v4, s[6:7]
	s_waitcnt vmcnt(1)
	v_and_b32_e32 v0, v0, v7
	v_and_b32_e32 v1, v1, v8
	v_mul_lo_u32 v1, v1, 24
	v_mul_hi_u32 v9, v0, 24
	v_mul_lo_u32 v0, v0, 24
	v_add_u32_e32 v1, v9, v1
	s_waitcnt vmcnt(0)
	v_add_co_u32_e32 v0, vcc, v5, v0
	v_addc_co_u32_e32 v1, vcc, v6, v1, vcc
	global_load_dwordx2 v[5:6], v[0:1], off glc
	s_waitcnt vmcnt(0)
	global_atomic_cmpswap_x2 v[0:1], v4, v[5:8], s[6:7] offset:24 glc
	s_waitcnt vmcnt(0)
	buffer_wbinvl1_vol
	v_cmp_ne_u64_e32 vcc, v[0:1], v[7:8]
	s_and_saveexec_b64 s[20:21], vcc
	s_cbranch_execz .LBB5_1141
; %bb.1138:
	s_mov_b64 s[22:23], 0
.LBB5_1139:                             ; =>This Inner Loop Header: Depth=1
	s_sleep 1
	global_load_dwordx2 v[5:6], v4, s[6:7] offset:40
	global_load_dwordx2 v[9:10], v4, s[6:7]
	v_mov_b32_e32 v8, v1
	v_mov_b32_e32 v7, v0
	s_waitcnt vmcnt(1)
	v_and_b32_e32 v0, v5, v7
	s_waitcnt vmcnt(0)
	v_mad_u64_u32 v[0:1], s[24:25], v0, 24, v[9:10]
	v_and_b32_e32 v5, v6, v8
	v_mad_u64_u32 v[5:6], s[24:25], v5, 24, v[1:2]
	v_mov_b32_e32 v1, v5
	global_load_dwordx2 v[5:6], v[0:1], off glc
	s_waitcnt vmcnt(0)
	global_atomic_cmpswap_x2 v[0:1], v4, v[5:8], s[6:7] offset:24 glc
	s_waitcnt vmcnt(0)
	buffer_wbinvl1_vol
	v_cmp_eq_u64_e32 vcc, v[0:1], v[7:8]
	s_or_b64 s[22:23], vcc, s[22:23]
	s_andn2_b64 exec, exec, s[22:23]
	s_cbranch_execnz .LBB5_1139
; %bb.1140:
	s_or_b64 exec, exec, s[22:23]
.LBB5_1141:
	s_or_b64 exec, exec, s[20:21]
.LBB5_1142:
	s_or_b64 exec, exec, s[18:19]
	v_mov_b32_e32 v5, 0
	global_load_dwordx2 v[10:11], v5, s[6:7] offset:40
	global_load_dwordx4 v[6:9], v5, s[6:7]
	v_readfirstlane_b32 s18, v0
	v_readfirstlane_b32 s19, v1
	s_mov_b64 s[20:21], exec
	s_waitcnt vmcnt(1)
	v_readfirstlane_b32 s22, v10
	v_readfirstlane_b32 s23, v11
	s_and_b64 s[22:23], s[18:19], s[22:23]
	s_mul_i32 s15, s23, 24
	s_mul_hi_u32 s24, s22, 24
	s_mul_i32 s25, s22, 24
	s_add_i32 s15, s24, s15
	v_mov_b32_e32 v0, s15
	s_waitcnt vmcnt(0)
	v_add_co_u32_e32 v10, vcc, s25, v6
	v_addc_co_u32_e32 v11, vcc, v7, v0, vcc
	s_and_saveexec_b64 s[24:25], s[4:5]
	s_cbranch_execz .LBB5_1144
; %bb.1143:
	v_mov_b32_e32 v12, s20
	v_mov_b32_e32 v13, s21
	;; [unrolled: 1-line block ×4, first 2 shown]
	global_store_dwordx4 v[10:11], v[12:15], off offset:8
.LBB5_1144:
	s_or_b64 exec, exec, s[24:25]
	s_lshl_b64 s[20:21], s[22:23], 12
	v_mov_b32_e32 v0, s21
	v_add_co_u32_e32 v1, vcc, s20, v8
	v_addc_co_u32_e32 v0, vcc, v9, v0, vcc
	s_movk_i32 s15, 0xff1d
	v_and_or_b32 v2, v2, s15, 34
	s_mov_b32 s20, 0
	v_mov_b32_e32 v4, 58
	v_readfirstlane_b32 s24, v1
	v_readfirstlane_b32 s25, v0
	s_mov_b32 s21, s20
	s_mov_b32 s22, s20
	;; [unrolled: 1-line block ×3, first 2 shown]
	s_nop 1
	global_store_dwordx4 v31, v[2:5], s[24:25]
	v_mov_b32_e32 v0, s20
	v_mov_b32_e32 v1, s21
	;; [unrolled: 1-line block ×4, first 2 shown]
	global_store_dwordx4 v31, v[0:3], s[24:25] offset:16
	global_store_dwordx4 v31, v[0:3], s[24:25] offset:32
	;; [unrolled: 1-line block ×3, first 2 shown]
	s_and_saveexec_b64 s[20:21], s[4:5]
	s_cbranch_execz .LBB5_1152
; %bb.1145:
	v_mov_b32_e32 v8, 0
	global_load_dwordx2 v[14:15], v8, s[6:7] offset:32 glc
	global_load_dwordx2 v[0:1], v8, s[6:7] offset:40
	v_mov_b32_e32 v12, s18
	v_mov_b32_e32 v13, s19
	s_waitcnt vmcnt(0)
	v_readfirstlane_b32 s22, v0
	v_readfirstlane_b32 s23, v1
	s_and_b64 s[22:23], s[22:23], s[18:19]
	s_mul_i32 s15, s23, 24
	s_mul_hi_u32 s23, s22, 24
	s_mul_i32 s22, s22, 24
	s_add_i32 s15, s23, s15
	v_mov_b32_e32 v0, s15
	v_add_co_u32_e32 v4, vcc, s22, v6
	v_addc_co_u32_e32 v5, vcc, v7, v0, vcc
	global_store_dwordx2 v[4:5], v[14:15], off
	s_waitcnt vmcnt(0)
	global_atomic_cmpswap_x2 v[2:3], v8, v[12:15], s[6:7] offset:32 glc
	s_waitcnt vmcnt(0)
	v_cmp_ne_u64_e32 vcc, v[2:3], v[14:15]
	s_and_saveexec_b64 s[22:23], vcc
	s_cbranch_execz .LBB5_1148
; %bb.1146:
	s_mov_b64 s[24:25], 0
.LBB5_1147:                             ; =>This Inner Loop Header: Depth=1
	s_sleep 1
	global_store_dwordx2 v[4:5], v[2:3], off
	v_mov_b32_e32 v0, s18
	v_mov_b32_e32 v1, s19
	s_waitcnt vmcnt(0)
	global_atomic_cmpswap_x2 v[0:1], v8, v[0:3], s[6:7] offset:32 glc
	s_waitcnt vmcnt(0)
	v_cmp_eq_u64_e32 vcc, v[0:1], v[2:3]
	v_mov_b32_e32 v3, v1
	s_or_b64 s[24:25], vcc, s[24:25]
	v_mov_b32_e32 v2, v0
	s_andn2_b64 exec, exec, s[24:25]
	s_cbranch_execnz .LBB5_1147
.LBB5_1148:
	s_or_b64 exec, exec, s[22:23]
	v_mov_b32_e32 v3, 0
	global_load_dwordx2 v[0:1], v3, s[6:7] offset:16
	s_mov_b64 s[22:23], exec
	v_mbcnt_lo_u32_b32 v2, s22, 0
	v_mbcnt_hi_u32_b32 v2, s23, v2
	v_cmp_eq_u32_e32 vcc, 0, v2
	s_and_saveexec_b64 s[24:25], vcc
	s_cbranch_execz .LBB5_1150
; %bb.1149:
	s_bcnt1_i32_b64 s15, s[22:23]
	v_mov_b32_e32 v2, s15
	s_waitcnt vmcnt(0)
	global_atomic_add_x2 v[0:1], v[2:3], off offset:8
.LBB5_1150:
	s_or_b64 exec, exec, s[24:25]
	s_waitcnt vmcnt(0)
	global_load_dwordx2 v[2:3], v[0:1], off offset:16
	s_waitcnt vmcnt(0)
	v_cmp_eq_u64_e32 vcc, 0, v[2:3]
	s_cbranch_vccnz .LBB5_1152
; %bb.1151:
	global_load_dword v0, v[0:1], off offset:24
	v_mov_b32_e32 v1, 0
	s_waitcnt vmcnt(0)
	global_store_dwordx2 v[2:3], v[0:1], off
	v_and_b32_e32 v0, 0xffffff, v0
	v_readfirstlane_b32 m0, v0
	s_sendmsg sendmsg(MSG_INTERRUPT)
.LBB5_1152:
	s_or_b64 exec, exec, s[20:21]
	s_branch .LBB5_1156
.LBB5_1153:                             ;   in Loop: Header=BB5_1156 Depth=1
	s_or_b64 exec, exec, s[20:21]
	v_readfirstlane_b32 s15, v0
	s_cmp_eq_u32 s15, 0
	s_cbranch_scc1 .LBB5_1155
; %bb.1154:                             ;   in Loop: Header=BB5_1156 Depth=1
	s_sleep 1
	s_cbranch_execnz .LBB5_1156
	s_branch .LBB5_1158
.LBB5_1155:
	s_branch .LBB5_1158
.LBB5_1156:                             ; =>This Inner Loop Header: Depth=1
	v_mov_b32_e32 v0, 1
	s_and_saveexec_b64 s[20:21], s[4:5]
	s_cbranch_execz .LBB5_1153
; %bb.1157:                             ;   in Loop: Header=BB5_1156 Depth=1
	global_load_dword v0, v[10:11], off offset:20 glc
	s_waitcnt vmcnt(0)
	buffer_wbinvl1_vol
	v_and_b32_e32 v0, 1, v0
	s_branch .LBB5_1153
.LBB5_1158:
	s_and_saveexec_b64 s[20:21], s[4:5]
	s_cbranch_execz .LBB5_1161
; %bb.1159:
	v_mov_b32_e32 v6, 0
	global_load_dwordx2 v[2:3], v6, s[6:7] offset:40
	global_load_dwordx2 v[7:8], v6, s[6:7] offset:24 glc
	global_load_dwordx2 v[4:5], v6, s[6:7]
	v_mov_b32_e32 v1, s19
	s_mov_b64 s[4:5], 0
	s_waitcnt vmcnt(2)
	v_add_co_u32_e32 v9, vcc, 1, v2
	v_addc_co_u32_e32 v10, vcc, 0, v3, vcc
	v_add_co_u32_e32 v0, vcc, s18, v9
	v_addc_co_u32_e32 v1, vcc, v10, v1, vcc
	v_cmp_eq_u64_e32 vcc, 0, v[0:1]
	v_cndmask_b32_e32 v1, v1, v10, vcc
	v_cndmask_b32_e32 v0, v0, v9, vcc
	v_and_b32_e32 v3, v1, v3
	v_and_b32_e32 v2, v0, v2
	v_mul_lo_u32 v3, v3, 24
	v_mul_hi_u32 v9, v2, 24
	v_mul_lo_u32 v10, v2, 24
	s_waitcnt vmcnt(1)
	v_mov_b32_e32 v2, v7
	v_add_u32_e32 v3, v9, v3
	s_waitcnt vmcnt(0)
	v_add_co_u32_e32 v4, vcc, v4, v10
	v_addc_co_u32_e32 v5, vcc, v5, v3, vcc
	global_store_dwordx2 v[4:5], v[7:8], off
	v_mov_b32_e32 v3, v8
	s_waitcnt vmcnt(0)
	global_atomic_cmpswap_x2 v[2:3], v6, v[0:3], s[6:7] offset:24 glc
	s_waitcnt vmcnt(0)
	v_cmp_ne_u64_e32 vcc, v[2:3], v[7:8]
	s_and_b64 exec, exec, vcc
	s_cbranch_execz .LBB5_1161
.LBB5_1160:                             ; =>This Inner Loop Header: Depth=1
	s_sleep 1
	global_store_dwordx2 v[4:5], v[2:3], off
	s_waitcnt vmcnt(0)
	global_atomic_cmpswap_x2 v[7:8], v6, v[0:3], s[6:7] offset:24 glc
	s_waitcnt vmcnt(0)
	v_cmp_eq_u64_e32 vcc, v[7:8], v[2:3]
	v_mov_b32_e32 v2, v7
	s_or_b64 s[4:5], vcc, s[4:5]
	v_mov_b32_e32 v3, v8
	s_andn2_b64 exec, exec, s[4:5]
	s_cbranch_execnz .LBB5_1160
.LBB5_1161:
	s_or_b64 exec, exec, s[20:21]
	v_readfirstlane_b32 s4, v32
	v_mov_b32_e32 v5, 0
	v_mov_b32_e32 v6, 0
	v_cmp_eq_u32_e64 s[4:5], s4, v32
	s_and_saveexec_b64 s[18:19], s[4:5]
	s_cbranch_execz .LBB5_1167
; %bb.1162:
	v_mov_b32_e32 v0, 0
	global_load_dwordx2 v[3:4], v0, s[6:7] offset:24 glc
	s_waitcnt vmcnt(0)
	buffer_wbinvl1_vol
	global_load_dwordx2 v[1:2], v0, s[6:7] offset:40
	global_load_dwordx2 v[5:6], v0, s[6:7]
	s_waitcnt vmcnt(1)
	v_and_b32_e32 v1, v1, v3
	v_and_b32_e32 v2, v2, v4
	v_mul_lo_u32 v2, v2, 24
	v_mul_hi_u32 v7, v1, 24
	v_mul_lo_u32 v1, v1, 24
	v_add_u32_e32 v2, v7, v2
	s_waitcnt vmcnt(0)
	v_add_co_u32_e32 v1, vcc, v5, v1
	v_addc_co_u32_e32 v2, vcc, v6, v2, vcc
	global_load_dwordx2 v[1:2], v[1:2], off glc
	s_waitcnt vmcnt(0)
	global_atomic_cmpswap_x2 v[5:6], v0, v[1:4], s[6:7] offset:24 glc
	s_waitcnt vmcnt(0)
	buffer_wbinvl1_vol
	v_cmp_ne_u64_e32 vcc, v[5:6], v[3:4]
	s_and_saveexec_b64 s[20:21], vcc
	s_cbranch_execz .LBB5_1166
; %bb.1163:
	s_mov_b64 s[22:23], 0
.LBB5_1164:                             ; =>This Inner Loop Header: Depth=1
	s_sleep 1
	global_load_dwordx2 v[1:2], v0, s[6:7] offset:40
	global_load_dwordx2 v[7:8], v0, s[6:7]
	v_mov_b32_e32 v3, v5
	v_mov_b32_e32 v4, v6
	s_waitcnt vmcnt(1)
	v_and_b32_e32 v1, v1, v3
	s_waitcnt vmcnt(0)
	v_mad_u64_u32 v[5:6], s[24:25], v1, 24, v[7:8]
	v_and_b32_e32 v2, v2, v4
	v_mov_b32_e32 v1, v6
	v_mad_u64_u32 v[1:2], s[24:25], v2, 24, v[1:2]
	v_mov_b32_e32 v6, v1
	global_load_dwordx2 v[1:2], v[5:6], off glc
	s_waitcnt vmcnt(0)
	global_atomic_cmpswap_x2 v[5:6], v0, v[1:4], s[6:7] offset:24 glc
	s_waitcnt vmcnt(0)
	buffer_wbinvl1_vol
	v_cmp_eq_u64_e32 vcc, v[5:6], v[3:4]
	s_or_b64 s[22:23], vcc, s[22:23]
	s_andn2_b64 exec, exec, s[22:23]
	s_cbranch_execnz .LBB5_1164
; %bb.1165:
	s_or_b64 exec, exec, s[22:23]
.LBB5_1166:
	s_or_b64 exec, exec, s[20:21]
.LBB5_1167:
	s_or_b64 exec, exec, s[18:19]
	v_mov_b32_e32 v4, 0
	global_load_dwordx2 v[7:8], v4, s[6:7] offset:40
	global_load_dwordx4 v[0:3], v4, s[6:7]
	v_readfirstlane_b32 s18, v5
	v_readfirstlane_b32 s19, v6
	s_mov_b64 s[20:21], exec
	s_waitcnt vmcnt(1)
	v_readfirstlane_b32 s22, v7
	v_readfirstlane_b32 s23, v8
	s_and_b64 s[22:23], s[18:19], s[22:23]
	s_mul_i32 s15, s23, 24
	s_mul_hi_u32 s24, s22, 24
	s_mul_i32 s25, s22, 24
	s_add_i32 s15, s24, s15
	v_mov_b32_e32 v5, s15
	s_waitcnt vmcnt(0)
	v_add_co_u32_e32 v7, vcc, s25, v0
	v_addc_co_u32_e32 v8, vcc, v1, v5, vcc
	s_and_saveexec_b64 s[24:25], s[4:5]
	s_cbranch_execz .LBB5_1169
; %bb.1168:
	v_mov_b32_e32 v9, s20
	v_mov_b32_e32 v10, s21
	;; [unrolled: 1-line block ×4, first 2 shown]
	global_store_dwordx4 v[7:8], v[9:12], off offset:8
.LBB5_1169:
	s_or_b64 exec, exec, s[24:25]
	s_lshl_b64 s[20:21], s[22:23], 12
	v_mov_b32_e32 v5, s21
	v_add_co_u32_e32 v2, vcc, s20, v2
	v_addc_co_u32_e32 v11, vcc, v3, v5, vcc
	s_mov_b32 s20, 0
	v_mov_b32_e32 v3, 33
	v_mov_b32_e32 v5, v4
	;; [unrolled: 1-line block ×3, first 2 shown]
	v_readfirstlane_b32 s24, v2
	v_readfirstlane_b32 s25, v11
	v_add_co_u32_e32 v9, vcc, v2, v31
	s_mov_b32 s21, s20
	s_mov_b32 s22, s20
	;; [unrolled: 1-line block ×3, first 2 shown]
	s_nop 0
	global_store_dwordx4 v31, v[3:6], s[24:25]
	v_mov_b32_e32 v2, s20
	v_addc_co_u32_e32 v10, vcc, 0, v11, vcc
	v_mov_b32_e32 v3, s21
	v_mov_b32_e32 v4, s22
	;; [unrolled: 1-line block ×3, first 2 shown]
	global_store_dwordx4 v31, v[2:5], s[24:25] offset:16
	global_store_dwordx4 v31, v[2:5], s[24:25] offset:32
	;; [unrolled: 1-line block ×3, first 2 shown]
	s_and_saveexec_b64 s[20:21], s[4:5]
	s_cbranch_execz .LBB5_1177
; %bb.1170:
	v_mov_b32_e32 v6, 0
	global_load_dwordx2 v[13:14], v6, s[6:7] offset:32 glc
	global_load_dwordx2 v[2:3], v6, s[6:7] offset:40
	v_mov_b32_e32 v11, s18
	v_mov_b32_e32 v12, s19
	s_waitcnt vmcnt(0)
	v_readfirstlane_b32 s22, v2
	v_readfirstlane_b32 s23, v3
	s_and_b64 s[22:23], s[22:23], s[18:19]
	s_mul_i32 s15, s23, 24
	s_mul_hi_u32 s23, s22, 24
	s_mul_i32 s22, s22, 24
	s_add_i32 s15, s23, s15
	v_mov_b32_e32 v2, s15
	v_add_co_u32_e32 v4, vcc, s22, v0
	v_addc_co_u32_e32 v5, vcc, v1, v2, vcc
	global_store_dwordx2 v[4:5], v[13:14], off
	s_waitcnt vmcnt(0)
	global_atomic_cmpswap_x2 v[2:3], v6, v[11:14], s[6:7] offset:32 glc
	s_waitcnt vmcnt(0)
	v_cmp_ne_u64_e32 vcc, v[2:3], v[13:14]
	s_and_saveexec_b64 s[22:23], vcc
	s_cbranch_execz .LBB5_1173
; %bb.1171:
	s_mov_b64 s[24:25], 0
.LBB5_1172:                             ; =>This Inner Loop Header: Depth=1
	s_sleep 1
	global_store_dwordx2 v[4:5], v[2:3], off
	v_mov_b32_e32 v0, s18
	v_mov_b32_e32 v1, s19
	s_waitcnt vmcnt(0)
	global_atomic_cmpswap_x2 v[0:1], v6, v[0:3], s[6:7] offset:32 glc
	s_waitcnt vmcnt(0)
	v_cmp_eq_u64_e32 vcc, v[0:1], v[2:3]
	v_mov_b32_e32 v3, v1
	s_or_b64 s[24:25], vcc, s[24:25]
	v_mov_b32_e32 v2, v0
	s_andn2_b64 exec, exec, s[24:25]
	s_cbranch_execnz .LBB5_1172
.LBB5_1173:
	s_or_b64 exec, exec, s[22:23]
	v_mov_b32_e32 v3, 0
	global_load_dwordx2 v[0:1], v3, s[6:7] offset:16
	s_mov_b64 s[22:23], exec
	v_mbcnt_lo_u32_b32 v2, s22, 0
	v_mbcnt_hi_u32_b32 v2, s23, v2
	v_cmp_eq_u32_e32 vcc, 0, v2
	s_and_saveexec_b64 s[24:25], vcc
	s_cbranch_execz .LBB5_1175
; %bb.1174:
	s_bcnt1_i32_b64 s15, s[22:23]
	v_mov_b32_e32 v2, s15
	s_waitcnt vmcnt(0)
	global_atomic_add_x2 v[0:1], v[2:3], off offset:8
.LBB5_1175:
	s_or_b64 exec, exec, s[24:25]
	s_waitcnt vmcnt(0)
	global_load_dwordx2 v[2:3], v[0:1], off offset:16
	s_waitcnt vmcnt(0)
	v_cmp_eq_u64_e32 vcc, 0, v[2:3]
	s_cbranch_vccnz .LBB5_1177
; %bb.1176:
	global_load_dword v0, v[0:1], off offset:24
	v_mov_b32_e32 v1, 0
	s_waitcnt vmcnt(0)
	global_store_dwordx2 v[2:3], v[0:1], off
	v_and_b32_e32 v0, 0xffffff, v0
	v_readfirstlane_b32 m0, v0
	s_sendmsg sendmsg(MSG_INTERRUPT)
.LBB5_1177:
	s_or_b64 exec, exec, s[20:21]
	s_branch .LBB5_1181
.LBB5_1178:                             ;   in Loop: Header=BB5_1181 Depth=1
	s_or_b64 exec, exec, s[20:21]
	v_readfirstlane_b32 s15, v0
	s_cmp_eq_u32 s15, 0
	s_cbranch_scc1 .LBB5_1180
; %bb.1179:                             ;   in Loop: Header=BB5_1181 Depth=1
	s_sleep 1
	s_cbranch_execnz .LBB5_1181
	s_branch .LBB5_1183
.LBB5_1180:
	s_branch .LBB5_1183
.LBB5_1181:                             ; =>This Inner Loop Header: Depth=1
	v_mov_b32_e32 v0, 1
	s_and_saveexec_b64 s[20:21], s[4:5]
	s_cbranch_execz .LBB5_1178
; %bb.1182:                             ;   in Loop: Header=BB5_1181 Depth=1
	global_load_dword v0, v[7:8], off offset:20 glc
	s_waitcnt vmcnt(0)
	buffer_wbinvl1_vol
	v_and_b32_e32 v0, 1, v0
	s_branch .LBB5_1178
.LBB5_1183:
	global_load_dwordx2 v[0:1], v[9:10], off
	s_and_saveexec_b64 s[20:21], s[4:5]
	s_cbranch_execz .LBB5_1186
; %bb.1184:
	v_mov_b32_e32 v8, 0
	global_load_dwordx2 v[4:5], v8, s[6:7] offset:40
	global_load_dwordx2 v[9:10], v8, s[6:7] offset:24 glc
	global_load_dwordx2 v[6:7], v8, s[6:7]
	v_mov_b32_e32 v3, s19
	s_mov_b64 s[4:5], 0
	s_waitcnt vmcnt(2)
	v_add_co_u32_e32 v11, vcc, 1, v4
	v_addc_co_u32_e32 v12, vcc, 0, v5, vcc
	v_add_co_u32_e32 v2, vcc, s18, v11
	v_addc_co_u32_e32 v3, vcc, v12, v3, vcc
	v_cmp_eq_u64_e32 vcc, 0, v[2:3]
	v_cndmask_b32_e32 v3, v3, v12, vcc
	v_cndmask_b32_e32 v2, v2, v11, vcc
	v_and_b32_e32 v5, v3, v5
	v_and_b32_e32 v4, v2, v4
	v_mul_lo_u32 v5, v5, 24
	v_mul_hi_u32 v11, v4, 24
	v_mul_lo_u32 v12, v4, 24
	s_waitcnt vmcnt(1)
	v_mov_b32_e32 v4, v9
	v_add_u32_e32 v5, v11, v5
	s_waitcnt vmcnt(0)
	v_add_co_u32_e32 v6, vcc, v6, v12
	v_addc_co_u32_e32 v7, vcc, v7, v5, vcc
	global_store_dwordx2 v[6:7], v[9:10], off
	v_mov_b32_e32 v5, v10
	s_waitcnt vmcnt(0)
	global_atomic_cmpswap_x2 v[4:5], v8, v[2:5], s[6:7] offset:24 glc
	s_waitcnt vmcnt(0)
	v_cmp_ne_u64_e32 vcc, v[4:5], v[9:10]
	s_and_b64 exec, exec, vcc
	s_cbranch_execz .LBB5_1186
.LBB5_1185:                             ; =>This Inner Loop Header: Depth=1
	s_sleep 1
	global_store_dwordx2 v[6:7], v[4:5], off
	s_waitcnt vmcnt(0)
	global_atomic_cmpswap_x2 v[9:10], v8, v[2:5], s[6:7] offset:24 glc
	s_waitcnt vmcnt(0)
	v_cmp_eq_u64_e32 vcc, v[9:10], v[4:5]
	v_mov_b32_e32 v4, v9
	s_or_b64 s[4:5], vcc, s[4:5]
	v_mov_b32_e32 v5, v10
	s_andn2_b64 exec, exec, s[4:5]
	s_cbranch_execnz .LBB5_1185
.LBB5_1186:
	s_or_b64 exec, exec, s[20:21]
	s_and_b64 vcc, exec, s[16:17]
	s_cbranch_vccz .LBB5_1271
; %bb.1187:
	s_waitcnt vmcnt(0)
	v_and_b32_e32 v33, 2, v0
	v_mov_b32_e32 v28, 0
	v_and_b32_e32 v2, -3, v0
	v_mov_b32_e32 v3, v1
	s_mov_b64 s[18:19], 3
	v_mov_b32_e32 v6, 2
	v_mov_b32_e32 v7, 1
	s_getpc_b64 s[16:17]
	s_add_u32 s16, s16, .str.6@rel32@lo+4
	s_addc_u32 s17, s17, .str.6@rel32@hi+12
	s_branch .LBB5_1189
.LBB5_1188:                             ;   in Loop: Header=BB5_1189 Depth=1
	s_or_b64 exec, exec, s[24:25]
	s_sub_u32 s18, s18, s20
	s_subb_u32 s19, s19, s21
	s_add_u32 s16, s16, s20
	s_addc_u32 s17, s17, s21
	s_cmp_lg_u64 s[18:19], 0
	s_cbranch_scc0 .LBB5_1270
.LBB5_1189:                             ; =>This Loop Header: Depth=1
                                        ;     Child Loop BB5_1192 Depth 2
                                        ;     Child Loop BB5_1199 Depth 2
	;; [unrolled: 1-line block ×11, first 2 shown]
	v_cmp_lt_u64_e64 s[4:5], s[18:19], 56
	v_cmp_gt_u64_e64 s[22:23], s[18:19], 7
	s_and_b64 s[4:5], s[4:5], exec
	s_cselect_b32 s21, s19, 0
	s_cselect_b32 s20, s18, 56
	s_and_b64 vcc, exec, s[22:23]
	s_cbranch_vccnz .LBB5_1194
; %bb.1190:                             ;   in Loop: Header=BB5_1189 Depth=1
	v_mov_b32_e32 v10, 0
	s_cmp_eq_u64 s[18:19], 0
	v_mov_b32_e32 v11, 0
	s_mov_b64 s[4:5], 0
	s_cbranch_scc1 .LBB5_1193
; %bb.1191:                             ;   in Loop: Header=BB5_1189 Depth=1
	v_mov_b32_e32 v10, 0
	s_lshl_b64 s[22:23], s[20:21], 3
	s_mov_b64 s[24:25], 0
	v_mov_b32_e32 v11, 0
	s_mov_b64 s[26:27], s[16:17]
.LBB5_1192:                             ;   Parent Loop BB5_1189 Depth=1
                                        ; =>  This Inner Loop Header: Depth=2
	global_load_ubyte v4, v28, s[26:27]
	s_waitcnt vmcnt(0)
	v_and_b32_e32 v27, 0xffff, v4
	v_lshlrev_b64 v[4:5], s24, v[27:28]
	s_add_u32 s24, s24, 8
	s_addc_u32 s25, s25, 0
	s_add_u32 s26, s26, 1
	s_addc_u32 s27, s27, 0
	v_or_b32_e32 v10, v4, v10
	s_cmp_lg_u32 s22, s24
	v_or_b32_e32 v11, v5, v11
	s_cbranch_scc1 .LBB5_1192
.LBB5_1193:                             ;   in Loop: Header=BB5_1189 Depth=1
	s_mov_b32 s15, 0
	s_andn2_b64 vcc, exec, s[4:5]
	s_mov_b64 s[4:5], s[16:17]
	s_cbranch_vccz .LBB5_1195
	s_branch .LBB5_1196
.LBB5_1194:                             ;   in Loop: Header=BB5_1189 Depth=1
                                        ; implicit-def: $vgpr10_vgpr11
                                        ; implicit-def: $sgpr15
	s_mov_b64 s[4:5], s[16:17]
.LBB5_1195:                             ;   in Loop: Header=BB5_1189 Depth=1
	global_load_dwordx2 v[10:11], v28, s[16:17]
	s_add_i32 s15, s20, -8
	s_add_u32 s4, s16, 8
	s_addc_u32 s5, s17, 0
.LBB5_1196:                             ;   in Loop: Header=BB5_1189 Depth=1
	s_cmp_gt_u32 s15, 7
	s_cbranch_scc1 .LBB5_1200
; %bb.1197:                             ;   in Loop: Header=BB5_1189 Depth=1
	s_cmp_eq_u32 s15, 0
	s_cbranch_scc1 .LBB5_1201
; %bb.1198:                             ;   in Loop: Header=BB5_1189 Depth=1
	v_mov_b32_e32 v12, 0
	s_mov_b64 s[22:23], 0
	v_mov_b32_e32 v13, 0
	s_mov_b64 s[24:25], 0
.LBB5_1199:                             ;   Parent Loop BB5_1189 Depth=1
                                        ; =>  This Inner Loop Header: Depth=2
	s_add_u32 s26, s4, s24
	s_addc_u32 s27, s5, s25
	global_load_ubyte v4, v28, s[26:27]
	s_add_u32 s24, s24, 1
	s_addc_u32 s25, s25, 0
	s_waitcnt vmcnt(0)
	v_and_b32_e32 v27, 0xffff, v4
	v_lshlrev_b64 v[4:5], s22, v[27:28]
	s_add_u32 s22, s22, 8
	s_addc_u32 s23, s23, 0
	v_or_b32_e32 v12, v4, v12
	s_cmp_lg_u32 s15, s24
	v_or_b32_e32 v13, v5, v13
	s_cbranch_scc1 .LBB5_1199
	s_branch .LBB5_1202
.LBB5_1200:                             ;   in Loop: Header=BB5_1189 Depth=1
                                        ; implicit-def: $vgpr12_vgpr13
                                        ; implicit-def: $sgpr26
	s_branch .LBB5_1203
.LBB5_1201:                             ;   in Loop: Header=BB5_1189 Depth=1
	v_mov_b32_e32 v12, 0
	v_mov_b32_e32 v13, 0
.LBB5_1202:                             ;   in Loop: Header=BB5_1189 Depth=1
	s_mov_b32 s26, 0
	s_cbranch_execnz .LBB5_1204
.LBB5_1203:                             ;   in Loop: Header=BB5_1189 Depth=1
	global_load_dwordx2 v[12:13], v28, s[4:5]
	s_add_i32 s26, s15, -8
	s_add_u32 s4, s4, 8
	s_addc_u32 s5, s5, 0
.LBB5_1204:                             ;   in Loop: Header=BB5_1189 Depth=1
	s_cmp_gt_u32 s26, 7
	s_cbranch_scc1 .LBB5_1208
; %bb.1205:                             ;   in Loop: Header=BB5_1189 Depth=1
	s_cmp_eq_u32 s26, 0
	s_cbranch_scc1 .LBB5_1209
; %bb.1206:                             ;   in Loop: Header=BB5_1189 Depth=1
	v_mov_b32_e32 v14, 0
	s_mov_b64 s[22:23], 0
	v_mov_b32_e32 v15, 0
	s_mov_b64 s[24:25], 0
.LBB5_1207:                             ;   Parent Loop BB5_1189 Depth=1
                                        ; =>  This Inner Loop Header: Depth=2
	s_add_u32 s28, s4, s24
	s_addc_u32 s29, s5, s25
	global_load_ubyte v4, v28, s[28:29]
	s_add_u32 s24, s24, 1
	s_addc_u32 s25, s25, 0
	s_waitcnt vmcnt(0)
	v_and_b32_e32 v27, 0xffff, v4
	v_lshlrev_b64 v[4:5], s22, v[27:28]
	s_add_u32 s22, s22, 8
	s_addc_u32 s23, s23, 0
	v_or_b32_e32 v14, v4, v14
	s_cmp_lg_u32 s26, s24
	v_or_b32_e32 v15, v5, v15
	s_cbranch_scc1 .LBB5_1207
	s_branch .LBB5_1210
.LBB5_1208:                             ;   in Loop: Header=BB5_1189 Depth=1
                                        ; implicit-def: $sgpr15
	s_branch .LBB5_1211
.LBB5_1209:                             ;   in Loop: Header=BB5_1189 Depth=1
	v_mov_b32_e32 v14, 0
	v_mov_b32_e32 v15, 0
.LBB5_1210:                             ;   in Loop: Header=BB5_1189 Depth=1
	s_mov_b32 s15, 0
	s_cbranch_execnz .LBB5_1212
.LBB5_1211:                             ;   in Loop: Header=BB5_1189 Depth=1
	global_load_dwordx2 v[14:15], v28, s[4:5]
	s_add_i32 s15, s26, -8
	s_add_u32 s4, s4, 8
	s_addc_u32 s5, s5, 0
.LBB5_1212:                             ;   in Loop: Header=BB5_1189 Depth=1
	s_cmp_gt_u32 s15, 7
	s_cbranch_scc1 .LBB5_1216
; %bb.1213:                             ;   in Loop: Header=BB5_1189 Depth=1
	s_cmp_eq_u32 s15, 0
	s_cbranch_scc1 .LBB5_1217
; %bb.1214:                             ;   in Loop: Header=BB5_1189 Depth=1
	v_mov_b32_e32 v16, 0
	s_mov_b64 s[22:23], 0
	v_mov_b32_e32 v17, 0
	s_mov_b64 s[24:25], 0
.LBB5_1215:                             ;   Parent Loop BB5_1189 Depth=1
                                        ; =>  This Inner Loop Header: Depth=2
	s_add_u32 s26, s4, s24
	s_addc_u32 s27, s5, s25
	global_load_ubyte v4, v28, s[26:27]
	s_add_u32 s24, s24, 1
	s_addc_u32 s25, s25, 0
	s_waitcnt vmcnt(0)
	v_and_b32_e32 v27, 0xffff, v4
	v_lshlrev_b64 v[4:5], s22, v[27:28]
	s_add_u32 s22, s22, 8
	s_addc_u32 s23, s23, 0
	v_or_b32_e32 v16, v4, v16
	s_cmp_lg_u32 s15, s24
	v_or_b32_e32 v17, v5, v17
	s_cbranch_scc1 .LBB5_1215
	s_branch .LBB5_1218
.LBB5_1216:                             ;   in Loop: Header=BB5_1189 Depth=1
                                        ; implicit-def: $vgpr16_vgpr17
                                        ; implicit-def: $sgpr26
	s_branch .LBB5_1219
.LBB5_1217:                             ;   in Loop: Header=BB5_1189 Depth=1
	v_mov_b32_e32 v16, 0
	v_mov_b32_e32 v17, 0
.LBB5_1218:                             ;   in Loop: Header=BB5_1189 Depth=1
	s_mov_b32 s26, 0
	s_cbranch_execnz .LBB5_1220
.LBB5_1219:                             ;   in Loop: Header=BB5_1189 Depth=1
	global_load_dwordx2 v[16:17], v28, s[4:5]
	s_add_i32 s26, s15, -8
	s_add_u32 s4, s4, 8
	s_addc_u32 s5, s5, 0
.LBB5_1220:                             ;   in Loop: Header=BB5_1189 Depth=1
	s_cmp_gt_u32 s26, 7
	s_cbranch_scc1 .LBB5_1224
; %bb.1221:                             ;   in Loop: Header=BB5_1189 Depth=1
	s_cmp_eq_u32 s26, 0
	s_cbranch_scc1 .LBB5_1225
; %bb.1222:                             ;   in Loop: Header=BB5_1189 Depth=1
	v_mov_b32_e32 v18, 0
	s_mov_b64 s[22:23], 0
	v_mov_b32_e32 v19, 0
	s_mov_b64 s[24:25], 0
.LBB5_1223:                             ;   Parent Loop BB5_1189 Depth=1
                                        ; =>  This Inner Loop Header: Depth=2
	s_add_u32 s28, s4, s24
	s_addc_u32 s29, s5, s25
	global_load_ubyte v4, v28, s[28:29]
	s_add_u32 s24, s24, 1
	s_addc_u32 s25, s25, 0
	s_waitcnt vmcnt(0)
	v_and_b32_e32 v27, 0xffff, v4
	v_lshlrev_b64 v[4:5], s22, v[27:28]
	s_add_u32 s22, s22, 8
	s_addc_u32 s23, s23, 0
	v_or_b32_e32 v18, v4, v18
	s_cmp_lg_u32 s26, s24
	v_or_b32_e32 v19, v5, v19
	s_cbranch_scc1 .LBB5_1223
	s_branch .LBB5_1226
.LBB5_1224:                             ;   in Loop: Header=BB5_1189 Depth=1
                                        ; implicit-def: $sgpr15
	s_branch .LBB5_1227
.LBB5_1225:                             ;   in Loop: Header=BB5_1189 Depth=1
	v_mov_b32_e32 v18, 0
	v_mov_b32_e32 v19, 0
.LBB5_1226:                             ;   in Loop: Header=BB5_1189 Depth=1
	s_mov_b32 s15, 0
	s_cbranch_execnz .LBB5_1228
.LBB5_1227:                             ;   in Loop: Header=BB5_1189 Depth=1
	global_load_dwordx2 v[18:19], v28, s[4:5]
	s_add_i32 s15, s26, -8
	s_add_u32 s4, s4, 8
	s_addc_u32 s5, s5, 0
.LBB5_1228:                             ;   in Loop: Header=BB5_1189 Depth=1
	s_cmp_gt_u32 s15, 7
	s_cbranch_scc1 .LBB5_1232
; %bb.1229:                             ;   in Loop: Header=BB5_1189 Depth=1
	s_cmp_eq_u32 s15, 0
	s_cbranch_scc1 .LBB5_1233
; %bb.1230:                             ;   in Loop: Header=BB5_1189 Depth=1
	v_mov_b32_e32 v20, 0
	s_mov_b64 s[22:23], 0
	v_mov_b32_e32 v21, 0
	s_mov_b64 s[24:25], 0
.LBB5_1231:                             ;   Parent Loop BB5_1189 Depth=1
                                        ; =>  This Inner Loop Header: Depth=2
	s_add_u32 s26, s4, s24
	s_addc_u32 s27, s5, s25
	global_load_ubyte v4, v28, s[26:27]
	s_add_u32 s24, s24, 1
	s_addc_u32 s25, s25, 0
	s_waitcnt vmcnt(0)
	v_and_b32_e32 v27, 0xffff, v4
	v_lshlrev_b64 v[4:5], s22, v[27:28]
	s_add_u32 s22, s22, 8
	s_addc_u32 s23, s23, 0
	v_or_b32_e32 v20, v4, v20
	s_cmp_lg_u32 s15, s24
	v_or_b32_e32 v21, v5, v21
	s_cbranch_scc1 .LBB5_1231
	s_branch .LBB5_1234
.LBB5_1232:                             ;   in Loop: Header=BB5_1189 Depth=1
                                        ; implicit-def: $vgpr20_vgpr21
                                        ; implicit-def: $sgpr26
	s_branch .LBB5_1235
.LBB5_1233:                             ;   in Loop: Header=BB5_1189 Depth=1
	v_mov_b32_e32 v20, 0
	v_mov_b32_e32 v21, 0
.LBB5_1234:                             ;   in Loop: Header=BB5_1189 Depth=1
	s_mov_b32 s26, 0
	s_cbranch_execnz .LBB5_1236
.LBB5_1235:                             ;   in Loop: Header=BB5_1189 Depth=1
	global_load_dwordx2 v[20:21], v28, s[4:5]
	s_add_i32 s26, s15, -8
	s_add_u32 s4, s4, 8
	s_addc_u32 s5, s5, 0
.LBB5_1236:                             ;   in Loop: Header=BB5_1189 Depth=1
	s_cmp_gt_u32 s26, 7
	s_cbranch_scc1 .LBB5_1240
; %bb.1237:                             ;   in Loop: Header=BB5_1189 Depth=1
	s_cmp_eq_u32 s26, 0
	s_cbranch_scc1 .LBB5_1241
; %bb.1238:                             ;   in Loop: Header=BB5_1189 Depth=1
	v_mov_b32_e32 v22, 0
	s_mov_b64 s[22:23], 0
	v_mov_b32_e32 v23, 0
	s_mov_b64 s[24:25], s[4:5]
.LBB5_1239:                             ;   Parent Loop BB5_1189 Depth=1
                                        ; =>  This Inner Loop Header: Depth=2
	global_load_ubyte v4, v28, s[24:25]
	s_add_i32 s26, s26, -1
	s_waitcnt vmcnt(0)
	v_and_b32_e32 v27, 0xffff, v4
	v_lshlrev_b64 v[4:5], s22, v[27:28]
	s_add_u32 s22, s22, 8
	s_addc_u32 s23, s23, 0
	s_add_u32 s24, s24, 1
	s_addc_u32 s25, s25, 0
	v_or_b32_e32 v22, v4, v22
	s_cmp_lg_u32 s26, 0
	v_or_b32_e32 v23, v5, v23
	s_cbranch_scc1 .LBB5_1239
	s_branch .LBB5_1242
.LBB5_1240:                             ;   in Loop: Header=BB5_1189 Depth=1
	s_branch .LBB5_1243
.LBB5_1241:                             ;   in Loop: Header=BB5_1189 Depth=1
	v_mov_b32_e32 v22, 0
	v_mov_b32_e32 v23, 0
.LBB5_1242:                             ;   in Loop: Header=BB5_1189 Depth=1
	s_cbranch_execnz .LBB5_1244
.LBB5_1243:                             ;   in Loop: Header=BB5_1189 Depth=1
	global_load_dwordx2 v[22:23], v28, s[4:5]
.LBB5_1244:                             ;   in Loop: Header=BB5_1189 Depth=1
	v_readfirstlane_b32 s4, v32
	s_waitcnt vmcnt(0)
	v_mov_b32_e32 v4, 0
	v_mov_b32_e32 v5, 0
	v_cmp_eq_u32_e64 s[4:5], s4, v32
	s_and_saveexec_b64 s[22:23], s[4:5]
	s_cbranch_execz .LBB5_1250
; %bb.1245:                             ;   in Loop: Header=BB5_1189 Depth=1
	global_load_dwordx2 v[26:27], v28, s[6:7] offset:24 glc
	s_waitcnt vmcnt(0)
	buffer_wbinvl1_vol
	global_load_dwordx2 v[4:5], v28, s[6:7] offset:40
	global_load_dwordx2 v[8:9], v28, s[6:7]
	s_waitcnt vmcnt(1)
	v_and_b32_e32 v4, v4, v26
	v_and_b32_e32 v5, v5, v27
	v_mul_lo_u32 v5, v5, 24
	v_mul_hi_u32 v24, v4, 24
	v_mul_lo_u32 v4, v4, 24
	v_add_u32_e32 v5, v24, v5
	s_waitcnt vmcnt(0)
	v_add_co_u32_e32 v4, vcc, v8, v4
	v_addc_co_u32_e32 v5, vcc, v9, v5, vcc
	global_load_dwordx2 v[24:25], v[4:5], off glc
	s_waitcnt vmcnt(0)
	global_atomic_cmpswap_x2 v[4:5], v28, v[24:27], s[6:7] offset:24 glc
	s_waitcnt vmcnt(0)
	buffer_wbinvl1_vol
	v_cmp_ne_u64_e32 vcc, v[4:5], v[26:27]
	s_and_saveexec_b64 s[24:25], vcc
	s_cbranch_execz .LBB5_1249
; %bb.1246:                             ;   in Loop: Header=BB5_1189 Depth=1
	s_mov_b64 s[26:27], 0
.LBB5_1247:                             ;   Parent Loop BB5_1189 Depth=1
                                        ; =>  This Inner Loop Header: Depth=2
	s_sleep 1
	global_load_dwordx2 v[8:9], v28, s[6:7] offset:40
	global_load_dwordx2 v[24:25], v28, s[6:7]
	v_mov_b32_e32 v27, v5
	v_mov_b32_e32 v26, v4
	s_waitcnt vmcnt(1)
	v_and_b32_e32 v4, v8, v26
	s_waitcnt vmcnt(0)
	v_mad_u64_u32 v[4:5], s[28:29], v4, 24, v[24:25]
	v_and_b32_e32 v8, v9, v27
	v_mad_u64_u32 v[8:9], s[28:29], v8, 24, v[5:6]
	v_mov_b32_e32 v5, v8
	global_load_dwordx2 v[24:25], v[4:5], off glc
	s_waitcnt vmcnt(0)
	global_atomic_cmpswap_x2 v[4:5], v28, v[24:27], s[6:7] offset:24 glc
	s_waitcnt vmcnt(0)
	buffer_wbinvl1_vol
	v_cmp_eq_u64_e32 vcc, v[4:5], v[26:27]
	s_or_b64 s[26:27], vcc, s[26:27]
	s_andn2_b64 exec, exec, s[26:27]
	s_cbranch_execnz .LBB5_1247
; %bb.1248:                             ;   in Loop: Header=BB5_1189 Depth=1
	s_or_b64 exec, exec, s[26:27]
.LBB5_1249:                             ;   in Loop: Header=BB5_1189 Depth=1
	s_or_b64 exec, exec, s[24:25]
.LBB5_1250:                             ;   in Loop: Header=BB5_1189 Depth=1
	s_or_b64 exec, exec, s[22:23]
	global_load_dwordx2 v[8:9], v28, s[6:7] offset:40
	global_load_dwordx4 v[24:27], v28, s[6:7]
	v_readfirstlane_b32 s22, v4
	v_readfirstlane_b32 s23, v5
	s_mov_b64 s[24:25], exec
	s_waitcnt vmcnt(1)
	v_readfirstlane_b32 s26, v8
	v_readfirstlane_b32 s27, v9
	s_and_b64 s[26:27], s[22:23], s[26:27]
	s_mul_i32 s15, s27, 24
	s_mul_hi_u32 s28, s26, 24
	s_mul_i32 s29, s26, 24
	s_add_i32 s15, s28, s15
	v_mov_b32_e32 v4, s15
	s_waitcnt vmcnt(0)
	v_add_co_u32_e32 v29, vcc, s29, v24
	v_addc_co_u32_e32 v30, vcc, v25, v4, vcc
	s_and_saveexec_b64 s[28:29], s[4:5]
	s_cbranch_execz .LBB5_1252
; %bb.1251:                             ;   in Loop: Header=BB5_1189 Depth=1
	v_mov_b32_e32 v4, s24
	v_mov_b32_e32 v5, s25
	global_store_dwordx4 v[29:30], v[4:7], off offset:8
.LBB5_1252:                             ;   in Loop: Header=BB5_1189 Depth=1
	s_or_b64 exec, exec, s[28:29]
	s_lshl_b64 s[24:25], s[26:27], 12
	v_mov_b32_e32 v4, s25
	v_add_co_u32_e32 v26, vcc, s24, v26
	v_addc_co_u32_e32 v34, vcc, v27, v4, vcc
	v_cmp_gt_u64_e64 vcc, s[18:19], 56
	v_or_b32_e32 v5, v2, v33
	s_lshl_b32 s15, s20, 2
	v_cndmask_b32_e32 v2, v5, v2, vcc
	s_add_i32 s15, s15, 28
	v_or_b32_e32 v4, 0, v3
	s_and_b32 s15, s15, 0x1e0
	v_and_b32_e32 v2, 0xffffff1f, v2
	v_cndmask_b32_e32 v9, v4, v3, vcc
	v_or_b32_e32 v8, s15, v2
	v_readfirstlane_b32 s24, v26
	v_readfirstlane_b32 s25, v34
	s_nop 4
	global_store_dwordx4 v31, v[8:11], s[24:25]
	global_store_dwordx4 v31, v[12:15], s[24:25] offset:16
	global_store_dwordx4 v31, v[16:19], s[24:25] offset:32
	;; [unrolled: 1-line block ×3, first 2 shown]
	s_and_saveexec_b64 s[24:25], s[4:5]
	s_cbranch_execz .LBB5_1260
; %bb.1253:                             ;   in Loop: Header=BB5_1189 Depth=1
	global_load_dwordx2 v[12:13], v28, s[6:7] offset:32 glc
	global_load_dwordx2 v[2:3], v28, s[6:7] offset:40
	v_mov_b32_e32 v10, s22
	v_mov_b32_e32 v11, s23
	s_waitcnt vmcnt(0)
	v_readfirstlane_b32 s26, v2
	v_readfirstlane_b32 s27, v3
	s_and_b64 s[26:27], s[26:27], s[22:23]
	s_mul_i32 s15, s27, 24
	s_mul_hi_u32 s27, s26, 24
	s_mul_i32 s26, s26, 24
	s_add_i32 s15, s27, s15
	v_mov_b32_e32 v2, s15
	v_add_co_u32_e32 v8, vcc, s26, v24
	v_addc_co_u32_e32 v9, vcc, v25, v2, vcc
	global_store_dwordx2 v[8:9], v[12:13], off
	s_waitcnt vmcnt(0)
	global_atomic_cmpswap_x2 v[4:5], v28, v[10:13], s[6:7] offset:32 glc
	s_waitcnt vmcnt(0)
	v_cmp_ne_u64_e32 vcc, v[4:5], v[12:13]
	s_and_saveexec_b64 s[26:27], vcc
	s_cbranch_execz .LBB5_1256
; %bb.1254:                             ;   in Loop: Header=BB5_1189 Depth=1
	s_mov_b64 s[28:29], 0
.LBB5_1255:                             ;   Parent Loop BB5_1189 Depth=1
                                        ; =>  This Inner Loop Header: Depth=2
	s_sleep 1
	global_store_dwordx2 v[8:9], v[4:5], off
	v_mov_b32_e32 v2, s22
	v_mov_b32_e32 v3, s23
	s_waitcnt vmcnt(0)
	global_atomic_cmpswap_x2 v[2:3], v28, v[2:5], s[6:7] offset:32 glc
	s_waitcnt vmcnt(0)
	v_cmp_eq_u64_e32 vcc, v[2:3], v[4:5]
	v_mov_b32_e32 v5, v3
	s_or_b64 s[28:29], vcc, s[28:29]
	v_mov_b32_e32 v4, v2
	s_andn2_b64 exec, exec, s[28:29]
	s_cbranch_execnz .LBB5_1255
.LBB5_1256:                             ;   in Loop: Header=BB5_1189 Depth=1
	s_or_b64 exec, exec, s[26:27]
	global_load_dwordx2 v[2:3], v28, s[6:7] offset:16
	s_mov_b64 s[28:29], exec
	v_mbcnt_lo_u32_b32 v4, s28, 0
	v_mbcnt_hi_u32_b32 v4, s29, v4
	v_cmp_eq_u32_e32 vcc, 0, v4
	s_and_saveexec_b64 s[26:27], vcc
	s_cbranch_execz .LBB5_1258
; %bb.1257:                             ;   in Loop: Header=BB5_1189 Depth=1
	s_bcnt1_i32_b64 s15, s[28:29]
	v_mov_b32_e32 v27, s15
	s_waitcnt vmcnt(0)
	global_atomic_add_x2 v[2:3], v[27:28], off offset:8
.LBB5_1258:                             ;   in Loop: Header=BB5_1189 Depth=1
	s_or_b64 exec, exec, s[26:27]
	s_waitcnt vmcnt(0)
	global_load_dwordx2 v[4:5], v[2:3], off offset:16
	s_waitcnt vmcnt(0)
	v_cmp_eq_u64_e32 vcc, 0, v[4:5]
	s_cbranch_vccnz .LBB5_1260
; %bb.1259:                             ;   in Loop: Header=BB5_1189 Depth=1
	global_load_dword v27, v[2:3], off offset:24
	s_waitcnt vmcnt(0)
	v_and_b32_e32 v2, 0xffffff, v27
	v_readfirstlane_b32 m0, v2
	global_store_dwordx2 v[4:5], v[27:28], off
	s_sendmsg sendmsg(MSG_INTERRUPT)
.LBB5_1260:                             ;   in Loop: Header=BB5_1189 Depth=1
	s_or_b64 exec, exec, s[24:25]
	v_add_co_u32_e32 v2, vcc, v26, v31
	v_addc_co_u32_e32 v3, vcc, 0, v34, vcc
	s_branch .LBB5_1264
.LBB5_1261:                             ;   in Loop: Header=BB5_1264 Depth=2
	s_or_b64 exec, exec, s[24:25]
	v_readfirstlane_b32 s15, v4
	s_cmp_eq_u32 s15, 0
	s_cbranch_scc1 .LBB5_1263
; %bb.1262:                             ;   in Loop: Header=BB5_1264 Depth=2
	s_sleep 1
	s_cbranch_execnz .LBB5_1264
	s_branch .LBB5_1266
.LBB5_1263:                             ;   in Loop: Header=BB5_1189 Depth=1
	s_branch .LBB5_1266
.LBB5_1264:                             ;   Parent Loop BB5_1189 Depth=1
                                        ; =>  This Inner Loop Header: Depth=2
	v_mov_b32_e32 v4, 1
	s_and_saveexec_b64 s[24:25], s[4:5]
	s_cbranch_execz .LBB5_1261
; %bb.1265:                             ;   in Loop: Header=BB5_1264 Depth=2
	global_load_dword v4, v[29:30], off offset:20 glc
	s_waitcnt vmcnt(0)
	buffer_wbinvl1_vol
	v_and_b32_e32 v4, 1, v4
	s_branch .LBB5_1261
.LBB5_1266:                             ;   in Loop: Header=BB5_1189 Depth=1
	global_load_dwordx4 v[2:5], v[2:3], off
	s_and_saveexec_b64 s[24:25], s[4:5]
	s_cbranch_execz .LBB5_1188
; %bb.1267:                             ;   in Loop: Header=BB5_1189 Depth=1
	global_load_dwordx2 v[4:5], v28, s[6:7] offset:40
	global_load_dwordx2 v[12:13], v28, s[6:7] offset:24 glc
	global_load_dwordx2 v[14:15], v28, s[6:7]
	v_mov_b32_e32 v9, s23
	s_waitcnt vmcnt(2)
	v_add_co_u32_e32 v10, vcc, 1, v4
	v_addc_co_u32_e32 v11, vcc, 0, v5, vcc
	v_add_co_u32_e32 v8, vcc, s22, v10
	v_addc_co_u32_e32 v9, vcc, v11, v9, vcc
	v_cmp_eq_u64_e32 vcc, 0, v[8:9]
	v_cndmask_b32_e32 v9, v9, v11, vcc
	v_cndmask_b32_e32 v8, v8, v10, vcc
	v_and_b32_e32 v5, v9, v5
	v_and_b32_e32 v4, v8, v4
	v_mul_lo_u32 v5, v5, 24
	v_mul_hi_u32 v11, v4, 24
	v_mul_lo_u32 v4, v4, 24
	s_waitcnt vmcnt(1)
	v_mov_b32_e32 v10, v12
	v_add_u32_e32 v5, v11, v5
	s_waitcnt vmcnt(0)
	v_add_co_u32_e32 v4, vcc, v14, v4
	v_addc_co_u32_e32 v5, vcc, v15, v5, vcc
	global_store_dwordx2 v[4:5], v[12:13], off
	v_mov_b32_e32 v11, v13
	s_waitcnt vmcnt(0)
	global_atomic_cmpswap_x2 v[10:11], v28, v[8:11], s[6:7] offset:24 glc
	s_waitcnt vmcnt(0)
	v_cmp_ne_u64_e32 vcc, v[10:11], v[12:13]
	s_and_b64 exec, exec, vcc
	s_cbranch_execz .LBB5_1188
; %bb.1268:                             ;   in Loop: Header=BB5_1189 Depth=1
	s_mov_b64 s[4:5], 0
.LBB5_1269:                             ;   Parent Loop BB5_1189 Depth=1
                                        ; =>  This Inner Loop Header: Depth=2
	s_sleep 1
	global_store_dwordx2 v[4:5], v[10:11], off
	s_waitcnt vmcnt(0)
	global_atomic_cmpswap_x2 v[12:13], v28, v[8:11], s[6:7] offset:24 glc
	s_waitcnt vmcnt(0)
	v_cmp_eq_u64_e32 vcc, v[12:13], v[10:11]
	v_mov_b32_e32 v10, v12
	s_or_b64 s[4:5], vcc, s[4:5]
	v_mov_b32_e32 v11, v13
	s_andn2_b64 exec, exec, s[4:5]
	s_cbranch_execnz .LBB5_1269
	s_branch .LBB5_1188
.LBB5_1270:
	s_branch .LBB5_1298
.LBB5_1271:
                                        ; implicit-def: $vgpr2_vgpr3
	s_cbranch_execz .LBB5_1298
; %bb.1272:
	v_readfirstlane_b32 s4, v32
	v_mov_b32_e32 v8, 0
	v_mov_b32_e32 v9, 0
	v_cmp_eq_u32_e64 s[4:5], s4, v32
	s_and_saveexec_b64 s[16:17], s[4:5]
	s_cbranch_execz .LBB5_1278
; %bb.1273:
	s_waitcnt vmcnt(0)
	v_mov_b32_e32 v2, 0
	global_load_dwordx2 v[5:6], v2, s[6:7] offset:24 glc
	s_waitcnt vmcnt(0)
	buffer_wbinvl1_vol
	global_load_dwordx2 v[3:4], v2, s[6:7] offset:40
	global_load_dwordx2 v[7:8], v2, s[6:7]
	s_waitcnt vmcnt(1)
	v_and_b32_e32 v3, v3, v5
	v_and_b32_e32 v4, v4, v6
	v_mul_lo_u32 v4, v4, 24
	v_mul_hi_u32 v9, v3, 24
	v_mul_lo_u32 v3, v3, 24
	v_add_u32_e32 v4, v9, v4
	s_waitcnt vmcnt(0)
	v_add_co_u32_e32 v3, vcc, v7, v3
	v_addc_co_u32_e32 v4, vcc, v8, v4, vcc
	global_load_dwordx2 v[3:4], v[3:4], off glc
	s_waitcnt vmcnt(0)
	global_atomic_cmpswap_x2 v[8:9], v2, v[3:6], s[6:7] offset:24 glc
	s_waitcnt vmcnt(0)
	buffer_wbinvl1_vol
	v_cmp_ne_u64_e32 vcc, v[8:9], v[5:6]
	s_and_saveexec_b64 s[18:19], vcc
	s_cbranch_execz .LBB5_1277
; %bb.1274:
	s_mov_b64 s[20:21], 0
.LBB5_1275:                             ; =>This Inner Loop Header: Depth=1
	s_sleep 1
	global_load_dwordx2 v[3:4], v2, s[6:7] offset:40
	global_load_dwordx2 v[10:11], v2, s[6:7]
	v_mov_b32_e32 v5, v8
	v_mov_b32_e32 v6, v9
	s_waitcnt vmcnt(1)
	v_and_b32_e32 v3, v3, v5
	s_waitcnt vmcnt(0)
	v_mad_u64_u32 v[7:8], s[22:23], v3, 24, v[10:11]
	v_and_b32_e32 v4, v4, v6
	v_mov_b32_e32 v3, v8
	v_mad_u64_u32 v[3:4], s[22:23], v4, 24, v[3:4]
	v_mov_b32_e32 v8, v3
	global_load_dwordx2 v[3:4], v[7:8], off glc
	s_waitcnt vmcnt(0)
	global_atomic_cmpswap_x2 v[8:9], v2, v[3:6], s[6:7] offset:24 glc
	s_waitcnt vmcnt(0)
	buffer_wbinvl1_vol
	v_cmp_eq_u64_e32 vcc, v[8:9], v[5:6]
	s_or_b64 s[20:21], vcc, s[20:21]
	s_andn2_b64 exec, exec, s[20:21]
	s_cbranch_execnz .LBB5_1275
; %bb.1276:
	s_or_b64 exec, exec, s[20:21]
.LBB5_1277:
	s_or_b64 exec, exec, s[18:19]
.LBB5_1278:
	s_or_b64 exec, exec, s[16:17]
	s_waitcnt vmcnt(0)
	v_mov_b32_e32 v2, 0
	global_load_dwordx2 v[10:11], v2, s[6:7] offset:40
	global_load_dwordx4 v[4:7], v2, s[6:7]
	v_readfirstlane_b32 s16, v8
	v_readfirstlane_b32 s17, v9
	s_mov_b64 s[18:19], exec
	s_waitcnt vmcnt(1)
	v_readfirstlane_b32 s20, v10
	v_readfirstlane_b32 s21, v11
	s_and_b64 s[20:21], s[16:17], s[20:21]
	s_mul_i32 s15, s21, 24
	s_mul_hi_u32 s22, s20, 24
	s_mul_i32 s23, s20, 24
	s_add_i32 s15, s22, s15
	v_mov_b32_e32 v3, s15
	s_waitcnt vmcnt(0)
	v_add_co_u32_e32 v8, vcc, s23, v4
	v_addc_co_u32_e32 v9, vcc, v5, v3, vcc
	s_and_saveexec_b64 s[22:23], s[4:5]
	s_cbranch_execz .LBB5_1280
; %bb.1279:
	v_mov_b32_e32 v10, s18
	v_mov_b32_e32 v11, s19
	;; [unrolled: 1-line block ×4, first 2 shown]
	global_store_dwordx4 v[8:9], v[10:13], off offset:8
.LBB5_1280:
	s_or_b64 exec, exec, s[22:23]
	s_lshl_b64 s[18:19], s[20:21], 12
	v_mov_b32_e32 v3, s19
	v_add_co_u32_e32 v10, vcc, s18, v6
	v_addc_co_u32_e32 v11, vcc, v7, v3, vcc
	s_movk_i32 s15, 0xff1f
	v_and_or_b32 v0, v0, s15, 32
	s_mov_b32 s20, 0
	v_mov_b32_e32 v3, v2
	v_readfirstlane_b32 s18, v10
	v_readfirstlane_b32 s19, v11
	v_add_co_u32_e32 v6, vcc, v10, v31
	s_mov_b32 s21, s20
	s_mov_b32 s22, s20
	;; [unrolled: 1-line block ×3, first 2 shown]
	s_nop 0
	global_store_dwordx4 v31, v[0:3], s[18:19]
	v_addc_co_u32_e32 v7, vcc, 0, v11, vcc
	v_mov_b32_e32 v0, s20
	v_mov_b32_e32 v1, s21
	v_mov_b32_e32 v2, s22
	v_mov_b32_e32 v3, s23
	global_store_dwordx4 v31, v[0:3], s[18:19] offset:16
	global_store_dwordx4 v31, v[0:3], s[18:19] offset:32
	;; [unrolled: 1-line block ×3, first 2 shown]
	s_and_saveexec_b64 s[18:19], s[4:5]
	s_cbranch_execz .LBB5_1288
; %bb.1281:
	v_mov_b32_e32 v10, 0
	global_load_dwordx2 v[13:14], v10, s[6:7] offset:32 glc
	global_load_dwordx2 v[0:1], v10, s[6:7] offset:40
	v_mov_b32_e32 v11, s16
	v_mov_b32_e32 v12, s17
	s_waitcnt vmcnt(0)
	v_readfirstlane_b32 s20, v0
	v_readfirstlane_b32 s21, v1
	s_and_b64 s[20:21], s[20:21], s[16:17]
	s_mul_i32 s15, s21, 24
	s_mul_hi_u32 s21, s20, 24
	s_mul_i32 s20, s20, 24
	s_add_i32 s15, s21, s15
	v_mov_b32_e32 v0, s15
	v_add_co_u32_e32 v4, vcc, s20, v4
	v_addc_co_u32_e32 v5, vcc, v5, v0, vcc
	global_store_dwordx2 v[4:5], v[13:14], off
	s_waitcnt vmcnt(0)
	global_atomic_cmpswap_x2 v[2:3], v10, v[11:14], s[6:7] offset:32 glc
	s_waitcnt vmcnt(0)
	v_cmp_ne_u64_e32 vcc, v[2:3], v[13:14]
	s_and_saveexec_b64 s[20:21], vcc
	s_cbranch_execz .LBB5_1284
; %bb.1282:
	s_mov_b64 s[22:23], 0
.LBB5_1283:                             ; =>This Inner Loop Header: Depth=1
	s_sleep 1
	global_store_dwordx2 v[4:5], v[2:3], off
	v_mov_b32_e32 v0, s16
	v_mov_b32_e32 v1, s17
	s_waitcnt vmcnt(0)
	global_atomic_cmpswap_x2 v[0:1], v10, v[0:3], s[6:7] offset:32 glc
	s_waitcnt vmcnt(0)
	v_cmp_eq_u64_e32 vcc, v[0:1], v[2:3]
	v_mov_b32_e32 v3, v1
	s_or_b64 s[22:23], vcc, s[22:23]
	v_mov_b32_e32 v2, v0
	s_andn2_b64 exec, exec, s[22:23]
	s_cbranch_execnz .LBB5_1283
.LBB5_1284:
	s_or_b64 exec, exec, s[20:21]
	v_mov_b32_e32 v3, 0
	global_load_dwordx2 v[0:1], v3, s[6:7] offset:16
	s_mov_b64 s[20:21], exec
	v_mbcnt_lo_u32_b32 v2, s20, 0
	v_mbcnt_hi_u32_b32 v2, s21, v2
	v_cmp_eq_u32_e32 vcc, 0, v2
	s_and_saveexec_b64 s[22:23], vcc
	s_cbranch_execz .LBB5_1286
; %bb.1285:
	s_bcnt1_i32_b64 s15, s[20:21]
	v_mov_b32_e32 v2, s15
	s_waitcnt vmcnt(0)
	global_atomic_add_x2 v[0:1], v[2:3], off offset:8
.LBB5_1286:
	s_or_b64 exec, exec, s[22:23]
	s_waitcnt vmcnt(0)
	global_load_dwordx2 v[2:3], v[0:1], off offset:16
	s_waitcnt vmcnt(0)
	v_cmp_eq_u64_e32 vcc, 0, v[2:3]
	s_cbranch_vccnz .LBB5_1288
; %bb.1287:
	global_load_dword v0, v[0:1], off offset:24
	v_mov_b32_e32 v1, 0
	s_waitcnt vmcnt(0)
	global_store_dwordx2 v[2:3], v[0:1], off
	v_and_b32_e32 v0, 0xffffff, v0
	v_readfirstlane_b32 m0, v0
	s_sendmsg sendmsg(MSG_INTERRUPT)
.LBB5_1288:
	s_or_b64 exec, exec, s[18:19]
	s_branch .LBB5_1292
.LBB5_1289:                             ;   in Loop: Header=BB5_1292 Depth=1
	s_or_b64 exec, exec, s[18:19]
	v_readfirstlane_b32 s15, v0
	s_cmp_eq_u32 s15, 0
	s_cbranch_scc1 .LBB5_1291
; %bb.1290:                             ;   in Loop: Header=BB5_1292 Depth=1
	s_sleep 1
	s_cbranch_execnz .LBB5_1292
	s_branch .LBB5_1294
.LBB5_1291:
	s_branch .LBB5_1294
.LBB5_1292:                             ; =>This Inner Loop Header: Depth=1
	v_mov_b32_e32 v0, 1
	s_and_saveexec_b64 s[18:19], s[4:5]
	s_cbranch_execz .LBB5_1289
; %bb.1293:                             ;   in Loop: Header=BB5_1292 Depth=1
	global_load_dword v0, v[8:9], off offset:20 glc
	s_waitcnt vmcnt(0)
	buffer_wbinvl1_vol
	v_and_b32_e32 v0, 1, v0
	s_branch .LBB5_1289
.LBB5_1294:
	global_load_dwordx2 v[2:3], v[6:7], off
	s_and_saveexec_b64 s[18:19], s[4:5]
	s_cbranch_execz .LBB5_1297
; %bb.1295:
	v_mov_b32_e32 v8, 0
	global_load_dwordx2 v[0:1], v8, s[6:7] offset:40
	global_load_dwordx2 v[9:10], v8, s[6:7] offset:24 glc
	global_load_dwordx2 v[11:12], v8, s[6:7]
	v_mov_b32_e32 v5, s17
	s_mov_b64 s[4:5], 0
	s_waitcnt vmcnt(2)
	v_add_co_u32_e32 v6, vcc, 1, v0
	v_addc_co_u32_e32 v7, vcc, 0, v1, vcc
	v_add_co_u32_e32 v4, vcc, s16, v6
	v_addc_co_u32_e32 v5, vcc, v7, v5, vcc
	v_cmp_eq_u64_e32 vcc, 0, v[4:5]
	v_cndmask_b32_e32 v5, v5, v7, vcc
	v_cndmask_b32_e32 v4, v4, v6, vcc
	v_and_b32_e32 v1, v5, v1
	v_and_b32_e32 v0, v4, v0
	v_mul_lo_u32 v1, v1, 24
	v_mul_hi_u32 v7, v0, 24
	v_mul_lo_u32 v0, v0, 24
	s_waitcnt vmcnt(1)
	v_mov_b32_e32 v6, v9
	v_add_u32_e32 v1, v7, v1
	s_waitcnt vmcnt(0)
	v_add_co_u32_e32 v0, vcc, v11, v0
	v_addc_co_u32_e32 v1, vcc, v12, v1, vcc
	global_store_dwordx2 v[0:1], v[9:10], off
	v_mov_b32_e32 v7, v10
	s_waitcnt vmcnt(0)
	global_atomic_cmpswap_x2 v[6:7], v8, v[4:7], s[6:7] offset:24 glc
	s_waitcnt vmcnt(0)
	v_cmp_ne_u64_e32 vcc, v[6:7], v[9:10]
	s_and_b64 exec, exec, vcc
	s_cbranch_execz .LBB5_1297
.LBB5_1296:                             ; =>This Inner Loop Header: Depth=1
	s_sleep 1
	global_store_dwordx2 v[0:1], v[6:7], off
	s_waitcnt vmcnt(0)
	global_atomic_cmpswap_x2 v[9:10], v8, v[4:7], s[6:7] offset:24 glc
	s_waitcnt vmcnt(0)
	v_cmp_eq_u64_e32 vcc, v[9:10], v[6:7]
	v_mov_b32_e32 v6, v9
	s_or_b64 s[4:5], vcc, s[4:5]
	v_mov_b32_e32 v7, v10
	s_andn2_b64 exec, exec, s[4:5]
	s_cbranch_execnz .LBB5_1296
.LBB5_1297:
	s_or_b64 exec, exec, s[18:19]
.LBB5_1298:
	v_readfirstlane_b32 s4, v32
	s_waitcnt vmcnt(0)
	v_mov_b32_e32 v0, 0
	v_mov_b32_e32 v1, 0
	v_cmp_eq_u32_e64 s[4:5], s4, v32
	s_and_saveexec_b64 s[16:17], s[4:5]
	s_cbranch_execz .LBB5_1304
; %bb.1299:
	v_mov_b32_e32 v4, 0
	global_load_dwordx2 v[7:8], v4, s[6:7] offset:24 glc
	s_waitcnt vmcnt(0)
	buffer_wbinvl1_vol
	global_load_dwordx2 v[0:1], v4, s[6:7] offset:40
	global_load_dwordx2 v[5:6], v4, s[6:7]
	s_waitcnt vmcnt(1)
	v_and_b32_e32 v0, v0, v7
	v_and_b32_e32 v1, v1, v8
	v_mul_lo_u32 v1, v1, 24
	v_mul_hi_u32 v9, v0, 24
	v_mul_lo_u32 v0, v0, 24
	v_add_u32_e32 v1, v9, v1
	s_waitcnt vmcnt(0)
	v_add_co_u32_e32 v0, vcc, v5, v0
	v_addc_co_u32_e32 v1, vcc, v6, v1, vcc
	global_load_dwordx2 v[5:6], v[0:1], off glc
	s_waitcnt vmcnt(0)
	global_atomic_cmpswap_x2 v[0:1], v4, v[5:8], s[6:7] offset:24 glc
	s_waitcnt vmcnt(0)
	buffer_wbinvl1_vol
	v_cmp_ne_u64_e32 vcc, v[0:1], v[7:8]
	s_and_saveexec_b64 s[18:19], vcc
	s_cbranch_execz .LBB5_1303
; %bb.1300:
	s_mov_b64 s[20:21], 0
.LBB5_1301:                             ; =>This Inner Loop Header: Depth=1
	s_sleep 1
	global_load_dwordx2 v[5:6], v4, s[6:7] offset:40
	global_load_dwordx2 v[9:10], v4, s[6:7]
	v_mov_b32_e32 v8, v1
	v_mov_b32_e32 v7, v0
	s_waitcnt vmcnt(1)
	v_and_b32_e32 v0, v5, v7
	s_waitcnt vmcnt(0)
	v_mad_u64_u32 v[0:1], s[22:23], v0, 24, v[9:10]
	v_and_b32_e32 v5, v6, v8
	v_mad_u64_u32 v[5:6], s[22:23], v5, 24, v[1:2]
	v_mov_b32_e32 v1, v5
	global_load_dwordx2 v[5:6], v[0:1], off glc
	s_waitcnt vmcnt(0)
	global_atomic_cmpswap_x2 v[0:1], v4, v[5:8], s[6:7] offset:24 glc
	s_waitcnt vmcnt(0)
	buffer_wbinvl1_vol
	v_cmp_eq_u64_e32 vcc, v[0:1], v[7:8]
	s_or_b64 s[20:21], vcc, s[20:21]
	s_andn2_b64 exec, exec, s[20:21]
	s_cbranch_execnz .LBB5_1301
; %bb.1302:
	s_or_b64 exec, exec, s[20:21]
.LBB5_1303:
	s_or_b64 exec, exec, s[18:19]
.LBB5_1304:
	s_or_b64 exec, exec, s[16:17]
	v_mov_b32_e32 v5, 0
	global_load_dwordx2 v[10:11], v5, s[6:7] offset:40
	global_load_dwordx4 v[6:9], v5, s[6:7]
	v_readfirstlane_b32 s16, v0
	v_readfirstlane_b32 s17, v1
	s_mov_b64 s[18:19], exec
	s_waitcnt vmcnt(1)
	v_readfirstlane_b32 s20, v10
	v_readfirstlane_b32 s21, v11
	s_and_b64 s[20:21], s[16:17], s[20:21]
	s_mul_i32 s15, s21, 24
	s_mul_hi_u32 s22, s20, 24
	s_mul_i32 s23, s20, 24
	s_add_i32 s15, s22, s15
	v_mov_b32_e32 v0, s15
	s_waitcnt vmcnt(0)
	v_add_co_u32_e32 v10, vcc, s23, v6
	v_addc_co_u32_e32 v11, vcc, v7, v0, vcc
	s_and_saveexec_b64 s[22:23], s[4:5]
	s_cbranch_execz .LBB5_1306
; %bb.1305:
	v_mov_b32_e32 v12, s18
	v_mov_b32_e32 v13, s19
	;; [unrolled: 1-line block ×4, first 2 shown]
	global_store_dwordx4 v[10:11], v[12:15], off offset:8
.LBB5_1306:
	s_or_b64 exec, exec, s[22:23]
	s_lshl_b64 s[18:19], s[20:21], 12
	v_mov_b32_e32 v0, s19
	v_add_co_u32_e32 v1, vcc, s18, v8
	v_addc_co_u32_e32 v0, vcc, v9, v0, vcc
	s_movk_i32 s15, 0xff1d
	v_and_or_b32 v2, v2, s15, 34
	s_mov_b32 s20, 0
	v_mov_b32_e32 v4, 10
	v_readfirstlane_b32 s18, v1
	v_readfirstlane_b32 s19, v0
	s_mov_b32 s21, s20
	s_mov_b32 s22, s20
	;; [unrolled: 1-line block ×3, first 2 shown]
	s_nop 1
	global_store_dwordx4 v31, v[2:5], s[18:19]
	v_mov_b32_e32 v0, s20
	v_mov_b32_e32 v1, s21
	;; [unrolled: 1-line block ×4, first 2 shown]
	global_store_dwordx4 v31, v[0:3], s[18:19] offset:16
	global_store_dwordx4 v31, v[0:3], s[18:19] offset:32
	;; [unrolled: 1-line block ×3, first 2 shown]
	s_and_saveexec_b64 s[18:19], s[4:5]
	s_cbranch_execz .LBB5_1314
; %bb.1307:
	v_mov_b32_e32 v8, 0
	global_load_dwordx2 v[14:15], v8, s[6:7] offset:32 glc
	global_load_dwordx2 v[0:1], v8, s[6:7] offset:40
	v_mov_b32_e32 v12, s16
	v_mov_b32_e32 v13, s17
	s_waitcnt vmcnt(0)
	v_readfirstlane_b32 s20, v0
	v_readfirstlane_b32 s21, v1
	s_and_b64 s[20:21], s[20:21], s[16:17]
	s_mul_i32 s15, s21, 24
	s_mul_hi_u32 s21, s20, 24
	s_mul_i32 s20, s20, 24
	s_add_i32 s15, s21, s15
	v_mov_b32_e32 v0, s15
	v_add_co_u32_e32 v4, vcc, s20, v6
	v_addc_co_u32_e32 v5, vcc, v7, v0, vcc
	global_store_dwordx2 v[4:5], v[14:15], off
	s_waitcnt vmcnt(0)
	global_atomic_cmpswap_x2 v[2:3], v8, v[12:15], s[6:7] offset:32 glc
	s_waitcnt vmcnt(0)
	v_cmp_ne_u64_e32 vcc, v[2:3], v[14:15]
	s_and_saveexec_b64 s[20:21], vcc
	s_cbranch_execz .LBB5_1310
; %bb.1308:
	s_mov_b64 s[22:23], 0
.LBB5_1309:                             ; =>This Inner Loop Header: Depth=1
	s_sleep 1
	global_store_dwordx2 v[4:5], v[2:3], off
	v_mov_b32_e32 v0, s16
	v_mov_b32_e32 v1, s17
	s_waitcnt vmcnt(0)
	global_atomic_cmpswap_x2 v[0:1], v8, v[0:3], s[6:7] offset:32 glc
	s_waitcnt vmcnt(0)
	v_cmp_eq_u64_e32 vcc, v[0:1], v[2:3]
	v_mov_b32_e32 v3, v1
	s_or_b64 s[22:23], vcc, s[22:23]
	v_mov_b32_e32 v2, v0
	s_andn2_b64 exec, exec, s[22:23]
	s_cbranch_execnz .LBB5_1309
.LBB5_1310:
	s_or_b64 exec, exec, s[20:21]
	v_mov_b32_e32 v3, 0
	global_load_dwordx2 v[0:1], v3, s[6:7] offset:16
	s_mov_b64 s[20:21], exec
	v_mbcnt_lo_u32_b32 v2, s20, 0
	v_mbcnt_hi_u32_b32 v2, s21, v2
	v_cmp_eq_u32_e32 vcc, 0, v2
	s_and_saveexec_b64 s[22:23], vcc
	s_cbranch_execz .LBB5_1312
; %bb.1311:
	s_bcnt1_i32_b64 s15, s[20:21]
	v_mov_b32_e32 v2, s15
	s_waitcnt vmcnt(0)
	global_atomic_add_x2 v[0:1], v[2:3], off offset:8
.LBB5_1312:
	s_or_b64 exec, exec, s[22:23]
	s_waitcnt vmcnt(0)
	global_load_dwordx2 v[2:3], v[0:1], off offset:16
	s_waitcnt vmcnt(0)
	v_cmp_eq_u64_e32 vcc, 0, v[2:3]
	s_cbranch_vccnz .LBB5_1314
; %bb.1313:
	global_load_dword v0, v[0:1], off offset:24
	v_mov_b32_e32 v1, 0
	s_waitcnt vmcnt(0)
	global_store_dwordx2 v[2:3], v[0:1], off
	v_and_b32_e32 v0, 0xffffff, v0
	v_readfirstlane_b32 m0, v0
	s_sendmsg sendmsg(MSG_INTERRUPT)
.LBB5_1314:
	s_or_b64 exec, exec, s[18:19]
	s_branch .LBB5_1318
.LBB5_1315:                             ;   in Loop: Header=BB5_1318 Depth=1
	s_or_b64 exec, exec, s[18:19]
	v_readfirstlane_b32 s15, v0
	s_cmp_eq_u32 s15, 0
	s_cbranch_scc1 .LBB5_1317
; %bb.1316:                             ;   in Loop: Header=BB5_1318 Depth=1
	s_sleep 1
	s_cbranch_execnz .LBB5_1318
	s_branch .LBB5_1320
.LBB5_1317:
	s_branch .LBB5_1320
.LBB5_1318:                             ; =>This Inner Loop Header: Depth=1
	v_mov_b32_e32 v0, 1
	s_and_saveexec_b64 s[18:19], s[4:5]
	s_cbranch_execz .LBB5_1315
; %bb.1319:                             ;   in Loop: Header=BB5_1318 Depth=1
	global_load_dword v0, v[10:11], off offset:20 glc
	s_waitcnt vmcnt(0)
	buffer_wbinvl1_vol
	v_and_b32_e32 v0, 1, v0
	s_branch .LBB5_1315
.LBB5_1320:
	s_and_saveexec_b64 s[18:19], s[4:5]
	s_cbranch_execz .LBB5_1323
; %bb.1321:
	v_mov_b32_e32 v6, 0
	global_load_dwordx2 v[2:3], v6, s[6:7] offset:40
	global_load_dwordx2 v[7:8], v6, s[6:7] offset:24 glc
	global_load_dwordx2 v[4:5], v6, s[6:7]
	v_mov_b32_e32 v1, s17
	s_mov_b64 s[4:5], 0
	s_waitcnt vmcnt(2)
	v_add_co_u32_e32 v9, vcc, 1, v2
	v_addc_co_u32_e32 v10, vcc, 0, v3, vcc
	v_add_co_u32_e32 v0, vcc, s16, v9
	v_addc_co_u32_e32 v1, vcc, v10, v1, vcc
	v_cmp_eq_u64_e32 vcc, 0, v[0:1]
	v_cndmask_b32_e32 v1, v1, v10, vcc
	v_cndmask_b32_e32 v0, v0, v9, vcc
	v_and_b32_e32 v3, v1, v3
	v_and_b32_e32 v2, v0, v2
	v_mul_lo_u32 v3, v3, 24
	v_mul_hi_u32 v9, v2, 24
	v_mul_lo_u32 v10, v2, 24
	s_waitcnt vmcnt(1)
	v_mov_b32_e32 v2, v7
	v_add_u32_e32 v3, v9, v3
	s_waitcnt vmcnt(0)
	v_add_co_u32_e32 v4, vcc, v4, v10
	v_addc_co_u32_e32 v5, vcc, v5, v3, vcc
	global_store_dwordx2 v[4:5], v[7:8], off
	v_mov_b32_e32 v3, v8
	s_waitcnt vmcnt(0)
	global_atomic_cmpswap_x2 v[2:3], v6, v[0:3], s[6:7] offset:24 glc
	s_waitcnt vmcnt(0)
	v_cmp_ne_u64_e32 vcc, v[2:3], v[7:8]
	s_and_b64 exec, exec, vcc
	s_cbranch_execz .LBB5_1323
.LBB5_1322:                             ; =>This Inner Loop Header: Depth=1
	s_sleep 1
	global_store_dwordx2 v[4:5], v[2:3], off
	s_waitcnt vmcnt(0)
	global_atomic_cmpswap_x2 v[7:8], v6, v[0:3], s[6:7] offset:24 glc
	s_waitcnt vmcnt(0)
	v_cmp_eq_u64_e32 vcc, v[7:8], v[2:3]
	v_mov_b32_e32 v2, v7
	s_or_b64 s[4:5], vcc, s[4:5]
	v_mov_b32_e32 v3, v8
	s_andn2_b64 exec, exec, s[4:5]
	s_cbranch_execnz .LBB5_1322
.LBB5_1323:
	s_or_b64 exec, exec, s[18:19]
	v_readfirstlane_b32 s4, v32
	v_mov_b32_e32 v5, 0
	v_mov_b32_e32 v6, 0
	v_cmp_eq_u32_e64 s[4:5], s4, v32
	s_and_saveexec_b64 s[16:17], s[4:5]
	s_cbranch_execz .LBB5_1329
; %bb.1324:
	v_mov_b32_e32 v0, 0
	global_load_dwordx2 v[3:4], v0, s[6:7] offset:24 glc
	s_waitcnt vmcnt(0)
	buffer_wbinvl1_vol
	global_load_dwordx2 v[1:2], v0, s[6:7] offset:40
	global_load_dwordx2 v[5:6], v0, s[6:7]
	s_waitcnt vmcnt(1)
	v_and_b32_e32 v1, v1, v3
	v_and_b32_e32 v2, v2, v4
	v_mul_lo_u32 v2, v2, 24
	v_mul_hi_u32 v7, v1, 24
	v_mul_lo_u32 v1, v1, 24
	v_add_u32_e32 v2, v7, v2
	s_waitcnt vmcnt(0)
	v_add_co_u32_e32 v1, vcc, v5, v1
	v_addc_co_u32_e32 v2, vcc, v6, v2, vcc
	global_load_dwordx2 v[1:2], v[1:2], off glc
	s_waitcnt vmcnt(0)
	global_atomic_cmpswap_x2 v[5:6], v0, v[1:4], s[6:7] offset:24 glc
	s_waitcnt vmcnt(0)
	buffer_wbinvl1_vol
	v_cmp_ne_u64_e32 vcc, v[5:6], v[3:4]
	s_and_saveexec_b64 s[18:19], vcc
	s_cbranch_execz .LBB5_1328
; %bb.1325:
	s_mov_b64 s[20:21], 0
.LBB5_1326:                             ; =>This Inner Loop Header: Depth=1
	s_sleep 1
	global_load_dwordx2 v[1:2], v0, s[6:7] offset:40
	global_load_dwordx2 v[7:8], v0, s[6:7]
	v_mov_b32_e32 v3, v5
	v_mov_b32_e32 v4, v6
	s_waitcnt vmcnt(1)
	v_and_b32_e32 v1, v1, v3
	s_waitcnt vmcnt(0)
	v_mad_u64_u32 v[5:6], s[22:23], v1, 24, v[7:8]
	v_and_b32_e32 v2, v2, v4
	v_mov_b32_e32 v1, v6
	v_mad_u64_u32 v[1:2], s[22:23], v2, 24, v[1:2]
	v_mov_b32_e32 v6, v1
	global_load_dwordx2 v[1:2], v[5:6], off glc
	s_waitcnt vmcnt(0)
	global_atomic_cmpswap_x2 v[5:6], v0, v[1:4], s[6:7] offset:24 glc
	s_waitcnt vmcnt(0)
	buffer_wbinvl1_vol
	v_cmp_eq_u64_e32 vcc, v[5:6], v[3:4]
	s_or_b64 s[20:21], vcc, s[20:21]
	s_andn2_b64 exec, exec, s[20:21]
	s_cbranch_execnz .LBB5_1326
; %bb.1327:
	s_or_b64 exec, exec, s[20:21]
.LBB5_1328:
	s_or_b64 exec, exec, s[18:19]
.LBB5_1329:
	s_or_b64 exec, exec, s[16:17]
	v_mov_b32_e32 v4, 0
	global_load_dwordx2 v[7:8], v4, s[6:7] offset:40
	global_load_dwordx4 v[0:3], v4, s[6:7]
	v_readfirstlane_b32 s16, v5
	v_readfirstlane_b32 s17, v6
	s_mov_b64 s[18:19], exec
	s_waitcnt vmcnt(1)
	v_readfirstlane_b32 s20, v7
	v_readfirstlane_b32 s21, v8
	s_and_b64 s[20:21], s[16:17], s[20:21]
	s_mul_i32 s15, s21, 24
	s_mul_hi_u32 s22, s20, 24
	s_mul_i32 s23, s20, 24
	s_add_i32 s15, s22, s15
	v_mov_b32_e32 v5, s15
	s_waitcnt vmcnt(0)
	v_add_co_u32_e32 v7, vcc, s23, v0
	v_addc_co_u32_e32 v8, vcc, v1, v5, vcc
	s_and_saveexec_b64 s[22:23], s[4:5]
	s_cbranch_execz .LBB5_1331
; %bb.1330:
	v_mov_b32_e32 v9, s18
	v_mov_b32_e32 v10, s19
	;; [unrolled: 1-line block ×4, first 2 shown]
	global_store_dwordx4 v[7:8], v[9:12], off offset:8
.LBB5_1331:
	s_or_b64 exec, exec, s[22:23]
	s_lshl_b64 s[18:19], s[20:21], 12
	v_mov_b32_e32 v5, s19
	v_add_co_u32_e32 v2, vcc, s18, v2
	v_addc_co_u32_e32 v11, vcc, v3, v5, vcc
	s_mov_b32 s20, 0
	v_mov_b32_e32 v3, 33
	v_mov_b32_e32 v5, v4
	;; [unrolled: 1-line block ×3, first 2 shown]
	v_readfirstlane_b32 s18, v2
	v_readfirstlane_b32 s19, v11
	v_add_co_u32_e32 v9, vcc, v2, v31
	s_mov_b32 s21, s20
	s_mov_b32 s22, s20
	;; [unrolled: 1-line block ×3, first 2 shown]
	s_nop 0
	global_store_dwordx4 v31, v[3:6], s[18:19]
	v_mov_b32_e32 v2, s20
	v_addc_co_u32_e32 v10, vcc, 0, v11, vcc
	v_mov_b32_e32 v3, s21
	v_mov_b32_e32 v4, s22
	;; [unrolled: 1-line block ×3, first 2 shown]
	global_store_dwordx4 v31, v[2:5], s[18:19] offset:16
	global_store_dwordx4 v31, v[2:5], s[18:19] offset:32
	;; [unrolled: 1-line block ×3, first 2 shown]
	s_and_saveexec_b64 s[18:19], s[4:5]
	s_cbranch_execz .LBB5_1339
; %bb.1332:
	v_mov_b32_e32 v6, 0
	global_load_dwordx2 v[13:14], v6, s[6:7] offset:32 glc
	global_load_dwordx2 v[2:3], v6, s[6:7] offset:40
	v_mov_b32_e32 v11, s16
	v_mov_b32_e32 v12, s17
	s_waitcnt vmcnt(0)
	v_readfirstlane_b32 s20, v2
	v_readfirstlane_b32 s21, v3
	s_and_b64 s[20:21], s[20:21], s[16:17]
	s_mul_i32 s15, s21, 24
	s_mul_hi_u32 s21, s20, 24
	s_mul_i32 s20, s20, 24
	s_add_i32 s15, s21, s15
	v_mov_b32_e32 v2, s15
	v_add_co_u32_e32 v4, vcc, s20, v0
	v_addc_co_u32_e32 v5, vcc, v1, v2, vcc
	global_store_dwordx2 v[4:5], v[13:14], off
	s_waitcnt vmcnt(0)
	global_atomic_cmpswap_x2 v[2:3], v6, v[11:14], s[6:7] offset:32 glc
	s_waitcnt vmcnt(0)
	v_cmp_ne_u64_e32 vcc, v[2:3], v[13:14]
	s_and_saveexec_b64 s[20:21], vcc
	s_cbranch_execz .LBB5_1335
; %bb.1333:
	s_mov_b64 s[22:23], 0
.LBB5_1334:                             ; =>This Inner Loop Header: Depth=1
	s_sleep 1
	global_store_dwordx2 v[4:5], v[2:3], off
	v_mov_b32_e32 v0, s16
	v_mov_b32_e32 v1, s17
	s_waitcnt vmcnt(0)
	global_atomic_cmpswap_x2 v[0:1], v6, v[0:3], s[6:7] offset:32 glc
	s_waitcnt vmcnt(0)
	v_cmp_eq_u64_e32 vcc, v[0:1], v[2:3]
	v_mov_b32_e32 v3, v1
	s_or_b64 s[22:23], vcc, s[22:23]
	v_mov_b32_e32 v2, v0
	s_andn2_b64 exec, exec, s[22:23]
	s_cbranch_execnz .LBB5_1334
.LBB5_1335:
	s_or_b64 exec, exec, s[20:21]
	v_mov_b32_e32 v3, 0
	global_load_dwordx2 v[0:1], v3, s[6:7] offset:16
	s_mov_b64 s[20:21], exec
	v_mbcnt_lo_u32_b32 v2, s20, 0
	v_mbcnt_hi_u32_b32 v2, s21, v2
	v_cmp_eq_u32_e32 vcc, 0, v2
	s_and_saveexec_b64 s[22:23], vcc
	s_cbranch_execz .LBB5_1337
; %bb.1336:
	s_bcnt1_i32_b64 s15, s[20:21]
	v_mov_b32_e32 v2, s15
	s_waitcnt vmcnt(0)
	global_atomic_add_x2 v[0:1], v[2:3], off offset:8
.LBB5_1337:
	s_or_b64 exec, exec, s[22:23]
	s_waitcnt vmcnt(0)
	global_load_dwordx2 v[2:3], v[0:1], off offset:16
	s_waitcnt vmcnt(0)
	v_cmp_eq_u64_e32 vcc, 0, v[2:3]
	s_cbranch_vccnz .LBB5_1339
; %bb.1338:
	global_load_dword v0, v[0:1], off offset:24
	v_mov_b32_e32 v1, 0
	s_waitcnt vmcnt(0)
	global_store_dwordx2 v[2:3], v[0:1], off
	v_and_b32_e32 v0, 0xffffff, v0
	v_readfirstlane_b32 m0, v0
	s_sendmsg sendmsg(MSG_INTERRUPT)
.LBB5_1339:
	s_or_b64 exec, exec, s[18:19]
	s_branch .LBB5_1343
.LBB5_1340:                             ;   in Loop: Header=BB5_1343 Depth=1
	s_or_b64 exec, exec, s[18:19]
	v_readfirstlane_b32 s15, v0
	s_cmp_eq_u32 s15, 0
	s_cbranch_scc1 .LBB5_1342
; %bb.1341:                             ;   in Loop: Header=BB5_1343 Depth=1
	s_sleep 1
	s_cbranch_execnz .LBB5_1343
	s_branch .LBB5_1345
.LBB5_1342:
	s_branch .LBB5_1345
.LBB5_1343:                             ; =>This Inner Loop Header: Depth=1
	v_mov_b32_e32 v0, 1
	s_and_saveexec_b64 s[18:19], s[4:5]
	s_cbranch_execz .LBB5_1340
; %bb.1344:                             ;   in Loop: Header=BB5_1343 Depth=1
	global_load_dword v0, v[7:8], off offset:20 glc
	s_waitcnt vmcnt(0)
	buffer_wbinvl1_vol
	v_and_b32_e32 v0, 1, v0
	s_branch .LBB5_1340
.LBB5_1345:
	global_load_dwordx2 v[4:5], v[9:10], off
	s_and_saveexec_b64 s[18:19], s[4:5]
	s_cbranch_execz .LBB5_1348
; %bb.1346:
	v_mov_b32_e32 v8, 0
	global_load_dwordx2 v[2:3], v8, s[6:7] offset:40
	global_load_dwordx2 v[9:10], v8, s[6:7] offset:24 glc
	global_load_dwordx2 v[6:7], v8, s[6:7]
	v_mov_b32_e32 v1, s17
	s_mov_b64 s[4:5], 0
	s_waitcnt vmcnt(2)
	v_add_co_u32_e32 v11, vcc, 1, v2
	v_addc_co_u32_e32 v12, vcc, 0, v3, vcc
	v_add_co_u32_e32 v0, vcc, s16, v11
	v_addc_co_u32_e32 v1, vcc, v12, v1, vcc
	v_cmp_eq_u64_e32 vcc, 0, v[0:1]
	v_cndmask_b32_e32 v1, v1, v12, vcc
	v_cndmask_b32_e32 v0, v0, v11, vcc
	v_and_b32_e32 v3, v1, v3
	v_and_b32_e32 v2, v0, v2
	v_mul_lo_u32 v3, v3, 24
	v_mul_hi_u32 v11, v2, 24
	v_mul_lo_u32 v12, v2, 24
	s_waitcnt vmcnt(1)
	v_mov_b32_e32 v2, v9
	v_add_u32_e32 v3, v11, v3
	s_waitcnt vmcnt(0)
	v_add_co_u32_e32 v6, vcc, v6, v12
	v_addc_co_u32_e32 v7, vcc, v7, v3, vcc
	global_store_dwordx2 v[6:7], v[9:10], off
	v_mov_b32_e32 v3, v10
	s_waitcnt vmcnt(0)
	global_atomic_cmpswap_x2 v[2:3], v8, v[0:3], s[6:7] offset:24 glc
	s_waitcnt vmcnt(0)
	v_cmp_ne_u64_e32 vcc, v[2:3], v[9:10]
	s_and_b64 exec, exec, vcc
	s_cbranch_execz .LBB5_1348
.LBB5_1347:                             ; =>This Inner Loop Header: Depth=1
	s_sleep 1
	global_store_dwordx2 v[6:7], v[2:3], off
	s_waitcnt vmcnt(0)
	global_atomic_cmpswap_x2 v[9:10], v8, v[0:3], s[6:7] offset:24 glc
	s_waitcnt vmcnt(0)
	v_cmp_eq_u64_e32 vcc, v[9:10], v[2:3]
	v_mov_b32_e32 v2, v9
	s_or_b64 s[4:5], vcc, s[4:5]
	v_mov_b32_e32 v3, v10
	s_andn2_b64 exec, exec, s[4:5]
	s_cbranch_execnz .LBB5_1347
.LBB5_1348:
	s_or_b64 exec, exec, s[18:19]
	s_and_b64 vcc, exec, s[10:11]
	s_cbranch_vccz .LBB5_1433
; %bb.1349:
	s_waitcnt vmcnt(0)
	v_and_b32_e32 v29, 2, v4
	v_mov_b32_e32 v26, 0
	v_and_b32_e32 v0, -3, v4
	v_mov_b32_e32 v1, v5
	s_mov_b64 s[16:17], 3
	v_mov_b32_e32 v8, 2
	v_mov_b32_e32 v9, 1
	s_getpc_b64 s[10:11]
	s_add_u32 s10, s10, .str.5@rel32@lo+4
	s_addc_u32 s11, s11, .str.5@rel32@hi+12
	s_branch .LBB5_1351
.LBB5_1350:                             ;   in Loop: Header=BB5_1351 Depth=1
	s_or_b64 exec, exec, s[22:23]
	s_sub_u32 s16, s16, s18
	s_subb_u32 s17, s17, s19
	s_add_u32 s10, s10, s18
	s_addc_u32 s11, s11, s19
	s_cmp_lg_u64 s[16:17], 0
	s_cbranch_scc0 .LBB5_1432
.LBB5_1351:                             ; =>This Loop Header: Depth=1
                                        ;     Child Loop BB5_1354 Depth 2
                                        ;     Child Loop BB5_1361 Depth 2
	;; [unrolled: 1-line block ×11, first 2 shown]
	v_cmp_lt_u64_e64 s[4:5], s[16:17], 56
	v_cmp_gt_u64_e64 s[20:21], s[16:17], 7
	s_and_b64 s[4:5], s[4:5], exec
	s_cselect_b32 s19, s17, 0
	s_cselect_b32 s18, s16, 56
	s_and_b64 vcc, exec, s[20:21]
	s_cbranch_vccnz .LBB5_1356
; %bb.1352:                             ;   in Loop: Header=BB5_1351 Depth=1
	s_waitcnt vmcnt(0)
	v_mov_b32_e32 v2, 0
	s_cmp_eq_u64 s[16:17], 0
	v_mov_b32_e32 v3, 0
	s_mov_b64 s[4:5], 0
	s_cbranch_scc1 .LBB5_1355
; %bb.1353:                             ;   in Loop: Header=BB5_1351 Depth=1
	v_mov_b32_e32 v2, 0
	s_lshl_b64 s[20:21], s[18:19], 3
	s_mov_b64 s[22:23], 0
	v_mov_b32_e32 v3, 0
	s_mov_b64 s[24:25], s[10:11]
.LBB5_1354:                             ;   Parent Loop BB5_1351 Depth=1
                                        ; =>  This Inner Loop Header: Depth=2
	global_load_ubyte v6, v26, s[24:25]
	s_waitcnt vmcnt(0)
	v_and_b32_e32 v25, 0xffff, v6
	v_lshlrev_b64 v[6:7], s22, v[25:26]
	s_add_u32 s22, s22, 8
	s_addc_u32 s23, s23, 0
	s_add_u32 s24, s24, 1
	s_addc_u32 s25, s25, 0
	v_or_b32_e32 v2, v6, v2
	s_cmp_lg_u32 s20, s22
	v_or_b32_e32 v3, v7, v3
	s_cbranch_scc1 .LBB5_1354
.LBB5_1355:                             ;   in Loop: Header=BB5_1351 Depth=1
	s_mov_b32 s15, 0
	s_andn2_b64 vcc, exec, s[4:5]
	s_mov_b64 s[4:5], s[10:11]
	s_cbranch_vccz .LBB5_1357
	s_branch .LBB5_1358
.LBB5_1356:                             ;   in Loop: Header=BB5_1351 Depth=1
                                        ; implicit-def: $vgpr2_vgpr3
                                        ; implicit-def: $sgpr15
	s_mov_b64 s[4:5], s[10:11]
.LBB5_1357:                             ;   in Loop: Header=BB5_1351 Depth=1
	global_load_dwordx2 v[2:3], v26, s[10:11]
	s_add_i32 s15, s18, -8
	s_add_u32 s4, s10, 8
	s_addc_u32 s5, s11, 0
.LBB5_1358:                             ;   in Loop: Header=BB5_1351 Depth=1
	s_cmp_gt_u32 s15, 7
	s_cbranch_scc1 .LBB5_1362
; %bb.1359:                             ;   in Loop: Header=BB5_1351 Depth=1
	s_cmp_eq_u32 s15, 0
	s_cbranch_scc1 .LBB5_1363
; %bb.1360:                             ;   in Loop: Header=BB5_1351 Depth=1
	v_mov_b32_e32 v10, 0
	s_mov_b64 s[20:21], 0
	v_mov_b32_e32 v11, 0
	s_mov_b64 s[22:23], 0
.LBB5_1361:                             ;   Parent Loop BB5_1351 Depth=1
                                        ; =>  This Inner Loop Header: Depth=2
	s_add_u32 s24, s4, s22
	s_addc_u32 s25, s5, s23
	global_load_ubyte v6, v26, s[24:25]
	s_add_u32 s22, s22, 1
	s_addc_u32 s23, s23, 0
	s_waitcnt vmcnt(0)
	v_and_b32_e32 v25, 0xffff, v6
	v_lshlrev_b64 v[6:7], s20, v[25:26]
	s_add_u32 s20, s20, 8
	s_addc_u32 s21, s21, 0
	v_or_b32_e32 v10, v6, v10
	s_cmp_lg_u32 s15, s22
	v_or_b32_e32 v11, v7, v11
	s_cbranch_scc1 .LBB5_1361
	s_branch .LBB5_1364
.LBB5_1362:                             ;   in Loop: Header=BB5_1351 Depth=1
                                        ; implicit-def: $vgpr10_vgpr11
                                        ; implicit-def: $sgpr24
	s_branch .LBB5_1365
.LBB5_1363:                             ;   in Loop: Header=BB5_1351 Depth=1
	v_mov_b32_e32 v10, 0
	v_mov_b32_e32 v11, 0
.LBB5_1364:                             ;   in Loop: Header=BB5_1351 Depth=1
	s_mov_b32 s24, 0
	s_cbranch_execnz .LBB5_1366
.LBB5_1365:                             ;   in Loop: Header=BB5_1351 Depth=1
	global_load_dwordx2 v[10:11], v26, s[4:5]
	s_add_i32 s24, s15, -8
	s_add_u32 s4, s4, 8
	s_addc_u32 s5, s5, 0
.LBB5_1366:                             ;   in Loop: Header=BB5_1351 Depth=1
	s_cmp_gt_u32 s24, 7
	s_cbranch_scc1 .LBB5_1370
; %bb.1367:                             ;   in Loop: Header=BB5_1351 Depth=1
	s_cmp_eq_u32 s24, 0
	s_cbranch_scc1 .LBB5_1371
; %bb.1368:                             ;   in Loop: Header=BB5_1351 Depth=1
	v_mov_b32_e32 v12, 0
	s_mov_b64 s[20:21], 0
	v_mov_b32_e32 v13, 0
	s_mov_b64 s[22:23], 0
.LBB5_1369:                             ;   Parent Loop BB5_1351 Depth=1
                                        ; =>  This Inner Loop Header: Depth=2
	s_add_u32 s26, s4, s22
	s_addc_u32 s27, s5, s23
	global_load_ubyte v6, v26, s[26:27]
	s_add_u32 s22, s22, 1
	s_addc_u32 s23, s23, 0
	s_waitcnt vmcnt(0)
	v_and_b32_e32 v25, 0xffff, v6
	v_lshlrev_b64 v[6:7], s20, v[25:26]
	s_add_u32 s20, s20, 8
	s_addc_u32 s21, s21, 0
	v_or_b32_e32 v12, v6, v12
	s_cmp_lg_u32 s24, s22
	v_or_b32_e32 v13, v7, v13
	s_cbranch_scc1 .LBB5_1369
	s_branch .LBB5_1372
.LBB5_1370:                             ;   in Loop: Header=BB5_1351 Depth=1
                                        ; implicit-def: $sgpr15
	s_branch .LBB5_1373
.LBB5_1371:                             ;   in Loop: Header=BB5_1351 Depth=1
	v_mov_b32_e32 v12, 0
	v_mov_b32_e32 v13, 0
.LBB5_1372:                             ;   in Loop: Header=BB5_1351 Depth=1
	s_mov_b32 s15, 0
	s_cbranch_execnz .LBB5_1374
.LBB5_1373:                             ;   in Loop: Header=BB5_1351 Depth=1
	global_load_dwordx2 v[12:13], v26, s[4:5]
	s_add_i32 s15, s24, -8
	s_add_u32 s4, s4, 8
	s_addc_u32 s5, s5, 0
.LBB5_1374:                             ;   in Loop: Header=BB5_1351 Depth=1
	s_cmp_gt_u32 s15, 7
	s_cbranch_scc1 .LBB5_1378
; %bb.1375:                             ;   in Loop: Header=BB5_1351 Depth=1
	s_cmp_eq_u32 s15, 0
	s_cbranch_scc1 .LBB5_1379
; %bb.1376:                             ;   in Loop: Header=BB5_1351 Depth=1
	v_mov_b32_e32 v14, 0
	s_mov_b64 s[20:21], 0
	v_mov_b32_e32 v15, 0
	s_mov_b64 s[22:23], 0
.LBB5_1377:                             ;   Parent Loop BB5_1351 Depth=1
                                        ; =>  This Inner Loop Header: Depth=2
	s_add_u32 s24, s4, s22
	s_addc_u32 s25, s5, s23
	global_load_ubyte v6, v26, s[24:25]
	s_add_u32 s22, s22, 1
	s_addc_u32 s23, s23, 0
	s_waitcnt vmcnt(0)
	v_and_b32_e32 v25, 0xffff, v6
	v_lshlrev_b64 v[6:7], s20, v[25:26]
	s_add_u32 s20, s20, 8
	s_addc_u32 s21, s21, 0
	v_or_b32_e32 v14, v6, v14
	s_cmp_lg_u32 s15, s22
	v_or_b32_e32 v15, v7, v15
	s_cbranch_scc1 .LBB5_1377
	s_branch .LBB5_1380
.LBB5_1378:                             ;   in Loop: Header=BB5_1351 Depth=1
                                        ; implicit-def: $vgpr14_vgpr15
                                        ; implicit-def: $sgpr24
	s_branch .LBB5_1381
.LBB5_1379:                             ;   in Loop: Header=BB5_1351 Depth=1
	v_mov_b32_e32 v14, 0
	v_mov_b32_e32 v15, 0
.LBB5_1380:                             ;   in Loop: Header=BB5_1351 Depth=1
	s_mov_b32 s24, 0
	s_cbranch_execnz .LBB5_1382
.LBB5_1381:                             ;   in Loop: Header=BB5_1351 Depth=1
	global_load_dwordx2 v[14:15], v26, s[4:5]
	s_add_i32 s24, s15, -8
	s_add_u32 s4, s4, 8
	s_addc_u32 s5, s5, 0
.LBB5_1382:                             ;   in Loop: Header=BB5_1351 Depth=1
	s_cmp_gt_u32 s24, 7
	s_cbranch_scc1 .LBB5_1386
; %bb.1383:                             ;   in Loop: Header=BB5_1351 Depth=1
	s_cmp_eq_u32 s24, 0
	s_cbranch_scc1 .LBB5_1387
; %bb.1384:                             ;   in Loop: Header=BB5_1351 Depth=1
	v_mov_b32_e32 v16, 0
	s_mov_b64 s[20:21], 0
	v_mov_b32_e32 v17, 0
	s_mov_b64 s[22:23], 0
.LBB5_1385:                             ;   Parent Loop BB5_1351 Depth=1
                                        ; =>  This Inner Loop Header: Depth=2
	s_add_u32 s26, s4, s22
	s_addc_u32 s27, s5, s23
	global_load_ubyte v6, v26, s[26:27]
	s_add_u32 s22, s22, 1
	s_addc_u32 s23, s23, 0
	s_waitcnt vmcnt(0)
	v_and_b32_e32 v25, 0xffff, v6
	v_lshlrev_b64 v[6:7], s20, v[25:26]
	s_add_u32 s20, s20, 8
	s_addc_u32 s21, s21, 0
	v_or_b32_e32 v16, v6, v16
	s_cmp_lg_u32 s24, s22
	v_or_b32_e32 v17, v7, v17
	s_cbranch_scc1 .LBB5_1385
	s_branch .LBB5_1388
.LBB5_1386:                             ;   in Loop: Header=BB5_1351 Depth=1
                                        ; implicit-def: $sgpr15
	s_branch .LBB5_1389
.LBB5_1387:                             ;   in Loop: Header=BB5_1351 Depth=1
	v_mov_b32_e32 v16, 0
	v_mov_b32_e32 v17, 0
.LBB5_1388:                             ;   in Loop: Header=BB5_1351 Depth=1
	s_mov_b32 s15, 0
	s_cbranch_execnz .LBB5_1390
.LBB5_1389:                             ;   in Loop: Header=BB5_1351 Depth=1
	global_load_dwordx2 v[16:17], v26, s[4:5]
	s_add_i32 s15, s24, -8
	s_add_u32 s4, s4, 8
	s_addc_u32 s5, s5, 0
.LBB5_1390:                             ;   in Loop: Header=BB5_1351 Depth=1
	s_cmp_gt_u32 s15, 7
	s_cbranch_scc1 .LBB5_1394
; %bb.1391:                             ;   in Loop: Header=BB5_1351 Depth=1
	s_cmp_eq_u32 s15, 0
	s_cbranch_scc1 .LBB5_1395
; %bb.1392:                             ;   in Loop: Header=BB5_1351 Depth=1
	v_mov_b32_e32 v18, 0
	s_mov_b64 s[20:21], 0
	v_mov_b32_e32 v19, 0
	s_mov_b64 s[22:23], 0
.LBB5_1393:                             ;   Parent Loop BB5_1351 Depth=1
                                        ; =>  This Inner Loop Header: Depth=2
	s_add_u32 s24, s4, s22
	s_addc_u32 s25, s5, s23
	global_load_ubyte v6, v26, s[24:25]
	s_add_u32 s22, s22, 1
	s_addc_u32 s23, s23, 0
	s_waitcnt vmcnt(0)
	v_and_b32_e32 v25, 0xffff, v6
	v_lshlrev_b64 v[6:7], s20, v[25:26]
	s_add_u32 s20, s20, 8
	s_addc_u32 s21, s21, 0
	v_or_b32_e32 v18, v6, v18
	s_cmp_lg_u32 s15, s22
	v_or_b32_e32 v19, v7, v19
	s_cbranch_scc1 .LBB5_1393
	s_branch .LBB5_1396
.LBB5_1394:                             ;   in Loop: Header=BB5_1351 Depth=1
                                        ; implicit-def: $vgpr18_vgpr19
                                        ; implicit-def: $sgpr24
	s_branch .LBB5_1397
.LBB5_1395:                             ;   in Loop: Header=BB5_1351 Depth=1
	v_mov_b32_e32 v18, 0
	v_mov_b32_e32 v19, 0
.LBB5_1396:                             ;   in Loop: Header=BB5_1351 Depth=1
	s_mov_b32 s24, 0
	s_cbranch_execnz .LBB5_1398
.LBB5_1397:                             ;   in Loop: Header=BB5_1351 Depth=1
	global_load_dwordx2 v[18:19], v26, s[4:5]
	s_add_i32 s24, s15, -8
	s_add_u32 s4, s4, 8
	s_addc_u32 s5, s5, 0
.LBB5_1398:                             ;   in Loop: Header=BB5_1351 Depth=1
	s_cmp_gt_u32 s24, 7
	s_cbranch_scc1 .LBB5_1402
; %bb.1399:                             ;   in Loop: Header=BB5_1351 Depth=1
	s_cmp_eq_u32 s24, 0
	s_cbranch_scc1 .LBB5_1403
; %bb.1400:                             ;   in Loop: Header=BB5_1351 Depth=1
	v_mov_b32_e32 v20, 0
	s_mov_b64 s[20:21], 0
	v_mov_b32_e32 v21, 0
	s_mov_b64 s[22:23], s[4:5]
.LBB5_1401:                             ;   Parent Loop BB5_1351 Depth=1
                                        ; =>  This Inner Loop Header: Depth=2
	global_load_ubyte v6, v26, s[22:23]
	s_add_i32 s24, s24, -1
	s_waitcnt vmcnt(0)
	v_and_b32_e32 v25, 0xffff, v6
	v_lshlrev_b64 v[6:7], s20, v[25:26]
	s_add_u32 s20, s20, 8
	s_addc_u32 s21, s21, 0
	s_add_u32 s22, s22, 1
	s_addc_u32 s23, s23, 0
	v_or_b32_e32 v20, v6, v20
	s_cmp_lg_u32 s24, 0
	v_or_b32_e32 v21, v7, v21
	s_cbranch_scc1 .LBB5_1401
	s_branch .LBB5_1404
.LBB5_1402:                             ;   in Loop: Header=BB5_1351 Depth=1
	s_branch .LBB5_1405
.LBB5_1403:                             ;   in Loop: Header=BB5_1351 Depth=1
	v_mov_b32_e32 v20, 0
	v_mov_b32_e32 v21, 0
.LBB5_1404:                             ;   in Loop: Header=BB5_1351 Depth=1
	s_cbranch_execnz .LBB5_1406
.LBB5_1405:                             ;   in Loop: Header=BB5_1351 Depth=1
	global_load_dwordx2 v[20:21], v26, s[4:5]
.LBB5_1406:                             ;   in Loop: Header=BB5_1351 Depth=1
	v_readfirstlane_b32 s4, v32
	v_mov_b32_e32 v6, 0
	v_mov_b32_e32 v7, 0
	v_cmp_eq_u32_e64 s[4:5], s4, v32
	s_and_saveexec_b64 s[20:21], s[4:5]
	s_cbranch_execz .LBB5_1412
; %bb.1407:                             ;   in Loop: Header=BB5_1351 Depth=1
	global_load_dwordx2 v[24:25], v26, s[6:7] offset:24 glc
	s_waitcnt vmcnt(0)
	buffer_wbinvl1_vol
	global_load_dwordx2 v[6:7], v26, s[6:7] offset:40
	global_load_dwordx2 v[22:23], v26, s[6:7]
	s_waitcnt vmcnt(1)
	v_and_b32_e32 v6, v6, v24
	v_and_b32_e32 v7, v7, v25
	v_mul_lo_u32 v7, v7, 24
	v_mul_hi_u32 v27, v6, 24
	v_mul_lo_u32 v6, v6, 24
	v_add_u32_e32 v7, v27, v7
	s_waitcnt vmcnt(0)
	v_add_co_u32_e32 v6, vcc, v22, v6
	v_addc_co_u32_e32 v7, vcc, v23, v7, vcc
	global_load_dwordx2 v[22:23], v[6:7], off glc
	s_waitcnt vmcnt(0)
	global_atomic_cmpswap_x2 v[6:7], v26, v[22:25], s[6:7] offset:24 glc
	s_waitcnt vmcnt(0)
	buffer_wbinvl1_vol
	v_cmp_ne_u64_e32 vcc, v[6:7], v[24:25]
	s_and_saveexec_b64 s[22:23], vcc
	s_cbranch_execz .LBB5_1411
; %bb.1408:                             ;   in Loop: Header=BB5_1351 Depth=1
	s_mov_b64 s[24:25], 0
.LBB5_1409:                             ;   Parent Loop BB5_1351 Depth=1
                                        ; =>  This Inner Loop Header: Depth=2
	s_sleep 1
	global_load_dwordx2 v[22:23], v26, s[6:7] offset:40
	global_load_dwordx2 v[27:28], v26, s[6:7]
	v_mov_b32_e32 v25, v7
	v_mov_b32_e32 v24, v6
	s_waitcnt vmcnt(1)
	v_and_b32_e32 v6, v22, v24
	s_waitcnt vmcnt(0)
	v_mad_u64_u32 v[6:7], s[26:27], v6, 24, v[27:28]
	v_and_b32_e32 v22, v23, v25
	v_mad_u64_u32 v[22:23], s[26:27], v22, 24, v[7:8]
	v_mov_b32_e32 v7, v22
	global_load_dwordx2 v[22:23], v[6:7], off glc
	s_waitcnt vmcnt(0)
	global_atomic_cmpswap_x2 v[6:7], v26, v[22:25], s[6:7] offset:24 glc
	s_waitcnt vmcnt(0)
	buffer_wbinvl1_vol
	v_cmp_eq_u64_e32 vcc, v[6:7], v[24:25]
	s_or_b64 s[24:25], vcc, s[24:25]
	s_andn2_b64 exec, exec, s[24:25]
	s_cbranch_execnz .LBB5_1409
; %bb.1410:                             ;   in Loop: Header=BB5_1351 Depth=1
	s_or_b64 exec, exec, s[24:25]
.LBB5_1411:                             ;   in Loop: Header=BB5_1351 Depth=1
	s_or_b64 exec, exec, s[22:23]
.LBB5_1412:                             ;   in Loop: Header=BB5_1351 Depth=1
	s_or_b64 exec, exec, s[20:21]
	global_load_dwordx2 v[27:28], v26, s[6:7] offset:40
	global_load_dwordx4 v[22:25], v26, s[6:7]
	v_readfirstlane_b32 s20, v6
	v_readfirstlane_b32 s21, v7
	s_mov_b64 s[22:23], exec
	s_waitcnt vmcnt(1)
	v_readfirstlane_b32 s24, v27
	v_readfirstlane_b32 s25, v28
	s_and_b64 s[24:25], s[20:21], s[24:25]
	s_mul_i32 s15, s25, 24
	s_mul_hi_u32 s26, s24, 24
	s_mul_i32 s27, s24, 24
	s_add_i32 s15, s26, s15
	v_mov_b32_e32 v6, s15
	s_waitcnt vmcnt(0)
	v_add_co_u32_e32 v27, vcc, s27, v22
	v_addc_co_u32_e32 v28, vcc, v23, v6, vcc
	s_and_saveexec_b64 s[26:27], s[4:5]
	s_cbranch_execz .LBB5_1414
; %bb.1413:                             ;   in Loop: Header=BB5_1351 Depth=1
	v_mov_b32_e32 v6, s22
	v_mov_b32_e32 v7, s23
	global_store_dwordx4 v[27:28], v[6:9], off offset:8
.LBB5_1414:                             ;   in Loop: Header=BB5_1351 Depth=1
	s_or_b64 exec, exec, s[26:27]
	s_lshl_b64 s[22:23], s[24:25], 12
	v_mov_b32_e32 v6, s23
	v_add_co_u32_e32 v24, vcc, s22, v24
	v_addc_co_u32_e32 v30, vcc, v25, v6, vcc
	v_cmp_gt_u64_e64 vcc, s[16:17], 56
	v_or_b32_e32 v7, v0, v29
	s_lshl_b32 s15, s18, 2
	v_cndmask_b32_e32 v0, v7, v0, vcc
	s_add_i32 s15, s15, 28
	v_or_b32_e32 v6, 0, v1
	s_and_b32 s15, s15, 0x1e0
	v_and_b32_e32 v0, 0xffffff1f, v0
	v_cndmask_b32_e32 v1, v6, v1, vcc
	v_or_b32_e32 v0, s15, v0
	v_readfirstlane_b32 s22, v24
	v_readfirstlane_b32 s23, v30
	s_nop 4
	global_store_dwordx4 v31, v[0:3], s[22:23]
	global_store_dwordx4 v31, v[10:13], s[22:23] offset:16
	global_store_dwordx4 v31, v[14:17], s[22:23] offset:32
	;; [unrolled: 1-line block ×3, first 2 shown]
	s_and_saveexec_b64 s[22:23], s[4:5]
	s_cbranch_execz .LBB5_1422
; %bb.1415:                             ;   in Loop: Header=BB5_1351 Depth=1
	global_load_dwordx2 v[12:13], v26, s[6:7] offset:32 glc
	global_load_dwordx2 v[0:1], v26, s[6:7] offset:40
	v_mov_b32_e32 v10, s20
	v_mov_b32_e32 v11, s21
	s_waitcnt vmcnt(0)
	v_readfirstlane_b32 s24, v0
	v_readfirstlane_b32 s25, v1
	s_and_b64 s[24:25], s[24:25], s[20:21]
	s_mul_i32 s15, s25, 24
	s_mul_hi_u32 s25, s24, 24
	s_mul_i32 s24, s24, 24
	s_add_i32 s15, s25, s15
	v_mov_b32_e32 v0, s15
	v_add_co_u32_e32 v6, vcc, s24, v22
	v_addc_co_u32_e32 v7, vcc, v23, v0, vcc
	global_store_dwordx2 v[6:7], v[12:13], off
	s_waitcnt vmcnt(0)
	global_atomic_cmpswap_x2 v[2:3], v26, v[10:13], s[6:7] offset:32 glc
	s_waitcnt vmcnt(0)
	v_cmp_ne_u64_e32 vcc, v[2:3], v[12:13]
	s_and_saveexec_b64 s[24:25], vcc
	s_cbranch_execz .LBB5_1418
; %bb.1416:                             ;   in Loop: Header=BB5_1351 Depth=1
	s_mov_b64 s[26:27], 0
.LBB5_1417:                             ;   Parent Loop BB5_1351 Depth=1
                                        ; =>  This Inner Loop Header: Depth=2
	s_sleep 1
	global_store_dwordx2 v[6:7], v[2:3], off
	v_mov_b32_e32 v0, s20
	v_mov_b32_e32 v1, s21
	s_waitcnt vmcnt(0)
	global_atomic_cmpswap_x2 v[0:1], v26, v[0:3], s[6:7] offset:32 glc
	s_waitcnt vmcnt(0)
	v_cmp_eq_u64_e32 vcc, v[0:1], v[2:3]
	v_mov_b32_e32 v3, v1
	s_or_b64 s[26:27], vcc, s[26:27]
	v_mov_b32_e32 v2, v0
	s_andn2_b64 exec, exec, s[26:27]
	s_cbranch_execnz .LBB5_1417
.LBB5_1418:                             ;   in Loop: Header=BB5_1351 Depth=1
	s_or_b64 exec, exec, s[24:25]
	global_load_dwordx2 v[0:1], v26, s[6:7] offset:16
	s_mov_b64 s[26:27], exec
	v_mbcnt_lo_u32_b32 v2, s26, 0
	v_mbcnt_hi_u32_b32 v2, s27, v2
	v_cmp_eq_u32_e32 vcc, 0, v2
	s_and_saveexec_b64 s[24:25], vcc
	s_cbranch_execz .LBB5_1420
; %bb.1419:                             ;   in Loop: Header=BB5_1351 Depth=1
	s_bcnt1_i32_b64 s15, s[26:27]
	v_mov_b32_e32 v25, s15
	s_waitcnt vmcnt(0)
	global_atomic_add_x2 v[0:1], v[25:26], off offset:8
.LBB5_1420:                             ;   in Loop: Header=BB5_1351 Depth=1
	s_or_b64 exec, exec, s[24:25]
	s_waitcnt vmcnt(0)
	global_load_dwordx2 v[2:3], v[0:1], off offset:16
	s_waitcnt vmcnt(0)
	v_cmp_eq_u64_e32 vcc, 0, v[2:3]
	s_cbranch_vccnz .LBB5_1422
; %bb.1421:                             ;   in Loop: Header=BB5_1351 Depth=1
	global_load_dword v25, v[0:1], off offset:24
	s_waitcnt vmcnt(0)
	v_and_b32_e32 v0, 0xffffff, v25
	v_readfirstlane_b32 m0, v0
	global_store_dwordx2 v[2:3], v[25:26], off
	s_sendmsg sendmsg(MSG_INTERRUPT)
.LBB5_1422:                             ;   in Loop: Header=BB5_1351 Depth=1
	s_or_b64 exec, exec, s[22:23]
	v_add_co_u32_e32 v0, vcc, v24, v31
	v_addc_co_u32_e32 v1, vcc, 0, v30, vcc
	s_branch .LBB5_1426
.LBB5_1423:                             ;   in Loop: Header=BB5_1426 Depth=2
	s_or_b64 exec, exec, s[22:23]
	v_readfirstlane_b32 s15, v2
	s_cmp_eq_u32 s15, 0
	s_cbranch_scc1 .LBB5_1425
; %bb.1424:                             ;   in Loop: Header=BB5_1426 Depth=2
	s_sleep 1
	s_cbranch_execnz .LBB5_1426
	s_branch .LBB5_1428
.LBB5_1425:                             ;   in Loop: Header=BB5_1351 Depth=1
	s_branch .LBB5_1428
.LBB5_1426:                             ;   Parent Loop BB5_1351 Depth=1
                                        ; =>  This Inner Loop Header: Depth=2
	v_mov_b32_e32 v2, 1
	s_and_saveexec_b64 s[22:23], s[4:5]
	s_cbranch_execz .LBB5_1423
; %bb.1427:                             ;   in Loop: Header=BB5_1426 Depth=2
	global_load_dword v2, v[27:28], off offset:20 glc
	s_waitcnt vmcnt(0)
	buffer_wbinvl1_vol
	v_and_b32_e32 v2, 1, v2
	s_branch .LBB5_1423
.LBB5_1428:                             ;   in Loop: Header=BB5_1351 Depth=1
	global_load_dwordx4 v[0:3], v[0:1], off
	s_and_saveexec_b64 s[22:23], s[4:5]
	s_cbranch_execz .LBB5_1350
; %bb.1429:                             ;   in Loop: Header=BB5_1351 Depth=1
	global_load_dwordx2 v[2:3], v26, s[6:7] offset:40
	global_load_dwordx2 v[6:7], v26, s[6:7] offset:24 glc
	global_load_dwordx2 v[13:14], v26, s[6:7]
	v_mov_b32_e32 v11, s21
	s_waitcnt vmcnt(2)
	v_add_co_u32_e32 v12, vcc, 1, v2
	v_addc_co_u32_e32 v15, vcc, 0, v3, vcc
	v_add_co_u32_e32 v10, vcc, s20, v12
	v_addc_co_u32_e32 v11, vcc, v15, v11, vcc
	v_cmp_eq_u64_e32 vcc, 0, v[10:11]
	v_cndmask_b32_e32 v11, v11, v15, vcc
	v_cndmask_b32_e32 v10, v10, v12, vcc
	v_and_b32_e32 v3, v11, v3
	v_and_b32_e32 v2, v10, v2
	v_mul_lo_u32 v3, v3, 24
	v_mul_hi_u32 v15, v2, 24
	v_mul_lo_u32 v2, v2, 24
	s_waitcnt vmcnt(1)
	v_mov_b32_e32 v12, v6
	v_add_u32_e32 v3, v15, v3
	s_waitcnt vmcnt(0)
	v_add_co_u32_e32 v2, vcc, v13, v2
	v_addc_co_u32_e32 v3, vcc, v14, v3, vcc
	global_store_dwordx2 v[2:3], v[6:7], off
	v_mov_b32_e32 v13, v7
	s_waitcnt vmcnt(0)
	global_atomic_cmpswap_x2 v[12:13], v26, v[10:13], s[6:7] offset:24 glc
	s_waitcnt vmcnt(0)
	v_cmp_ne_u64_e32 vcc, v[12:13], v[6:7]
	s_and_b64 exec, exec, vcc
	s_cbranch_execz .LBB5_1350
; %bb.1430:                             ;   in Loop: Header=BB5_1351 Depth=1
	s_mov_b64 s[4:5], 0
.LBB5_1431:                             ;   Parent Loop BB5_1351 Depth=1
                                        ; =>  This Inner Loop Header: Depth=2
	s_sleep 1
	global_store_dwordx2 v[2:3], v[12:13], off
	s_waitcnt vmcnt(0)
	global_atomic_cmpswap_x2 v[6:7], v26, v[10:13], s[6:7] offset:24 glc
	s_waitcnt vmcnt(0)
	v_cmp_eq_u64_e32 vcc, v[6:7], v[12:13]
	v_mov_b32_e32 v13, v7
	s_or_b64 s[4:5], vcc, s[4:5]
	v_mov_b32_e32 v12, v6
	s_andn2_b64 exec, exec, s[4:5]
	s_cbranch_execnz .LBB5_1431
	s_branch .LBB5_1350
.LBB5_1432:
	s_branch .LBB5_1460
.LBB5_1433:
                                        ; implicit-def: $vgpr0_vgpr1
	s_cbranch_execz .LBB5_1460
; %bb.1434:
	v_readfirstlane_b32 s4, v32
	v_mov_b32_e32 v7, 0
	v_mov_b32_e32 v8, 0
	v_cmp_eq_u32_e64 s[4:5], s4, v32
	s_and_saveexec_b64 s[10:11], s[4:5]
	s_cbranch_execz .LBB5_1440
; %bb.1435:
	s_waitcnt vmcnt(0)
	v_mov_b32_e32 v0, 0
	global_load_dwordx2 v[9:10], v0, s[6:7] offset:24 glc
	s_waitcnt vmcnt(0)
	buffer_wbinvl1_vol
	global_load_dwordx2 v[1:2], v0, s[6:7] offset:40
	global_load_dwordx2 v[6:7], v0, s[6:7]
	s_waitcnt vmcnt(1)
	v_and_b32_e32 v1, v1, v9
	v_and_b32_e32 v2, v2, v10
	v_mul_lo_u32 v2, v2, 24
	v_mul_hi_u32 v3, v1, 24
	v_mul_lo_u32 v1, v1, 24
	v_add_u32_e32 v2, v3, v2
	s_waitcnt vmcnt(0)
	v_add_co_u32_e32 v1, vcc, v6, v1
	v_addc_co_u32_e32 v2, vcc, v7, v2, vcc
	global_load_dwordx2 v[7:8], v[1:2], off glc
	s_waitcnt vmcnt(0)
	global_atomic_cmpswap_x2 v[7:8], v0, v[7:10], s[6:7] offset:24 glc
	s_waitcnt vmcnt(0)
	buffer_wbinvl1_vol
	v_cmp_ne_u64_e32 vcc, v[7:8], v[9:10]
	s_and_saveexec_b64 s[16:17], vcc
	s_cbranch_execz .LBB5_1439
; %bb.1436:
	s_mov_b64 s[18:19], 0
.LBB5_1437:                             ; =>This Inner Loop Header: Depth=1
	s_sleep 1
	global_load_dwordx2 v[1:2], v0, s[6:7] offset:40
	global_load_dwordx2 v[11:12], v0, s[6:7]
	v_mov_b32_e32 v10, v8
	v_mov_b32_e32 v9, v7
	s_waitcnt vmcnt(1)
	v_and_b32_e32 v1, v1, v9
	s_waitcnt vmcnt(0)
	v_mad_u64_u32 v[6:7], s[20:21], v1, 24, v[11:12]
	v_and_b32_e32 v2, v2, v10
	v_mov_b32_e32 v1, v7
	v_mad_u64_u32 v[1:2], s[20:21], v2, 24, v[1:2]
	v_mov_b32_e32 v7, v1
	global_load_dwordx2 v[7:8], v[6:7], off glc
	s_waitcnt vmcnt(0)
	global_atomic_cmpswap_x2 v[7:8], v0, v[7:10], s[6:7] offset:24 glc
	s_waitcnt vmcnt(0)
	buffer_wbinvl1_vol
	v_cmp_eq_u64_e32 vcc, v[7:8], v[9:10]
	s_or_b64 s[18:19], vcc, s[18:19]
	s_andn2_b64 exec, exec, s[18:19]
	s_cbranch_execnz .LBB5_1437
; %bb.1438:
	s_or_b64 exec, exec, s[18:19]
.LBB5_1439:
	s_or_b64 exec, exec, s[16:17]
.LBB5_1440:
	s_or_b64 exec, exec, s[10:11]
	v_mov_b32_e32 v6, 0
	global_load_dwordx2 v[9:10], v6, s[6:7] offset:40
	global_load_dwordx4 v[0:3], v6, s[6:7]
	v_readfirstlane_b32 s10, v7
	v_readfirstlane_b32 s11, v8
	s_mov_b64 s[16:17], exec
	s_waitcnt vmcnt(1)
	v_readfirstlane_b32 s18, v9
	v_readfirstlane_b32 s19, v10
	s_and_b64 s[18:19], s[10:11], s[18:19]
	s_mul_i32 s15, s19, 24
	s_mul_hi_u32 s20, s18, 24
	s_mul_i32 s21, s18, 24
	s_add_i32 s15, s20, s15
	v_mov_b32_e32 v7, s15
	s_waitcnt vmcnt(0)
	v_add_co_u32_e32 v8, vcc, s21, v0
	v_addc_co_u32_e32 v9, vcc, v1, v7, vcc
	s_and_saveexec_b64 s[20:21], s[4:5]
	s_cbranch_execz .LBB5_1442
; %bb.1441:
	v_mov_b32_e32 v10, s16
	v_mov_b32_e32 v11, s17
	;; [unrolled: 1-line block ×4, first 2 shown]
	global_store_dwordx4 v[8:9], v[10:13], off offset:8
.LBB5_1442:
	s_or_b64 exec, exec, s[20:21]
	s_lshl_b64 s[16:17], s[18:19], 12
	v_mov_b32_e32 v7, s17
	v_add_co_u32_e32 v2, vcc, s16, v2
	v_addc_co_u32_e32 v3, vcc, v3, v7, vcc
	s_movk_i32 s15, 0xff1f
	v_and_or_b32 v4, v4, s15, 32
	v_add_co_u32_e32 v10, vcc, v2, v31
	s_mov_b32 s16, 0
	v_mov_b32_e32 v7, v6
	v_readfirstlane_b32 s20, v2
	v_readfirstlane_b32 s21, v3
	v_addc_co_u32_e32 v11, vcc, 0, v3, vcc
	s_mov_b32 s17, s16
	s_mov_b32 s18, s16
	;; [unrolled: 1-line block ×3, first 2 shown]
	s_nop 0
	global_store_dwordx4 v31, v[4:7], s[20:21]
	v_mov_b32_e32 v2, s16
	v_mov_b32_e32 v3, s17
	v_mov_b32_e32 v4, s18
	v_mov_b32_e32 v5, s19
	global_store_dwordx4 v31, v[2:5], s[20:21] offset:16
	global_store_dwordx4 v31, v[2:5], s[20:21] offset:32
	;; [unrolled: 1-line block ×3, first 2 shown]
	s_and_saveexec_b64 s[16:17], s[4:5]
	s_cbranch_execz .LBB5_1450
; %bb.1443:
	v_mov_b32_e32 v6, 0
	global_load_dwordx2 v[14:15], v6, s[6:7] offset:32 glc
	global_load_dwordx2 v[2:3], v6, s[6:7] offset:40
	v_mov_b32_e32 v12, s10
	v_mov_b32_e32 v13, s11
	s_waitcnt vmcnt(0)
	v_readfirstlane_b32 s18, v2
	v_readfirstlane_b32 s19, v3
	s_and_b64 s[18:19], s[18:19], s[10:11]
	s_mul_i32 s15, s19, 24
	s_mul_hi_u32 s19, s18, 24
	s_mul_i32 s18, s18, 24
	s_add_i32 s15, s19, s15
	v_mov_b32_e32 v2, s15
	v_add_co_u32_e32 v4, vcc, s18, v0
	v_addc_co_u32_e32 v5, vcc, v1, v2, vcc
	global_store_dwordx2 v[4:5], v[14:15], off
	s_waitcnt vmcnt(0)
	global_atomic_cmpswap_x2 v[2:3], v6, v[12:15], s[6:7] offset:32 glc
	s_waitcnt vmcnt(0)
	v_cmp_ne_u64_e32 vcc, v[2:3], v[14:15]
	s_and_saveexec_b64 s[18:19], vcc
	s_cbranch_execz .LBB5_1446
; %bb.1444:
	s_mov_b64 s[20:21], 0
.LBB5_1445:                             ; =>This Inner Loop Header: Depth=1
	s_sleep 1
	global_store_dwordx2 v[4:5], v[2:3], off
	v_mov_b32_e32 v0, s10
	v_mov_b32_e32 v1, s11
	s_waitcnt vmcnt(0)
	global_atomic_cmpswap_x2 v[0:1], v6, v[0:3], s[6:7] offset:32 glc
	s_waitcnt vmcnt(0)
	v_cmp_eq_u64_e32 vcc, v[0:1], v[2:3]
	v_mov_b32_e32 v3, v1
	s_or_b64 s[20:21], vcc, s[20:21]
	v_mov_b32_e32 v2, v0
	s_andn2_b64 exec, exec, s[20:21]
	s_cbranch_execnz .LBB5_1445
.LBB5_1446:
	s_or_b64 exec, exec, s[18:19]
	v_mov_b32_e32 v3, 0
	global_load_dwordx2 v[0:1], v3, s[6:7] offset:16
	s_mov_b64 s[18:19], exec
	v_mbcnt_lo_u32_b32 v2, s18, 0
	v_mbcnt_hi_u32_b32 v2, s19, v2
	v_cmp_eq_u32_e32 vcc, 0, v2
	s_and_saveexec_b64 s[20:21], vcc
	s_cbranch_execz .LBB5_1448
; %bb.1447:
	s_bcnt1_i32_b64 s15, s[18:19]
	v_mov_b32_e32 v2, s15
	s_waitcnt vmcnt(0)
	global_atomic_add_x2 v[0:1], v[2:3], off offset:8
.LBB5_1448:
	s_or_b64 exec, exec, s[20:21]
	s_waitcnt vmcnt(0)
	global_load_dwordx2 v[2:3], v[0:1], off offset:16
	s_waitcnt vmcnt(0)
	v_cmp_eq_u64_e32 vcc, 0, v[2:3]
	s_cbranch_vccnz .LBB5_1450
; %bb.1449:
	global_load_dword v0, v[0:1], off offset:24
	v_mov_b32_e32 v1, 0
	s_waitcnt vmcnt(0)
	global_store_dwordx2 v[2:3], v[0:1], off
	v_and_b32_e32 v0, 0xffffff, v0
	v_readfirstlane_b32 m0, v0
	s_sendmsg sendmsg(MSG_INTERRUPT)
.LBB5_1450:
	s_or_b64 exec, exec, s[16:17]
	s_branch .LBB5_1454
.LBB5_1451:                             ;   in Loop: Header=BB5_1454 Depth=1
	s_or_b64 exec, exec, s[16:17]
	v_readfirstlane_b32 s15, v0
	s_cmp_eq_u32 s15, 0
	s_cbranch_scc1 .LBB5_1453
; %bb.1452:                             ;   in Loop: Header=BB5_1454 Depth=1
	s_sleep 1
	s_cbranch_execnz .LBB5_1454
	s_branch .LBB5_1456
.LBB5_1453:
	s_branch .LBB5_1456
.LBB5_1454:                             ; =>This Inner Loop Header: Depth=1
	v_mov_b32_e32 v0, 1
	s_and_saveexec_b64 s[16:17], s[4:5]
	s_cbranch_execz .LBB5_1451
; %bb.1455:                             ;   in Loop: Header=BB5_1454 Depth=1
	global_load_dword v0, v[8:9], off offset:20 glc
	s_waitcnt vmcnt(0)
	buffer_wbinvl1_vol
	v_and_b32_e32 v0, 1, v0
	s_branch .LBB5_1451
.LBB5_1456:
	global_load_dwordx2 v[0:1], v[10:11], off
	s_and_saveexec_b64 s[16:17], s[4:5]
	s_cbranch_execz .LBB5_1459
; %bb.1457:
	v_mov_b32_e32 v8, 0
	global_load_dwordx2 v[4:5], v8, s[6:7] offset:40
	global_load_dwordx2 v[9:10], v8, s[6:7] offset:24 glc
	global_load_dwordx2 v[6:7], v8, s[6:7]
	v_mov_b32_e32 v3, s11
	s_mov_b64 s[4:5], 0
	s_waitcnt vmcnt(2)
	v_add_co_u32_e32 v11, vcc, 1, v4
	v_addc_co_u32_e32 v12, vcc, 0, v5, vcc
	v_add_co_u32_e32 v2, vcc, s10, v11
	v_addc_co_u32_e32 v3, vcc, v12, v3, vcc
	v_cmp_eq_u64_e32 vcc, 0, v[2:3]
	v_cndmask_b32_e32 v3, v3, v12, vcc
	v_cndmask_b32_e32 v2, v2, v11, vcc
	v_and_b32_e32 v5, v3, v5
	v_and_b32_e32 v4, v2, v4
	v_mul_lo_u32 v5, v5, 24
	v_mul_hi_u32 v11, v4, 24
	v_mul_lo_u32 v12, v4, 24
	s_waitcnt vmcnt(1)
	v_mov_b32_e32 v4, v9
	v_add_u32_e32 v5, v11, v5
	s_waitcnt vmcnt(0)
	v_add_co_u32_e32 v6, vcc, v6, v12
	v_addc_co_u32_e32 v7, vcc, v7, v5, vcc
	global_store_dwordx2 v[6:7], v[9:10], off
	v_mov_b32_e32 v5, v10
	s_waitcnt vmcnt(0)
	global_atomic_cmpswap_x2 v[4:5], v8, v[2:5], s[6:7] offset:24 glc
	s_waitcnt vmcnt(0)
	v_cmp_ne_u64_e32 vcc, v[4:5], v[9:10]
	s_and_b64 exec, exec, vcc
	s_cbranch_execz .LBB5_1459
.LBB5_1458:                             ; =>This Inner Loop Header: Depth=1
	s_sleep 1
	global_store_dwordx2 v[6:7], v[4:5], off
	s_waitcnt vmcnt(0)
	global_atomic_cmpswap_x2 v[9:10], v8, v[2:5], s[6:7] offset:24 glc
	s_waitcnt vmcnt(0)
	v_cmp_eq_u64_e32 vcc, v[9:10], v[4:5]
	v_mov_b32_e32 v4, v9
	s_or_b64 s[4:5], vcc, s[4:5]
	v_mov_b32_e32 v5, v10
	s_andn2_b64 exec, exec, s[4:5]
	s_cbranch_execnz .LBB5_1458
.LBB5_1459:
	s_or_b64 exec, exec, s[16:17]
.LBB5_1460:
	s_getpc_b64 s[10:11]
	s_add_u32 s10, s10, .str.2@rel32@lo+4
	s_addc_u32 s11, s11, .str.2@rel32@hi+12
	s_cmp_lg_u64 s[10:11], 0
	s_cbranch_scc0 .LBB5_1545
; %bb.1461:
	s_waitcnt vmcnt(0)
	v_and_b32_e32 v6, -3, v0
	v_mov_b32_e32 v7, v1
	s_mov_b64 s[16:17], 13
	v_mov_b32_e32 v26, 0
	v_mov_b32_e32 v4, 2
	;; [unrolled: 1-line block ×3, first 2 shown]
	s_branch .LBB5_1463
.LBB5_1462:                             ;   in Loop: Header=BB5_1463 Depth=1
	s_or_b64 exec, exec, s[22:23]
	s_sub_u32 s16, s16, s18
	s_subb_u32 s17, s17, s19
	s_add_u32 s10, s10, s18
	s_addc_u32 s11, s11, s19
	s_cmp_lg_u64 s[16:17], 0
	s_cbranch_scc0 .LBB5_1544
.LBB5_1463:                             ; =>This Loop Header: Depth=1
                                        ;     Child Loop BB5_1466 Depth 2
                                        ;     Child Loop BB5_1473 Depth 2
	;; [unrolled: 1-line block ×11, first 2 shown]
	v_cmp_lt_u64_e64 s[4:5], s[16:17], 56
	v_cmp_gt_u64_e64 s[20:21], s[16:17], 7
	s_and_b64 s[4:5], s[4:5], exec
	s_cselect_b32 s19, s17, 0
	s_cselect_b32 s18, s16, 56
	s_and_b64 vcc, exec, s[20:21]
	s_cbranch_vccnz .LBB5_1468
; %bb.1464:                             ;   in Loop: Header=BB5_1463 Depth=1
	s_waitcnt vmcnt(0)
	v_mov_b32_e32 v8, 0
	s_cmp_eq_u64 s[16:17], 0
	v_mov_b32_e32 v9, 0
	s_mov_b64 s[4:5], 0
	s_cbranch_scc1 .LBB5_1467
; %bb.1465:                             ;   in Loop: Header=BB5_1463 Depth=1
	v_mov_b32_e32 v8, 0
	s_lshl_b64 s[20:21], s[18:19], 3
	s_mov_b64 s[22:23], 0
	v_mov_b32_e32 v9, 0
	s_mov_b64 s[24:25], s[10:11]
.LBB5_1466:                             ;   Parent Loop BB5_1463 Depth=1
                                        ; =>  This Inner Loop Header: Depth=2
	global_load_ubyte v2, v26, s[24:25]
	s_waitcnt vmcnt(0)
	v_and_b32_e32 v25, 0xffff, v2
	v_lshlrev_b64 v[2:3], s22, v[25:26]
	s_add_u32 s22, s22, 8
	s_addc_u32 s23, s23, 0
	s_add_u32 s24, s24, 1
	s_addc_u32 s25, s25, 0
	v_or_b32_e32 v8, v2, v8
	s_cmp_lg_u32 s20, s22
	v_or_b32_e32 v9, v3, v9
	s_cbranch_scc1 .LBB5_1466
.LBB5_1467:                             ;   in Loop: Header=BB5_1463 Depth=1
	s_mov_b32 s15, 0
	s_andn2_b64 vcc, exec, s[4:5]
	s_mov_b64 s[4:5], s[10:11]
	s_cbranch_vccz .LBB5_1469
	s_branch .LBB5_1470
.LBB5_1468:                             ;   in Loop: Header=BB5_1463 Depth=1
                                        ; implicit-def: $sgpr15
	s_mov_b64 s[4:5], s[10:11]
.LBB5_1469:                             ;   in Loop: Header=BB5_1463 Depth=1
	global_load_dwordx2 v[8:9], v26, s[10:11]
	s_add_i32 s15, s18, -8
	s_add_u32 s4, s10, 8
	s_addc_u32 s5, s11, 0
.LBB5_1470:                             ;   in Loop: Header=BB5_1463 Depth=1
	s_cmp_gt_u32 s15, 7
	s_cbranch_scc1 .LBB5_1474
; %bb.1471:                             ;   in Loop: Header=BB5_1463 Depth=1
	s_cmp_eq_u32 s15, 0
	s_cbranch_scc1 .LBB5_1475
; %bb.1472:                             ;   in Loop: Header=BB5_1463 Depth=1
	v_mov_b32_e32 v10, 0
	s_mov_b64 s[20:21], 0
	v_mov_b32_e32 v11, 0
	s_mov_b64 s[22:23], 0
.LBB5_1473:                             ;   Parent Loop BB5_1463 Depth=1
                                        ; =>  This Inner Loop Header: Depth=2
	s_add_u32 s24, s4, s22
	s_addc_u32 s25, s5, s23
	global_load_ubyte v2, v26, s[24:25]
	s_add_u32 s22, s22, 1
	s_addc_u32 s23, s23, 0
	s_waitcnt vmcnt(0)
	v_and_b32_e32 v25, 0xffff, v2
	v_lshlrev_b64 v[2:3], s20, v[25:26]
	s_add_u32 s20, s20, 8
	s_addc_u32 s21, s21, 0
	v_or_b32_e32 v10, v2, v10
	s_cmp_lg_u32 s15, s22
	v_or_b32_e32 v11, v3, v11
	s_cbranch_scc1 .LBB5_1473
	s_branch .LBB5_1476
.LBB5_1474:                             ;   in Loop: Header=BB5_1463 Depth=1
                                        ; implicit-def: $vgpr10_vgpr11
                                        ; implicit-def: $sgpr24
	s_branch .LBB5_1477
.LBB5_1475:                             ;   in Loop: Header=BB5_1463 Depth=1
	v_mov_b32_e32 v10, 0
	v_mov_b32_e32 v11, 0
.LBB5_1476:                             ;   in Loop: Header=BB5_1463 Depth=1
	s_mov_b32 s24, 0
	s_cbranch_execnz .LBB5_1478
.LBB5_1477:                             ;   in Loop: Header=BB5_1463 Depth=1
	global_load_dwordx2 v[10:11], v26, s[4:5]
	s_add_i32 s24, s15, -8
	s_add_u32 s4, s4, 8
	s_addc_u32 s5, s5, 0
.LBB5_1478:                             ;   in Loop: Header=BB5_1463 Depth=1
	s_cmp_gt_u32 s24, 7
	s_cbranch_scc1 .LBB5_1482
; %bb.1479:                             ;   in Loop: Header=BB5_1463 Depth=1
	s_cmp_eq_u32 s24, 0
	s_cbranch_scc1 .LBB5_1483
; %bb.1480:                             ;   in Loop: Header=BB5_1463 Depth=1
	v_mov_b32_e32 v12, 0
	s_mov_b64 s[20:21], 0
	v_mov_b32_e32 v13, 0
	s_mov_b64 s[22:23], 0
.LBB5_1481:                             ;   Parent Loop BB5_1463 Depth=1
                                        ; =>  This Inner Loop Header: Depth=2
	s_add_u32 s26, s4, s22
	s_addc_u32 s27, s5, s23
	global_load_ubyte v2, v26, s[26:27]
	s_add_u32 s22, s22, 1
	s_addc_u32 s23, s23, 0
	s_waitcnt vmcnt(0)
	v_and_b32_e32 v25, 0xffff, v2
	v_lshlrev_b64 v[2:3], s20, v[25:26]
	s_add_u32 s20, s20, 8
	s_addc_u32 s21, s21, 0
	v_or_b32_e32 v12, v2, v12
	s_cmp_lg_u32 s24, s22
	v_or_b32_e32 v13, v3, v13
	s_cbranch_scc1 .LBB5_1481
	s_branch .LBB5_1484
.LBB5_1482:                             ;   in Loop: Header=BB5_1463 Depth=1
                                        ; implicit-def: $sgpr15
	s_branch .LBB5_1485
.LBB5_1483:                             ;   in Loop: Header=BB5_1463 Depth=1
	v_mov_b32_e32 v12, 0
	v_mov_b32_e32 v13, 0
.LBB5_1484:                             ;   in Loop: Header=BB5_1463 Depth=1
	s_mov_b32 s15, 0
	s_cbranch_execnz .LBB5_1486
.LBB5_1485:                             ;   in Loop: Header=BB5_1463 Depth=1
	global_load_dwordx2 v[12:13], v26, s[4:5]
	s_add_i32 s15, s24, -8
	s_add_u32 s4, s4, 8
	s_addc_u32 s5, s5, 0
.LBB5_1486:                             ;   in Loop: Header=BB5_1463 Depth=1
	s_cmp_gt_u32 s15, 7
	s_cbranch_scc1 .LBB5_1490
; %bb.1487:                             ;   in Loop: Header=BB5_1463 Depth=1
	s_cmp_eq_u32 s15, 0
	s_cbranch_scc1 .LBB5_1491
; %bb.1488:                             ;   in Loop: Header=BB5_1463 Depth=1
	v_mov_b32_e32 v14, 0
	s_mov_b64 s[20:21], 0
	v_mov_b32_e32 v15, 0
	s_mov_b64 s[22:23], 0
.LBB5_1489:                             ;   Parent Loop BB5_1463 Depth=1
                                        ; =>  This Inner Loop Header: Depth=2
	s_add_u32 s24, s4, s22
	s_addc_u32 s25, s5, s23
	global_load_ubyte v2, v26, s[24:25]
	s_add_u32 s22, s22, 1
	s_addc_u32 s23, s23, 0
	s_waitcnt vmcnt(0)
	v_and_b32_e32 v25, 0xffff, v2
	v_lshlrev_b64 v[2:3], s20, v[25:26]
	s_add_u32 s20, s20, 8
	s_addc_u32 s21, s21, 0
	v_or_b32_e32 v14, v2, v14
	s_cmp_lg_u32 s15, s22
	v_or_b32_e32 v15, v3, v15
	s_cbranch_scc1 .LBB5_1489
	s_branch .LBB5_1492
.LBB5_1490:                             ;   in Loop: Header=BB5_1463 Depth=1
                                        ; implicit-def: $vgpr14_vgpr15
                                        ; implicit-def: $sgpr24
	s_branch .LBB5_1493
.LBB5_1491:                             ;   in Loop: Header=BB5_1463 Depth=1
	v_mov_b32_e32 v14, 0
	v_mov_b32_e32 v15, 0
.LBB5_1492:                             ;   in Loop: Header=BB5_1463 Depth=1
	s_mov_b32 s24, 0
	s_cbranch_execnz .LBB5_1494
.LBB5_1493:                             ;   in Loop: Header=BB5_1463 Depth=1
	global_load_dwordx2 v[14:15], v26, s[4:5]
	s_add_i32 s24, s15, -8
	s_add_u32 s4, s4, 8
	s_addc_u32 s5, s5, 0
.LBB5_1494:                             ;   in Loop: Header=BB5_1463 Depth=1
	s_cmp_gt_u32 s24, 7
	s_cbranch_scc1 .LBB5_1498
; %bb.1495:                             ;   in Loop: Header=BB5_1463 Depth=1
	s_cmp_eq_u32 s24, 0
	s_cbranch_scc1 .LBB5_1499
; %bb.1496:                             ;   in Loop: Header=BB5_1463 Depth=1
	v_mov_b32_e32 v16, 0
	s_mov_b64 s[20:21], 0
	v_mov_b32_e32 v17, 0
	s_mov_b64 s[22:23], 0
.LBB5_1497:                             ;   Parent Loop BB5_1463 Depth=1
                                        ; =>  This Inner Loop Header: Depth=2
	s_add_u32 s26, s4, s22
	s_addc_u32 s27, s5, s23
	global_load_ubyte v2, v26, s[26:27]
	s_add_u32 s22, s22, 1
	s_addc_u32 s23, s23, 0
	s_waitcnt vmcnt(0)
	v_and_b32_e32 v25, 0xffff, v2
	v_lshlrev_b64 v[2:3], s20, v[25:26]
	s_add_u32 s20, s20, 8
	s_addc_u32 s21, s21, 0
	v_or_b32_e32 v16, v2, v16
	s_cmp_lg_u32 s24, s22
	v_or_b32_e32 v17, v3, v17
	s_cbranch_scc1 .LBB5_1497
	s_branch .LBB5_1500
.LBB5_1498:                             ;   in Loop: Header=BB5_1463 Depth=1
                                        ; implicit-def: $sgpr15
	s_branch .LBB5_1501
.LBB5_1499:                             ;   in Loop: Header=BB5_1463 Depth=1
	v_mov_b32_e32 v16, 0
	v_mov_b32_e32 v17, 0
.LBB5_1500:                             ;   in Loop: Header=BB5_1463 Depth=1
	s_mov_b32 s15, 0
	s_cbranch_execnz .LBB5_1502
.LBB5_1501:                             ;   in Loop: Header=BB5_1463 Depth=1
	global_load_dwordx2 v[16:17], v26, s[4:5]
	s_add_i32 s15, s24, -8
	s_add_u32 s4, s4, 8
	s_addc_u32 s5, s5, 0
.LBB5_1502:                             ;   in Loop: Header=BB5_1463 Depth=1
	s_cmp_gt_u32 s15, 7
	s_cbranch_scc1 .LBB5_1506
; %bb.1503:                             ;   in Loop: Header=BB5_1463 Depth=1
	s_cmp_eq_u32 s15, 0
	s_cbranch_scc1 .LBB5_1507
; %bb.1504:                             ;   in Loop: Header=BB5_1463 Depth=1
	v_mov_b32_e32 v18, 0
	s_mov_b64 s[20:21], 0
	v_mov_b32_e32 v19, 0
	s_mov_b64 s[22:23], 0
.LBB5_1505:                             ;   Parent Loop BB5_1463 Depth=1
                                        ; =>  This Inner Loop Header: Depth=2
	s_add_u32 s24, s4, s22
	s_addc_u32 s25, s5, s23
	global_load_ubyte v2, v26, s[24:25]
	s_add_u32 s22, s22, 1
	s_addc_u32 s23, s23, 0
	s_waitcnt vmcnt(0)
	v_and_b32_e32 v25, 0xffff, v2
	v_lshlrev_b64 v[2:3], s20, v[25:26]
	s_add_u32 s20, s20, 8
	s_addc_u32 s21, s21, 0
	v_or_b32_e32 v18, v2, v18
	s_cmp_lg_u32 s15, s22
	v_or_b32_e32 v19, v3, v19
	s_cbranch_scc1 .LBB5_1505
	s_branch .LBB5_1508
.LBB5_1506:                             ;   in Loop: Header=BB5_1463 Depth=1
                                        ; implicit-def: $vgpr18_vgpr19
                                        ; implicit-def: $sgpr24
	s_branch .LBB5_1509
.LBB5_1507:                             ;   in Loop: Header=BB5_1463 Depth=1
	v_mov_b32_e32 v18, 0
	v_mov_b32_e32 v19, 0
.LBB5_1508:                             ;   in Loop: Header=BB5_1463 Depth=1
	s_mov_b32 s24, 0
	s_cbranch_execnz .LBB5_1510
.LBB5_1509:                             ;   in Loop: Header=BB5_1463 Depth=1
	global_load_dwordx2 v[18:19], v26, s[4:5]
	s_add_i32 s24, s15, -8
	s_add_u32 s4, s4, 8
	s_addc_u32 s5, s5, 0
.LBB5_1510:                             ;   in Loop: Header=BB5_1463 Depth=1
	s_cmp_gt_u32 s24, 7
	s_cbranch_scc1 .LBB5_1514
; %bb.1511:                             ;   in Loop: Header=BB5_1463 Depth=1
	s_cmp_eq_u32 s24, 0
	s_cbranch_scc1 .LBB5_1515
; %bb.1512:                             ;   in Loop: Header=BB5_1463 Depth=1
	v_mov_b32_e32 v20, 0
	s_mov_b64 s[20:21], 0
	v_mov_b32_e32 v21, 0
	s_mov_b64 s[22:23], s[4:5]
.LBB5_1513:                             ;   Parent Loop BB5_1463 Depth=1
                                        ; =>  This Inner Loop Header: Depth=2
	global_load_ubyte v2, v26, s[22:23]
	s_add_i32 s24, s24, -1
	s_waitcnt vmcnt(0)
	v_and_b32_e32 v25, 0xffff, v2
	v_lshlrev_b64 v[2:3], s20, v[25:26]
	s_add_u32 s20, s20, 8
	s_addc_u32 s21, s21, 0
	s_add_u32 s22, s22, 1
	s_addc_u32 s23, s23, 0
	v_or_b32_e32 v20, v2, v20
	s_cmp_lg_u32 s24, 0
	v_or_b32_e32 v21, v3, v21
	s_cbranch_scc1 .LBB5_1513
	s_branch .LBB5_1516
.LBB5_1514:                             ;   in Loop: Header=BB5_1463 Depth=1
	s_branch .LBB5_1517
.LBB5_1515:                             ;   in Loop: Header=BB5_1463 Depth=1
	v_mov_b32_e32 v20, 0
	v_mov_b32_e32 v21, 0
.LBB5_1516:                             ;   in Loop: Header=BB5_1463 Depth=1
	s_cbranch_execnz .LBB5_1518
.LBB5_1517:                             ;   in Loop: Header=BB5_1463 Depth=1
	global_load_dwordx2 v[20:21], v26, s[4:5]
.LBB5_1518:                             ;   in Loop: Header=BB5_1463 Depth=1
	v_readfirstlane_b32 s4, v32
	v_mov_b32_e32 v2, 0
	v_mov_b32_e32 v3, 0
	v_cmp_eq_u32_e64 s[4:5], s4, v32
	s_and_saveexec_b64 s[20:21], s[4:5]
	s_cbranch_execz .LBB5_1524
; %bb.1519:                             ;   in Loop: Header=BB5_1463 Depth=1
	global_load_dwordx2 v[24:25], v26, s[6:7] offset:24 glc
	s_waitcnt vmcnt(0)
	buffer_wbinvl1_vol
	global_load_dwordx2 v[2:3], v26, s[6:7] offset:40
	global_load_dwordx2 v[22:23], v26, s[6:7]
	s_waitcnt vmcnt(1)
	v_and_b32_e32 v2, v2, v24
	v_and_b32_e32 v3, v3, v25
	v_mul_lo_u32 v3, v3, 24
	v_mul_hi_u32 v27, v2, 24
	v_mul_lo_u32 v2, v2, 24
	v_add_u32_e32 v3, v27, v3
	s_waitcnt vmcnt(0)
	v_add_co_u32_e32 v2, vcc, v22, v2
	v_addc_co_u32_e32 v3, vcc, v23, v3, vcc
	global_load_dwordx2 v[22:23], v[2:3], off glc
	s_waitcnt vmcnt(0)
	global_atomic_cmpswap_x2 v[2:3], v26, v[22:25], s[6:7] offset:24 glc
	s_waitcnt vmcnt(0)
	buffer_wbinvl1_vol
	v_cmp_ne_u64_e32 vcc, v[2:3], v[24:25]
	s_and_saveexec_b64 s[22:23], vcc
	s_cbranch_execz .LBB5_1523
; %bb.1520:                             ;   in Loop: Header=BB5_1463 Depth=1
	s_mov_b64 s[24:25], 0
.LBB5_1521:                             ;   Parent Loop BB5_1463 Depth=1
                                        ; =>  This Inner Loop Header: Depth=2
	s_sleep 1
	global_load_dwordx2 v[22:23], v26, s[6:7] offset:40
	global_load_dwordx2 v[27:28], v26, s[6:7]
	v_mov_b32_e32 v25, v3
	v_mov_b32_e32 v24, v2
	s_waitcnt vmcnt(1)
	v_and_b32_e32 v2, v22, v24
	s_waitcnt vmcnt(0)
	v_mad_u64_u32 v[2:3], s[26:27], v2, 24, v[27:28]
	v_and_b32_e32 v22, v23, v25
	v_mad_u64_u32 v[22:23], s[26:27], v22, 24, v[3:4]
	v_mov_b32_e32 v3, v22
	global_load_dwordx2 v[22:23], v[2:3], off glc
	s_waitcnt vmcnt(0)
	global_atomic_cmpswap_x2 v[2:3], v26, v[22:25], s[6:7] offset:24 glc
	s_waitcnt vmcnt(0)
	buffer_wbinvl1_vol
	v_cmp_eq_u64_e32 vcc, v[2:3], v[24:25]
	s_or_b64 s[24:25], vcc, s[24:25]
	s_andn2_b64 exec, exec, s[24:25]
	s_cbranch_execnz .LBB5_1521
; %bb.1522:                             ;   in Loop: Header=BB5_1463 Depth=1
	s_or_b64 exec, exec, s[24:25]
.LBB5_1523:                             ;   in Loop: Header=BB5_1463 Depth=1
	s_or_b64 exec, exec, s[22:23]
.LBB5_1524:                             ;   in Loop: Header=BB5_1463 Depth=1
	s_or_b64 exec, exec, s[20:21]
	global_load_dwordx2 v[27:28], v26, s[6:7] offset:40
	global_load_dwordx4 v[22:25], v26, s[6:7]
	v_readfirstlane_b32 s20, v2
	v_readfirstlane_b32 s21, v3
	s_mov_b64 s[22:23], exec
	s_waitcnt vmcnt(1)
	v_readfirstlane_b32 s24, v27
	v_readfirstlane_b32 s25, v28
	s_and_b64 s[24:25], s[20:21], s[24:25]
	s_mul_i32 s15, s25, 24
	s_mul_hi_u32 s26, s24, 24
	s_mul_i32 s27, s24, 24
	s_add_i32 s15, s26, s15
	v_mov_b32_e32 v2, s15
	s_waitcnt vmcnt(0)
	v_add_co_u32_e32 v27, vcc, s27, v22
	v_addc_co_u32_e32 v28, vcc, v23, v2, vcc
	s_and_saveexec_b64 s[26:27], s[4:5]
	s_cbranch_execz .LBB5_1526
; %bb.1525:                             ;   in Loop: Header=BB5_1463 Depth=1
	v_mov_b32_e32 v2, s22
	v_mov_b32_e32 v3, s23
	global_store_dwordx4 v[27:28], v[2:5], off offset:8
.LBB5_1526:                             ;   in Loop: Header=BB5_1463 Depth=1
	s_or_b64 exec, exec, s[26:27]
	s_lshl_b64 s[22:23], s[24:25], 12
	v_mov_b32_e32 v2, s23
	v_add_co_u32_e32 v24, vcc, s22, v24
	v_addc_co_u32_e32 v29, vcc, v25, v2, vcc
	v_cmp_gt_u64_e64 vcc, s[16:17], 56
	v_or_b32_e32 v2, 2, v6
	s_lshl_b32 s15, s18, 2
	v_cndmask_b32_e32 v2, v2, v6, vcc
	s_add_i32 s15, s15, 28
	s_and_b32 s15, s15, 0x1e0
	v_and_b32_e32 v2, 0xffffff1f, v2
	v_or_b32_e32 v6, s15, v2
	v_readfirstlane_b32 s22, v24
	v_readfirstlane_b32 s23, v29
	s_nop 4
	global_store_dwordx4 v31, v[6:9], s[22:23]
	global_store_dwordx4 v31, v[10:13], s[22:23] offset:16
	global_store_dwordx4 v31, v[14:17], s[22:23] offset:32
	;; [unrolled: 1-line block ×3, first 2 shown]
	s_and_saveexec_b64 s[22:23], s[4:5]
	s_cbranch_execz .LBB5_1534
; %bb.1527:                             ;   in Loop: Header=BB5_1463 Depth=1
	global_load_dwordx2 v[10:11], v26, s[6:7] offset:32 glc
	global_load_dwordx2 v[2:3], v26, s[6:7] offset:40
	v_mov_b32_e32 v8, s20
	v_mov_b32_e32 v9, s21
	s_waitcnt vmcnt(0)
	v_readfirstlane_b32 s24, v2
	v_readfirstlane_b32 s25, v3
	s_and_b64 s[24:25], s[24:25], s[20:21]
	s_mul_i32 s15, s25, 24
	s_mul_hi_u32 s25, s24, 24
	s_mul_i32 s24, s24, 24
	s_add_i32 s15, s25, s15
	v_mov_b32_e32 v3, s15
	v_add_co_u32_e32 v2, vcc, s24, v22
	v_addc_co_u32_e32 v3, vcc, v23, v3, vcc
	global_store_dwordx2 v[2:3], v[10:11], off
	s_waitcnt vmcnt(0)
	global_atomic_cmpswap_x2 v[8:9], v26, v[8:11], s[6:7] offset:32 glc
	s_waitcnt vmcnt(0)
	v_cmp_ne_u64_e32 vcc, v[8:9], v[10:11]
	s_and_saveexec_b64 s[24:25], vcc
	s_cbranch_execz .LBB5_1530
; %bb.1528:                             ;   in Loop: Header=BB5_1463 Depth=1
	s_mov_b64 s[26:27], 0
.LBB5_1529:                             ;   Parent Loop BB5_1463 Depth=1
                                        ; =>  This Inner Loop Header: Depth=2
	s_sleep 1
	global_store_dwordx2 v[2:3], v[8:9], off
	v_mov_b32_e32 v6, s20
	v_mov_b32_e32 v7, s21
	s_waitcnt vmcnt(0)
	global_atomic_cmpswap_x2 v[6:7], v26, v[6:9], s[6:7] offset:32 glc
	s_waitcnt vmcnt(0)
	v_cmp_eq_u64_e32 vcc, v[6:7], v[8:9]
	v_mov_b32_e32 v9, v7
	s_or_b64 s[26:27], vcc, s[26:27]
	v_mov_b32_e32 v8, v6
	s_andn2_b64 exec, exec, s[26:27]
	s_cbranch_execnz .LBB5_1529
.LBB5_1530:                             ;   in Loop: Header=BB5_1463 Depth=1
	s_or_b64 exec, exec, s[24:25]
	global_load_dwordx2 v[2:3], v26, s[6:7] offset:16
	s_mov_b64 s[26:27], exec
	v_mbcnt_lo_u32_b32 v6, s26, 0
	v_mbcnt_hi_u32_b32 v6, s27, v6
	v_cmp_eq_u32_e32 vcc, 0, v6
	s_and_saveexec_b64 s[24:25], vcc
	s_cbranch_execz .LBB5_1532
; %bb.1531:                             ;   in Loop: Header=BB5_1463 Depth=1
	s_bcnt1_i32_b64 s15, s[26:27]
	v_mov_b32_e32 v25, s15
	s_waitcnt vmcnt(0)
	global_atomic_add_x2 v[2:3], v[25:26], off offset:8
.LBB5_1532:                             ;   in Loop: Header=BB5_1463 Depth=1
	s_or_b64 exec, exec, s[24:25]
	s_waitcnt vmcnt(0)
	global_load_dwordx2 v[6:7], v[2:3], off offset:16
	s_waitcnt vmcnt(0)
	v_cmp_eq_u64_e32 vcc, 0, v[6:7]
	s_cbranch_vccnz .LBB5_1534
; %bb.1533:                             ;   in Loop: Header=BB5_1463 Depth=1
	global_load_dword v25, v[2:3], off offset:24
	s_waitcnt vmcnt(0)
	v_and_b32_e32 v2, 0xffffff, v25
	v_readfirstlane_b32 m0, v2
	global_store_dwordx2 v[6:7], v[25:26], off
	s_sendmsg sendmsg(MSG_INTERRUPT)
.LBB5_1534:                             ;   in Loop: Header=BB5_1463 Depth=1
	s_or_b64 exec, exec, s[22:23]
	v_add_co_u32_e32 v2, vcc, v24, v31
	v_addc_co_u32_e32 v3, vcc, 0, v29, vcc
	s_branch .LBB5_1538
.LBB5_1535:                             ;   in Loop: Header=BB5_1538 Depth=2
	s_or_b64 exec, exec, s[22:23]
	v_readfirstlane_b32 s15, v6
	s_cmp_eq_u32 s15, 0
	s_cbranch_scc1 .LBB5_1537
; %bb.1536:                             ;   in Loop: Header=BB5_1538 Depth=2
	s_sleep 1
	s_cbranch_execnz .LBB5_1538
	s_branch .LBB5_1540
.LBB5_1537:                             ;   in Loop: Header=BB5_1463 Depth=1
	s_branch .LBB5_1540
.LBB5_1538:                             ;   Parent Loop BB5_1463 Depth=1
                                        ; =>  This Inner Loop Header: Depth=2
	v_mov_b32_e32 v6, 1
	s_and_saveexec_b64 s[22:23], s[4:5]
	s_cbranch_execz .LBB5_1535
; %bb.1539:                             ;   in Loop: Header=BB5_1538 Depth=2
	global_load_dword v6, v[27:28], off offset:20 glc
	s_waitcnt vmcnt(0)
	buffer_wbinvl1_vol
	v_and_b32_e32 v6, 1, v6
	s_branch .LBB5_1535
.LBB5_1540:                             ;   in Loop: Header=BB5_1463 Depth=1
	global_load_dwordx4 v[6:9], v[2:3], off
	s_and_saveexec_b64 s[22:23], s[4:5]
	s_cbranch_execz .LBB5_1462
; %bb.1541:                             ;   in Loop: Header=BB5_1463 Depth=1
	global_load_dwordx2 v[2:3], v26, s[6:7] offset:40
	global_load_dwordx2 v[12:13], v26, s[6:7] offset:24 glc
	global_load_dwordx2 v[14:15], v26, s[6:7]
	s_waitcnt vmcnt(3)
	v_mov_b32_e32 v9, s21
	s_waitcnt vmcnt(2)
	v_add_co_u32_e32 v10, vcc, 1, v2
	v_addc_co_u32_e32 v11, vcc, 0, v3, vcc
	v_add_co_u32_e32 v8, vcc, s20, v10
	v_addc_co_u32_e32 v9, vcc, v11, v9, vcc
	v_cmp_eq_u64_e32 vcc, 0, v[8:9]
	v_cndmask_b32_e32 v9, v9, v11, vcc
	v_cndmask_b32_e32 v8, v8, v10, vcc
	v_and_b32_e32 v3, v9, v3
	v_and_b32_e32 v2, v8, v2
	v_mul_lo_u32 v3, v3, 24
	v_mul_hi_u32 v11, v2, 24
	v_mul_lo_u32 v2, v2, 24
	s_waitcnt vmcnt(1)
	v_mov_b32_e32 v10, v12
	v_add_u32_e32 v3, v11, v3
	s_waitcnt vmcnt(0)
	v_add_co_u32_e32 v2, vcc, v14, v2
	v_addc_co_u32_e32 v3, vcc, v15, v3, vcc
	global_store_dwordx2 v[2:3], v[12:13], off
	v_mov_b32_e32 v11, v13
	s_waitcnt vmcnt(0)
	global_atomic_cmpswap_x2 v[10:11], v26, v[8:11], s[6:7] offset:24 glc
	s_waitcnt vmcnt(0)
	v_cmp_ne_u64_e32 vcc, v[10:11], v[12:13]
	s_and_b64 exec, exec, vcc
	s_cbranch_execz .LBB5_1462
; %bb.1542:                             ;   in Loop: Header=BB5_1463 Depth=1
	s_mov_b64 s[4:5], 0
.LBB5_1543:                             ;   Parent Loop BB5_1463 Depth=1
                                        ; =>  This Inner Loop Header: Depth=2
	s_sleep 1
	global_store_dwordx2 v[2:3], v[10:11], off
	s_waitcnt vmcnt(0)
	global_atomic_cmpswap_x2 v[12:13], v26, v[8:11], s[6:7] offset:24 glc
	s_waitcnt vmcnt(0)
	v_cmp_eq_u64_e32 vcc, v[12:13], v[10:11]
	v_mov_b32_e32 v10, v12
	s_or_b64 s[4:5], vcc, s[4:5]
	v_mov_b32_e32 v11, v13
	s_andn2_b64 exec, exec, s[4:5]
	s_cbranch_execnz .LBB5_1543
	s_branch .LBB5_1462
.LBB5_1544:
	s_mov_b64 s[4:5], 0
	s_branch .LBB5_1546
.LBB5_1545:
	s_mov_b64 s[4:5], -1
.LBB5_1546:
	s_mov_b32 s41, s12
	s_mov_b32 s48, s13
	;; [unrolled: 1-line block ×3, first 2 shown]
	s_and_b64 vcc, exec, s[4:5]
	s_cbranch_vccz .LBB5_1573
; %bb.1547:
	v_readfirstlane_b32 s4, v32
	s_waitcnt vmcnt(0)
	v_mov_b32_e32 v8, 0
	v_mov_b32_e32 v9, 0
	v_cmp_eq_u32_e64 s[4:5], s4, v32
	s_and_saveexec_b64 s[10:11], s[4:5]
	s_cbranch_execz .LBB5_1553
; %bb.1548:
	v_mov_b32_e32 v2, 0
	global_load_dwordx2 v[5:6], v2, s[6:7] offset:24 glc
	s_waitcnt vmcnt(0)
	buffer_wbinvl1_vol
	global_load_dwordx2 v[3:4], v2, s[6:7] offset:40
	global_load_dwordx2 v[7:8], v2, s[6:7]
	s_waitcnt vmcnt(1)
	v_and_b32_e32 v3, v3, v5
	v_and_b32_e32 v4, v4, v6
	v_mul_lo_u32 v4, v4, 24
	v_mul_hi_u32 v9, v3, 24
	v_mul_lo_u32 v3, v3, 24
	v_add_u32_e32 v4, v9, v4
	s_waitcnt vmcnt(0)
	v_add_co_u32_e32 v3, vcc, v7, v3
	v_addc_co_u32_e32 v4, vcc, v8, v4, vcc
	global_load_dwordx2 v[3:4], v[3:4], off glc
	s_waitcnt vmcnt(0)
	global_atomic_cmpswap_x2 v[8:9], v2, v[3:6], s[6:7] offset:24 glc
	s_waitcnt vmcnt(0)
	buffer_wbinvl1_vol
	v_cmp_ne_u64_e32 vcc, v[8:9], v[5:6]
	s_and_saveexec_b64 s[12:13], vcc
	s_cbranch_execz .LBB5_1552
; %bb.1549:
	s_mov_b64 s[14:15], 0
.LBB5_1550:                             ; =>This Inner Loop Header: Depth=1
	s_sleep 1
	global_load_dwordx2 v[3:4], v2, s[6:7] offset:40
	global_load_dwordx2 v[10:11], v2, s[6:7]
	v_mov_b32_e32 v5, v8
	v_mov_b32_e32 v6, v9
	s_waitcnt vmcnt(1)
	v_and_b32_e32 v3, v3, v5
	s_waitcnt vmcnt(0)
	v_mad_u64_u32 v[7:8], s[16:17], v3, 24, v[10:11]
	v_and_b32_e32 v4, v4, v6
	v_mov_b32_e32 v3, v8
	v_mad_u64_u32 v[3:4], s[16:17], v4, 24, v[3:4]
	v_mov_b32_e32 v8, v3
	global_load_dwordx2 v[3:4], v[7:8], off glc
	s_waitcnt vmcnt(0)
	global_atomic_cmpswap_x2 v[8:9], v2, v[3:6], s[6:7] offset:24 glc
	s_waitcnt vmcnt(0)
	buffer_wbinvl1_vol
	v_cmp_eq_u64_e32 vcc, v[8:9], v[5:6]
	s_or_b64 s[14:15], vcc, s[14:15]
	s_andn2_b64 exec, exec, s[14:15]
	s_cbranch_execnz .LBB5_1550
; %bb.1551:
	s_or_b64 exec, exec, s[14:15]
.LBB5_1552:
	s_or_b64 exec, exec, s[12:13]
.LBB5_1553:
	s_or_b64 exec, exec, s[10:11]
	v_mov_b32_e32 v2, 0
	global_load_dwordx2 v[10:11], v2, s[6:7] offset:40
	global_load_dwordx4 v[4:7], v2, s[6:7]
	v_readfirstlane_b32 s10, v8
	v_readfirstlane_b32 s11, v9
	s_mov_b64 s[12:13], exec
	s_waitcnt vmcnt(1)
	v_readfirstlane_b32 s14, v10
	v_readfirstlane_b32 s15, v11
	s_and_b64 s[14:15], s[10:11], s[14:15]
	s_mul_i32 s16, s15, 24
	s_mul_hi_u32 s17, s14, 24
	s_mul_i32 s18, s14, 24
	s_add_i32 s16, s17, s16
	v_mov_b32_e32 v3, s16
	s_waitcnt vmcnt(0)
	v_add_co_u32_e32 v8, vcc, s18, v4
	v_addc_co_u32_e32 v9, vcc, v5, v3, vcc
	s_and_saveexec_b64 s[16:17], s[4:5]
	s_cbranch_execz .LBB5_1555
; %bb.1554:
	v_mov_b32_e32 v10, s12
	v_mov_b32_e32 v11, s13
	;; [unrolled: 1-line block ×4, first 2 shown]
	global_store_dwordx4 v[8:9], v[10:13], off offset:8
.LBB5_1555:
	s_or_b64 exec, exec, s[16:17]
	s_lshl_b64 s[12:13], s[14:15], 12
	v_mov_b32_e32 v3, s13
	v_add_co_u32_e32 v6, vcc, s12, v6
	v_addc_co_u32_e32 v7, vcc, v7, v3, vcc
	s_movk_i32 s12, 0xff1d
	v_and_or_b32 v0, v0, s12, 34
	s_mov_b32 s12, 0
	v_mov_b32_e32 v3, v2
	v_readfirstlane_b32 s16, v6
	v_readfirstlane_b32 s17, v7
	s_mov_b32 s13, s12
	s_mov_b32 s14, s12
	;; [unrolled: 1-line block ×3, first 2 shown]
	s_nop 1
	global_store_dwordx4 v31, v[0:3], s[16:17]
	s_nop 0
	v_mov_b32_e32 v0, s12
	v_mov_b32_e32 v1, s13
	;; [unrolled: 1-line block ×4, first 2 shown]
	global_store_dwordx4 v31, v[0:3], s[16:17] offset:16
	global_store_dwordx4 v31, v[0:3], s[16:17] offset:32
	;; [unrolled: 1-line block ×3, first 2 shown]
	s_and_saveexec_b64 s[12:13], s[4:5]
	s_cbranch_execz .LBB5_1563
; %bb.1556:
	v_mov_b32_e32 v6, 0
	global_load_dwordx2 v[12:13], v6, s[6:7] offset:32 glc
	global_load_dwordx2 v[0:1], v6, s[6:7] offset:40
	v_mov_b32_e32 v10, s10
	v_mov_b32_e32 v11, s11
	s_waitcnt vmcnt(0)
	v_readfirstlane_b32 s14, v0
	v_readfirstlane_b32 s15, v1
	s_and_b64 s[14:15], s[14:15], s[10:11]
	s_mul_i32 s15, s15, 24
	s_mul_hi_u32 s16, s14, 24
	s_mul_i32 s14, s14, 24
	s_add_i32 s15, s16, s15
	v_mov_b32_e32 v0, s15
	v_add_co_u32_e32 v4, vcc, s14, v4
	v_addc_co_u32_e32 v5, vcc, v5, v0, vcc
	global_store_dwordx2 v[4:5], v[12:13], off
	s_waitcnt vmcnt(0)
	global_atomic_cmpswap_x2 v[2:3], v6, v[10:13], s[6:7] offset:32 glc
	s_waitcnt vmcnt(0)
	v_cmp_ne_u64_e32 vcc, v[2:3], v[12:13]
	s_and_saveexec_b64 s[14:15], vcc
	s_cbranch_execz .LBB5_1559
; %bb.1557:
	s_mov_b64 s[16:17], 0
.LBB5_1558:                             ; =>This Inner Loop Header: Depth=1
	s_sleep 1
	global_store_dwordx2 v[4:5], v[2:3], off
	v_mov_b32_e32 v0, s10
	v_mov_b32_e32 v1, s11
	s_waitcnt vmcnt(0)
	global_atomic_cmpswap_x2 v[0:1], v6, v[0:3], s[6:7] offset:32 glc
	s_waitcnt vmcnt(0)
	v_cmp_eq_u64_e32 vcc, v[0:1], v[2:3]
	v_mov_b32_e32 v3, v1
	s_or_b64 s[16:17], vcc, s[16:17]
	v_mov_b32_e32 v2, v0
	s_andn2_b64 exec, exec, s[16:17]
	s_cbranch_execnz .LBB5_1558
.LBB5_1559:
	s_or_b64 exec, exec, s[14:15]
	v_mov_b32_e32 v3, 0
	global_load_dwordx2 v[0:1], v3, s[6:7] offset:16
	s_mov_b64 s[14:15], exec
	v_mbcnt_lo_u32_b32 v2, s14, 0
	v_mbcnt_hi_u32_b32 v2, s15, v2
	v_cmp_eq_u32_e32 vcc, 0, v2
	s_and_saveexec_b64 s[16:17], vcc
	s_cbranch_execz .LBB5_1561
; %bb.1560:
	s_bcnt1_i32_b64 s14, s[14:15]
	v_mov_b32_e32 v2, s14
	s_waitcnt vmcnt(0)
	global_atomic_add_x2 v[0:1], v[2:3], off offset:8
.LBB5_1561:
	s_or_b64 exec, exec, s[16:17]
	s_waitcnt vmcnt(0)
	global_load_dwordx2 v[2:3], v[0:1], off offset:16
	s_waitcnt vmcnt(0)
	v_cmp_eq_u64_e32 vcc, 0, v[2:3]
	s_cbranch_vccnz .LBB5_1563
; %bb.1562:
	global_load_dword v0, v[0:1], off offset:24
	v_mov_b32_e32 v1, 0
	s_waitcnt vmcnt(0)
	global_store_dwordx2 v[2:3], v[0:1], off
	v_and_b32_e32 v0, 0xffffff, v0
	v_readfirstlane_b32 m0, v0
	s_sendmsg sendmsg(MSG_INTERRUPT)
.LBB5_1563:
	s_or_b64 exec, exec, s[12:13]
	s_branch .LBB5_1567
.LBB5_1564:                             ;   in Loop: Header=BB5_1567 Depth=1
	s_or_b64 exec, exec, s[12:13]
	v_readfirstlane_b32 s12, v0
	s_cmp_eq_u32 s12, 0
	s_cbranch_scc1 .LBB5_1566
; %bb.1565:                             ;   in Loop: Header=BB5_1567 Depth=1
	s_sleep 1
	s_cbranch_execnz .LBB5_1567
	s_branch .LBB5_1569
.LBB5_1566:
	s_branch .LBB5_1569
.LBB5_1567:                             ; =>This Inner Loop Header: Depth=1
	v_mov_b32_e32 v0, 1
	s_and_saveexec_b64 s[12:13], s[4:5]
	s_cbranch_execz .LBB5_1564
; %bb.1568:                             ;   in Loop: Header=BB5_1567 Depth=1
	global_load_dword v0, v[8:9], off offset:20 glc
	s_waitcnt vmcnt(0)
	buffer_wbinvl1_vol
	v_and_b32_e32 v0, 1, v0
	s_branch .LBB5_1564
.LBB5_1569:
	s_and_saveexec_b64 s[12:13], s[4:5]
	s_cbranch_execz .LBB5_1572
; %bb.1570:
	v_mov_b32_e32 v6, 0
	global_load_dwordx2 v[2:3], v6, s[6:7] offset:40
	global_load_dwordx2 v[7:8], v6, s[6:7] offset:24 glc
	global_load_dwordx2 v[4:5], v6, s[6:7]
	v_mov_b32_e32 v1, s11
	s_mov_b64 s[4:5], 0
	s_waitcnt vmcnt(2)
	v_add_co_u32_e32 v9, vcc, 1, v2
	v_addc_co_u32_e32 v10, vcc, 0, v3, vcc
	v_add_co_u32_e32 v0, vcc, s10, v9
	v_addc_co_u32_e32 v1, vcc, v10, v1, vcc
	v_cmp_eq_u64_e32 vcc, 0, v[0:1]
	v_cndmask_b32_e32 v1, v1, v10, vcc
	v_cndmask_b32_e32 v0, v0, v9, vcc
	v_and_b32_e32 v3, v1, v3
	v_and_b32_e32 v2, v0, v2
	v_mul_lo_u32 v3, v3, 24
	v_mul_hi_u32 v9, v2, 24
	v_mul_lo_u32 v10, v2, 24
	s_waitcnt vmcnt(1)
	v_mov_b32_e32 v2, v7
	v_add_u32_e32 v3, v9, v3
	s_waitcnt vmcnt(0)
	v_add_co_u32_e32 v4, vcc, v4, v10
	v_addc_co_u32_e32 v5, vcc, v5, v3, vcc
	global_store_dwordx2 v[4:5], v[7:8], off
	v_mov_b32_e32 v3, v8
	s_waitcnt vmcnt(0)
	global_atomic_cmpswap_x2 v[2:3], v6, v[0:3], s[6:7] offset:24 glc
	s_waitcnt vmcnt(0)
	v_cmp_ne_u64_e32 vcc, v[2:3], v[7:8]
	s_and_b64 exec, exec, vcc
	s_cbranch_execz .LBB5_1572
.LBB5_1571:                             ; =>This Inner Loop Header: Depth=1
	s_sleep 1
	global_store_dwordx2 v[4:5], v[2:3], off
	s_waitcnt vmcnt(0)
	global_atomic_cmpswap_x2 v[7:8], v6, v[0:3], s[6:7] offset:24 glc
	s_waitcnt vmcnt(0)
	v_cmp_eq_u64_e32 vcc, v[7:8], v[2:3]
	v_mov_b32_e32 v2, v7
	s_or_b64 s[4:5], vcc, s[4:5]
	v_mov_b32_e32 v3, v8
	s_andn2_b64 exec, exec, s[4:5]
	s_cbranch_execnz .LBB5_1571
.LBB5_1572:
	s_or_b64 exec, exec, s[12:13]
.LBB5_1573:
	s_getpc_b64 s[4:5]
	s_add_u32 s4, s4, .str@rel32@lo+4
	s_addc_u32 s5, s5, .str@rel32@hi+12
	s_waitcnt vmcnt(0)
	v_mov_b32_e32 v0, s4
	v_mov_b32_e32 v1, s5
	s_mov_b64 s[24:25], src_private_base
	s_getpc_b64 s[50:51]
	s_add_u32 s50, s50, _ZNK8migraphx13basic_printerIZNS_4coutEvEUlT_E_ElsEPKc@rel32@lo+4
	s_addc_u32 s51, s51, _ZNK8migraphx13basic_printerIZNS_4coutEvEUlT_E_ElsEPKc@rel32@hi+12
	s_mov_b64 s[42:43], s[8:9]
	s_swappc_b64 s[30:31], s[50:51]
	s_getpc_b64 s[4:5]
	s_add_u32 s4, s4, .str.3@rel32@lo+4
	s_addc_u32 s5, s5, .str.3@rel32@hi+12
	s_mov_b64 s[8:9], s[42:43]
	v_mov_b32_e32 v0, s4
	v_mov_b32_e32 v1, s5
	s_swappc_b64 s[30:31], s[50:51]
	v_lshrrev_b32_e64 v0, 6, s33
	s_mov_b64 s[8:9], s[42:43]
	v_add_u32_e32 v0, 0x48, v0
	v_mov_b32_e32 v1, s25
	s_getpc_b64 s[4:5]
	s_add_u32 s4, s4, _ZN8migraphx4testlsIKNS_13basic_printerIZNS_4coutEvEUlT_E_EEEERS3_S7_RKNS0_10expressionINS0_14lhs_expressionIRNS_5arrayIiLj6EEENS0_3nopEEESC_NS0_5equalEEE@rel32@lo+4
	s_addc_u32 s5, s5, _ZN8migraphx4testlsIKNS_13basic_printerIZNS_4coutEvEUlT_E_EEEERS3_S7_RKNS0_10expressionINS0_14lhs_expressionIRNS_5arrayIiLj6EEENS0_3nopEEESC_NS0_5equalEEE@rel32@hi+12
	s_swappc_b64 s[30:31], s[4:5]
	s_getpc_b64 s[4:5]
	s_add_u32 s4, s4, .str.4@rel32@lo+4
	s_addc_u32 s5, s5, .str.4@rel32@hi+12
	s_mov_b64 s[8:9], s[42:43]
	v_mov_b32_e32 v0, s4
	v_mov_b32_e32 v1, s5
	s_swappc_b64 s[30:31], s[50:51]
	s_mov_b64 s[8:9], s[42:43]
	v_mov_b32_e32 v0, 10
	s_getpc_b64 s[4:5]
	s_add_u32 s4, s4, _ZNK8migraphx13basic_printerIZNS_4coutEvEUlT_E_ElsEc@rel32@lo+4
	s_addc_u32 s5, s5, _ZNK8migraphx13basic_printerIZNS_4coutEvEUlT_E_ElsEc@rel32@hi+12
	s_swappc_b64 s[30:31], s[4:5]
	flat_load_dwordx2 v[0:1], v[42:43]
	s_mov_b64 s[8:9], s[42:43]
	s_mov_b32 s14, s49
	s_mov_b32 s13, s48
	;; [unrolled: 1-line block ×3, first 2 shown]
	s_waitcnt vmcnt(0) lgkmcnt(0)
	flat_load_dword v2, v[0:1]
	s_waitcnt vmcnt(0) lgkmcnt(0)
	v_add_u32_e32 v2, 1, v2
	flat_store_dword v[0:1], v2
.LBB5_1574:
	s_or_b64 exec, exec, s[46:47]
	s_getpc_b64 s[4:5]
	s_add_u32 s4, s4, _ZN8migraphx4test4failEv@rel32@lo+4
	s_addc_u32 s5, s5, _ZN8migraphx4test4failEv@rel32@hi+12
	s_swappc_b64 s[30:31], s[4:5]
	; divergent unreachable
.LBB5_1575:
	s_andn2_saveexec_b64 s[4:5], s[44:45]
	s_or_b64 exec, exec, s[4:5]
	v_readlane_b32 s30, v44, 0
	v_readlane_b32 s31, v44, 1
	;; [unrolled: 1-line block ×3, first 2 shown]
	s_or_saveexec_b64 s[6:7], -1
	buffer_load_dword v44, off, s[0:3], s33 offset:88 ; 4-byte Folded Reload
	s_mov_b64 exec, s[6:7]
	s_addk_i32 s32, 0xe800
	s_mov_b32 s33, s4
	s_waitcnt vmcnt(0)
	s_setpc_b64 s[30:31]
.Lfunc_end5:
	.size	_ZL19merge_reverse_orderRN8migraphx4test12test_managerE, .Lfunc_end5-_ZL19merge_reverse_orderRN8migraphx4test12test_managerE
                                        ; -- End function
	.section	.AMDGPU.csdata,"",@progbits
; Function info:
; codeLenInByte = 53968
; NumSgprs: 56
; NumVgprs: 56
; ScratchSize: 112
; MemoryBound: 0
	.text
	.p2align	2                               ; -- Begin function _ZL22merge_negative_numbersRN8migraphx4test12test_managerE
	.type	_ZL22merge_negative_numbersRN8migraphx4test12test_managerE,@function
_ZL22merge_negative_numbersRN8migraphx4test12test_managerE: ; @_ZL22merge_negative_numbersRN8migraphx4test12test_managerE
; %bb.0:
	s_waitcnt vmcnt(0) expcnt(0) lgkmcnt(0)
	s_mov_b32 s4, s33
	s_mov_b32 s33, s32
	s_or_saveexec_b64 s[6:7], -1
	buffer_store_dword v44, off, s[0:3], s33 offset:88 ; 4-byte Folded Spill
	s_mov_b64 exec, s[6:7]
	v_writelane_b32 v44, s4, 2
	v_writelane_b32 v44, s30, 0
	s_addk_i32 s32, 0x1800
	v_writelane_b32 v44, s31, 1
	v_mov_b32_e32 v42, v0
	v_mov_b32_e32 v0, -5
	buffer_store_dword v0, off, s[0:3], s33
	v_mov_b32_e32 v0, -2
	buffer_store_dword v0, off, s[0:3], s33 offset:4
	v_mov_b32_e32 v0, 1
	buffer_store_dword v0, off, s[0:3], s33 offset:8
	v_mov_b32_e32 v0, -3
	v_lshrrev_b32_e64 v3, 6, s33
	v_mov_b32_e32 v43, v1
	buffer_store_dword v0, off, s[0:3], s33 offset:12
	v_mov_b32_e32 v2, 0
	v_mov_b32_e32 v0, 3
	v_add_u32_e32 v3, 24, v3
	s_mov_b64 s[4:5], 0
	v_mov_b32_e32 v4, 0
	buffer_store_dword v2, off, s[0:3], s33 offset:16
	buffer_store_dword v0, off, s[0:3], s33 offset:20
	;; [unrolled: 1-line block ×8, first 2 shown]
                                        ; implicit-def: $sgpr6_sgpr7
                                        ; implicit-def: $sgpr16_sgpr17
                                        ; implicit-def: $sgpr10_sgpr11
	s_branch .LBB6_2
.LBB6_1:                                ;   in Loop: Header=BB6_2 Depth=1
	s_or_b64 exec, exec, s[18:19]
	s_and_b64 s[18:19], exec, s[16:17]
	s_or_b64 s[4:5], s[18:19], s[4:5]
	s_andn2_b64 s[6:7], s[6:7], exec
	s_and_b64 s[18:19], s[10:11], exec
	s_or_b64 s[6:7], s[6:7], s[18:19]
	s_andn2_b64 exec, exec, s[4:5]
	s_cbranch_execz .LBB6_4
.LBB6_2:                                ; =>This Inner Loop Header: Depth=1
	v_mov_b32_e32 v1, v4
	v_mov_b32_e32 v0, v3
	v_cmp_ne_u32_e32 vcc, 12, v2
	s_or_b64 s[10:11], s[10:11], exec
	s_or_b64 s[16:17], s[16:17], exec
                                        ; implicit-def: $vgpr4
                                        ; implicit-def: $vgpr3
	s_and_saveexec_b64 s[18:19], vcc
	s_cbranch_execz .LBB6_1
; %bb.3:                                ;   in Loop: Header=BB6_2 Depth=1
	v_lshrrev_b32_e64 v5, 6, s33
	v_lshrrev_b32_e64 v4, 6, s33
	v_add_u32_e32 v5, 12, v5
	v_add_u32_e32 v3, v4, v1
	;; [unrolled: 1-line block ×3, first 2 shown]
	buffer_load_dword v5, v4, s[0:3], 0 offen
	buffer_load_dword v6, v3, s[0:3], 0 offen
	s_andn2_b64 s[16:17], s[16:17], exec
	v_add_u32_e32 v3, 4, v0
	s_andn2_b64 s[10:11], s[10:11], exec
	s_waitcnt vmcnt(0)
	v_cmp_ge_i32_e32 vcc, v5, v6
	v_cndmask_b32_e64 v4, 0, 1, vcc
	v_cmp_lt_i32_e32 vcc, v5, v6
	v_lshl_add_u32 v4, v4, 2, v1
	v_min_i32_e32 v7, v5, v6
	v_cndmask_b32_e64 v5, 0, 1, vcc
	v_cmp_eq_u32_e32 vcc, 12, v4
	s_and_b64 s[20:21], vcc, exec
	v_lshl_add_u32 v2, v5, 2, v2
	s_or_b64 s[16:17], s[16:17], s[20:21]
	buffer_store_dword v7, v0, s[0:3], 0 offen
	s_branch .LBB6_1
.LBB6_4:
	s_or_b64 exec, exec, s[4:5]
	s_xor_b64 s[4:5], s[6:7], -1
	s_and_saveexec_b64 s[6:7], s[4:5]
	s_xor_b64 s[4:5], exec, s[6:7]
	s_cbranch_execz .LBB6_9
; %bb.5:
	v_cmp_ne_u32_e32 vcc, 12, v2
	s_and_saveexec_b64 s[6:7], vcc
	s_cbranch_execz .LBB6_8
; %bb.6:
	v_lshrrev_b32_e64 v5, 6, s33
	v_add_u32_e32 v5, 12, v5
	v_add_u32_e32 v4, v5, v2
	v_sub_u32_e32 v2, 12, v2
	s_mov_b32 s15, 0
	s_mov_b64 s[10:11], 0
.LBB6_7:                                ; =>This Inner Loop Header: Depth=1
	v_add_u32_e32 v5, s15, v4
	buffer_load_dword v5, v5, s[0:3], 0 offen
	v_add_u32_e32 v6, s15, v3
	s_add_i32 s15, s15, 4
	v_cmp_eq_u32_e32 vcc, s15, v2
	s_or_b64 s[10:11], vcc, s[10:11]
	s_waitcnt vmcnt(0)
	buffer_store_dword v5, v6, s[0:3], 0 offen
	s_andn2_b64 exec, exec, s[10:11]
	s_cbranch_execnz .LBB6_7
.LBB6_8:
	s_or_b64 exec, exec, s[6:7]
.LBB6_9:
	s_andn2_saveexec_b64 s[4:5], s[4:5]
	s_cbranch_execz .LBB6_13
; %bb.10:
	v_lshrrev_b32_e64 v3, 6, s33
	v_add_u32_e32 v2, v3, v1
	v_sub_u32_e32 v1, 12, v1
	s_mov_b32 s10, 0
	s_mov_b64 s[6:7], 0
.LBB6_11:                               ; =>This Inner Loop Header: Depth=1
	v_add_u32_e32 v3, s10, v2
	buffer_load_dword v3, v3, s[0:3], 0 offen
	v_add_u32_e32 v4, s10, v0
	s_add_i32 s10, s10, 4
	v_cmp_eq_u32_e32 vcc, s10, v1
	s_or_b64 s[6:7], vcc, s[6:7]
	s_waitcnt vmcnt(0)
	buffer_store_dword v3, v4, s[0:3], 0 offen
	s_andn2_b64 exec, exec, s[6:7]
	s_cbranch_execnz .LBB6_11
; %bb.12:
	s_or_b64 exec, exec, s[6:7]
.LBB6_13:
	s_or_b64 exec, exec, s[4:5]
	buffer_load_dword v0, off, s[0:3], s33 offset:40
	buffer_load_dword v1, off, s[0:3], s33 offset:44
	;; [unrolled: 1-line block ×6, first 2 shown]
	s_mov_b64 s[4:5], src_private_base
	v_mov_b32_e32 v6, -5
	v_mov_b32_e32 v7, -3
	;; [unrolled: 1-line block ×3, first 2 shown]
	v_mov_b32_e32 v9, 0
	v_mov_b32_e32 v10, 1
	;; [unrolled: 1-line block ×3, first 2 shown]
	buffer_store_dword v6, off, s[0:3], s33 offset:48
	buffer_store_dword v7, off, s[0:3], s33 offset:52
	;; [unrolled: 1-line block ×6, first 2 shown]
	v_mov_b32_e32 v6, s5
	v_lshrrev_b32_e64 v12, 6, s33
	v_add_u32_e32 v12, 24, v12
	v_lshrrev_b32_e64 v13, 6, s33
	v_add_u32_e32 v13, 48, v13
	buffer_store_dword v12, off, s[0:3], s33 offset:72
	buffer_store_dword v13, off, s[0:3], s33 offset:80
	;; [unrolled: 1-line block ×4, first 2 shown]
	s_waitcnt vmcnt(15)
	v_cmp_ne_u32_e32 vcc, 1, v0
	s_waitcnt vmcnt(14)
	v_cmp_ne_u32_e64 s[4:5], 3, v1
	s_waitcnt vmcnt(13)
	v_cmp_ne_u32_e64 s[6:7], -2, v2
	v_cndmask_b32_e64 v0, 0, 1, s[6:7]
	s_waitcnt vmcnt(12)
	v_cmp_ne_u32_e64 s[6:7], 0, v3
	v_cndmask_b32_e64 v1, 0, 1, s[6:7]
	s_waitcnt vmcnt(11)
	v_cmp_ne_u32_e64 s[6:7], -3, v4
	v_cndmask_b32_e64 v2, 0, 1, s[6:7]
	s_waitcnt vmcnt(10)
	v_cmp_ne_u32_e64 s[6:7], -5, v5
	v_cndmask_b32_e64 v3, 0, 1, s[6:7]
	v_lshlrev_b16_e32 v0, 2, v0
	v_lshlrev_b16_e32 v1, 3, v1
	;; [unrolled: 1-line block ×3, first 2 shown]
	v_or_b32_e32 v0, v1, v0
	v_or_b32_e32 v1, v3, v2
	v_and_b32_e32 v1, 3, v1
	v_or_b32_e32 v0, v1, v0
	v_and_b32_e32 v0, 15, v0
	v_cmp_ne_u16_e64 s[6:7], 0, v0
	s_or_b64 s[6:7], s[6:7], vcc
	s_or_b64 s[4:5], s[6:7], s[4:5]
	s_and_saveexec_b64 s[6:7], s[4:5]
	s_xor_b64 s[44:45], exec, s[6:7]
	s_cbranch_execz .LBB6_1575
; %bb.14:
	v_and_b32_e32 v0, 0x3ff, v31
	v_cmp_eq_u32_e32 vcc, 0, v0
	s_and_saveexec_b64 s[46:47], vcc
	s_cbranch_execz .LBB6_1574
; %bb.15:
	s_load_dwordx2 s[6:7], s[8:9], 0x50
	v_mbcnt_lo_u32_b32 v0, -1, 0
	v_mbcnt_hi_u32_b32 v32, -1, v0
	v_readfirstlane_b32 s4, v32
	v_mov_b32_e32 v5, 0
	v_mov_b32_e32 v6, 0
	v_cmp_eq_u32_e64 s[4:5], s4, v32
	s_and_saveexec_b64 s[10:11], s[4:5]
	s_cbranch_execz .LBB6_21
; %bb.16:
	v_mov_b32_e32 v0, 0
	s_waitcnt lgkmcnt(0)
	global_load_dwordx2 v[3:4], v0, s[6:7] offset:24 glc
	s_waitcnt vmcnt(0)
	buffer_wbinvl1_vol
	global_load_dwordx2 v[1:2], v0, s[6:7] offset:40
	global_load_dwordx2 v[5:6], v0, s[6:7]
	s_waitcnt vmcnt(1)
	v_and_b32_e32 v1, v1, v3
	v_and_b32_e32 v2, v2, v4
	v_mul_lo_u32 v2, v2, 24
	v_mul_hi_u32 v7, v1, 24
	v_mul_lo_u32 v1, v1, 24
	v_add_u32_e32 v2, v7, v2
	s_waitcnt vmcnt(0)
	v_add_co_u32_e32 v1, vcc, v5, v1
	v_addc_co_u32_e32 v2, vcc, v6, v2, vcc
	global_load_dwordx2 v[1:2], v[1:2], off glc
	s_waitcnt vmcnt(0)
	global_atomic_cmpswap_x2 v[5:6], v0, v[1:4], s[6:7] offset:24 glc
	s_waitcnt vmcnt(0)
	buffer_wbinvl1_vol
	v_cmp_ne_u64_e32 vcc, v[5:6], v[3:4]
	s_and_saveexec_b64 s[16:17], vcc
	s_cbranch_execz .LBB6_20
; %bb.17:
	s_mov_b64 s[18:19], 0
.LBB6_18:                               ; =>This Inner Loop Header: Depth=1
	s_sleep 1
	global_load_dwordx2 v[1:2], v0, s[6:7] offset:40
	global_load_dwordx2 v[7:8], v0, s[6:7]
	v_mov_b32_e32 v3, v5
	v_mov_b32_e32 v4, v6
	s_waitcnt vmcnt(1)
	v_and_b32_e32 v1, v1, v3
	s_waitcnt vmcnt(0)
	v_mad_u64_u32 v[5:6], s[20:21], v1, 24, v[7:8]
	v_and_b32_e32 v2, v2, v4
	v_mov_b32_e32 v1, v6
	v_mad_u64_u32 v[1:2], s[20:21], v2, 24, v[1:2]
	v_mov_b32_e32 v6, v1
	global_load_dwordx2 v[1:2], v[5:6], off glc
	s_waitcnt vmcnt(0)
	global_atomic_cmpswap_x2 v[5:6], v0, v[1:4], s[6:7] offset:24 glc
	s_waitcnt vmcnt(0)
	buffer_wbinvl1_vol
	v_cmp_eq_u64_e32 vcc, v[5:6], v[3:4]
	s_or_b64 s[18:19], vcc, s[18:19]
	s_andn2_b64 exec, exec, s[18:19]
	s_cbranch_execnz .LBB6_18
; %bb.19:
	s_or_b64 exec, exec, s[18:19]
.LBB6_20:
	s_or_b64 exec, exec, s[16:17]
.LBB6_21:
	s_or_b64 exec, exec, s[10:11]
	v_mov_b32_e32 v4, 0
	s_waitcnt lgkmcnt(0)
	global_load_dwordx2 v[7:8], v4, s[6:7] offset:40
	global_load_dwordx4 v[0:3], v4, s[6:7]
	v_readfirstlane_b32 s10, v5
	v_readfirstlane_b32 s11, v6
	s_mov_b64 s[16:17], exec
	s_waitcnt vmcnt(1)
	v_readfirstlane_b32 s18, v7
	v_readfirstlane_b32 s19, v8
	s_and_b64 s[18:19], s[10:11], s[18:19]
	s_mul_i32 s15, s19, 24
	s_mul_hi_u32 s20, s18, 24
	s_mul_i32 s21, s18, 24
	s_add_i32 s15, s20, s15
	v_mov_b32_e32 v5, s15
	s_waitcnt vmcnt(0)
	v_add_co_u32_e32 v7, vcc, s21, v0
	v_addc_co_u32_e32 v8, vcc, v1, v5, vcc
	s_and_saveexec_b64 s[20:21], s[4:5]
	s_cbranch_execz .LBB6_23
; %bb.22:
	v_mov_b32_e32 v9, s16
	v_mov_b32_e32 v10, s17
	;; [unrolled: 1-line block ×4, first 2 shown]
	global_store_dwordx4 v[7:8], v[9:12], off offset:8
.LBB6_23:
	s_or_b64 exec, exec, s[20:21]
	s_lshl_b64 s[16:17], s[18:19], 12
	v_mov_b32_e32 v5, s17
	v_add_co_u32_e32 v2, vcc, s16, v2
	v_addc_co_u32_e32 v11, vcc, v3, v5, vcc
	s_mov_b32 s16, 0
	v_lshlrev_b32_e32 v31, 6, v32
	v_mov_b32_e32 v3, 33
	v_mov_b32_e32 v5, v4
	;; [unrolled: 1-line block ×3, first 2 shown]
	v_readfirstlane_b32 s20, v2
	v_readfirstlane_b32 s21, v11
	v_add_co_u32_e32 v9, vcc, v2, v31
	s_mov_b32 s17, s16
	s_mov_b32 s18, s16
	;; [unrolled: 1-line block ×3, first 2 shown]
	s_nop 0
	global_store_dwordx4 v31, v[3:6], s[20:21]
	v_mov_b32_e32 v2, s16
	v_addc_co_u32_e32 v10, vcc, 0, v11, vcc
	v_mov_b32_e32 v3, s17
	v_mov_b32_e32 v4, s18
	;; [unrolled: 1-line block ×3, first 2 shown]
	global_store_dwordx4 v31, v[2:5], s[20:21] offset:16
	global_store_dwordx4 v31, v[2:5], s[20:21] offset:32
	;; [unrolled: 1-line block ×3, first 2 shown]
	s_and_saveexec_b64 s[16:17], s[4:5]
	s_cbranch_execz .LBB6_31
; %bb.24:
	v_mov_b32_e32 v6, 0
	global_load_dwordx2 v[13:14], v6, s[6:7] offset:32 glc
	global_load_dwordx2 v[2:3], v6, s[6:7] offset:40
	v_mov_b32_e32 v11, s10
	v_mov_b32_e32 v12, s11
	s_waitcnt vmcnt(0)
	v_and_b32_e32 v2, s10, v2
	v_and_b32_e32 v3, s11, v3
	v_mul_lo_u32 v3, v3, 24
	v_mul_hi_u32 v4, v2, 24
	v_mul_lo_u32 v2, v2, 24
	v_add_u32_e32 v3, v4, v3
	v_add_co_u32_e32 v4, vcc, v0, v2
	v_addc_co_u32_e32 v5, vcc, v1, v3, vcc
	global_store_dwordx2 v[4:5], v[13:14], off
	s_waitcnt vmcnt(0)
	global_atomic_cmpswap_x2 v[2:3], v6, v[11:14], s[6:7] offset:32 glc
	s_waitcnt vmcnt(0)
	v_cmp_ne_u64_e32 vcc, v[2:3], v[13:14]
	s_and_saveexec_b64 s[18:19], vcc
	s_cbranch_execz .LBB6_27
; %bb.25:
	s_mov_b64 s[20:21], 0
.LBB6_26:                               ; =>This Inner Loop Header: Depth=1
	s_sleep 1
	global_store_dwordx2 v[4:5], v[2:3], off
	v_mov_b32_e32 v0, s10
	v_mov_b32_e32 v1, s11
	s_waitcnt vmcnt(0)
	global_atomic_cmpswap_x2 v[0:1], v6, v[0:3], s[6:7] offset:32 glc
	s_waitcnt vmcnt(0)
	v_cmp_eq_u64_e32 vcc, v[0:1], v[2:3]
	v_mov_b32_e32 v3, v1
	s_or_b64 s[20:21], vcc, s[20:21]
	v_mov_b32_e32 v2, v0
	s_andn2_b64 exec, exec, s[20:21]
	s_cbranch_execnz .LBB6_26
.LBB6_27:
	s_or_b64 exec, exec, s[18:19]
	v_mov_b32_e32 v3, 0
	global_load_dwordx2 v[0:1], v3, s[6:7] offset:16
	s_mov_b64 s[18:19], exec
	v_mbcnt_lo_u32_b32 v2, s18, 0
	v_mbcnt_hi_u32_b32 v2, s19, v2
	v_cmp_eq_u32_e32 vcc, 0, v2
	s_and_saveexec_b64 s[20:21], vcc
	s_cbranch_execz .LBB6_29
; %bb.28:
	s_bcnt1_i32_b64 s15, s[18:19]
	v_mov_b32_e32 v2, s15
	s_waitcnt vmcnt(0)
	global_atomic_add_x2 v[0:1], v[2:3], off offset:8
.LBB6_29:
	s_or_b64 exec, exec, s[20:21]
	s_waitcnt vmcnt(0)
	global_load_dwordx2 v[2:3], v[0:1], off offset:16
	s_waitcnt vmcnt(0)
	v_cmp_eq_u64_e32 vcc, 0, v[2:3]
	s_cbranch_vccnz .LBB6_31
; %bb.30:
	global_load_dword v0, v[0:1], off offset:24
	v_mov_b32_e32 v1, 0
	s_waitcnt vmcnt(0)
	global_store_dwordx2 v[2:3], v[0:1], off
	v_and_b32_e32 v0, 0xffffff, v0
	v_readfirstlane_b32 m0, v0
	s_sendmsg sendmsg(MSG_INTERRUPT)
.LBB6_31:
	s_or_b64 exec, exec, s[16:17]
	s_branch .LBB6_35
.LBB6_32:                               ;   in Loop: Header=BB6_35 Depth=1
	s_or_b64 exec, exec, s[16:17]
	v_readfirstlane_b32 s15, v0
	s_cmp_eq_u32 s15, 0
	s_cbranch_scc1 .LBB6_34
; %bb.33:                               ;   in Loop: Header=BB6_35 Depth=1
	s_sleep 1
	s_cbranch_execnz .LBB6_35
	s_branch .LBB6_37
.LBB6_34:
	s_branch .LBB6_37
.LBB6_35:                               ; =>This Inner Loop Header: Depth=1
	v_mov_b32_e32 v0, 1
	s_and_saveexec_b64 s[16:17], s[4:5]
	s_cbranch_execz .LBB6_32
; %bb.36:                               ;   in Loop: Header=BB6_35 Depth=1
	global_load_dword v0, v[7:8], off offset:20 glc
	s_waitcnt vmcnt(0)
	buffer_wbinvl1_vol
	v_and_b32_e32 v0, 1, v0
	s_branch .LBB6_32
.LBB6_37:
	global_load_dwordx2 v[4:5], v[9:10], off
	s_and_saveexec_b64 s[16:17], s[4:5]
	s_cbranch_execz .LBB6_40
; %bb.38:
	v_mov_b32_e32 v8, 0
	global_load_dwordx2 v[2:3], v8, s[6:7] offset:40
	global_load_dwordx2 v[9:10], v8, s[6:7] offset:24 glc
	global_load_dwordx2 v[6:7], v8, s[6:7]
	v_mov_b32_e32 v1, s11
	s_mov_b64 s[4:5], 0
	s_waitcnt vmcnt(2)
	v_add_co_u32_e32 v11, vcc, 1, v2
	v_addc_co_u32_e32 v12, vcc, 0, v3, vcc
	v_add_co_u32_e32 v0, vcc, s10, v11
	v_addc_co_u32_e32 v1, vcc, v12, v1, vcc
	v_cmp_eq_u64_e32 vcc, 0, v[0:1]
	v_cndmask_b32_e32 v1, v1, v12, vcc
	v_cndmask_b32_e32 v0, v0, v11, vcc
	v_and_b32_e32 v3, v1, v3
	v_and_b32_e32 v2, v0, v2
	v_mul_lo_u32 v3, v3, 24
	v_mul_hi_u32 v11, v2, 24
	v_mul_lo_u32 v12, v2, 24
	s_waitcnt vmcnt(1)
	v_mov_b32_e32 v2, v9
	v_add_u32_e32 v3, v11, v3
	s_waitcnt vmcnt(0)
	v_add_co_u32_e32 v6, vcc, v6, v12
	v_addc_co_u32_e32 v7, vcc, v7, v3, vcc
	global_store_dwordx2 v[6:7], v[9:10], off
	v_mov_b32_e32 v3, v10
	s_waitcnt vmcnt(0)
	global_atomic_cmpswap_x2 v[2:3], v8, v[0:3], s[6:7] offset:24 glc
	s_waitcnt vmcnt(0)
	v_cmp_ne_u64_e32 vcc, v[2:3], v[9:10]
	s_and_b64 exec, exec, vcc
	s_cbranch_execz .LBB6_40
.LBB6_39:                               ; =>This Inner Loop Header: Depth=1
	s_sleep 1
	global_store_dwordx2 v[6:7], v[2:3], off
	s_waitcnt vmcnt(0)
	global_atomic_cmpswap_x2 v[9:10], v8, v[0:3], s[6:7] offset:24 glc
	s_waitcnt vmcnt(0)
	v_cmp_eq_u64_e32 vcc, v[9:10], v[2:3]
	v_mov_b32_e32 v2, v9
	s_or_b64 s[4:5], vcc, s[4:5]
	v_mov_b32_e32 v3, v10
	s_andn2_b64 exec, exec, s[4:5]
	s_cbranch_execnz .LBB6_39
.LBB6_40:
	s_or_b64 exec, exec, s[16:17]
	s_getpc_b64 s[16:17]
	s_add_u32 s16, s16, .str.5@rel32@lo+4
	s_addc_u32 s17, s17, .str.5@rel32@hi+12
	s_cmp_lg_u64 s[16:17], 0
	s_cselect_b64 s[10:11], -1, 0
	s_and_b64 vcc, exec, s[10:11]
	s_cbranch_vccz .LBB6_125
; %bb.41:
	s_waitcnt vmcnt(0)
	v_and_b32_e32 v29, 2, v4
	v_mov_b32_e32 v26, 0
	v_and_b32_e32 v0, -3, v4
	v_mov_b32_e32 v1, v5
	s_mov_b64 s[18:19], 3
	v_mov_b32_e32 v8, 2
	v_mov_b32_e32 v9, 1
	s_branch .LBB6_43
.LBB6_42:                               ;   in Loop: Header=BB6_43 Depth=1
	s_or_b64 exec, exec, s[24:25]
	s_sub_u32 s18, s18, s20
	s_subb_u32 s19, s19, s21
	s_add_u32 s16, s16, s20
	s_addc_u32 s17, s17, s21
	s_cmp_lg_u64 s[18:19], 0
	s_cbranch_scc0 .LBB6_124
.LBB6_43:                               ; =>This Loop Header: Depth=1
                                        ;     Child Loop BB6_46 Depth 2
                                        ;     Child Loop BB6_53 Depth 2
                                        ;     Child Loop BB6_61 Depth 2
                                        ;     Child Loop BB6_69 Depth 2
                                        ;     Child Loop BB6_77 Depth 2
                                        ;     Child Loop BB6_85 Depth 2
                                        ;     Child Loop BB6_93 Depth 2
                                        ;     Child Loop BB6_101 Depth 2
                                        ;     Child Loop BB6_109 Depth 2
                                        ;     Child Loop BB6_118 Depth 2
                                        ;     Child Loop BB6_123 Depth 2
	v_cmp_lt_u64_e64 s[4:5], s[18:19], 56
	v_cmp_gt_u64_e64 s[22:23], s[18:19], 7
	s_and_b64 s[4:5], s[4:5], exec
	s_cselect_b32 s21, s19, 0
	s_cselect_b32 s20, s18, 56
	s_and_b64 vcc, exec, s[22:23]
	s_cbranch_vccnz .LBB6_48
; %bb.44:                               ;   in Loop: Header=BB6_43 Depth=1
	s_waitcnt vmcnt(0)
	v_mov_b32_e32 v2, 0
	s_cmp_eq_u64 s[18:19], 0
	v_mov_b32_e32 v3, 0
	s_mov_b64 s[4:5], 0
	s_cbranch_scc1 .LBB6_47
; %bb.45:                               ;   in Loop: Header=BB6_43 Depth=1
	v_mov_b32_e32 v2, 0
	s_lshl_b64 s[22:23], s[20:21], 3
	s_mov_b64 s[24:25], 0
	v_mov_b32_e32 v3, 0
	s_mov_b64 s[26:27], s[16:17]
.LBB6_46:                               ;   Parent Loop BB6_43 Depth=1
                                        ; =>  This Inner Loop Header: Depth=2
	global_load_ubyte v6, v26, s[26:27]
	s_waitcnt vmcnt(0)
	v_and_b32_e32 v25, 0xffff, v6
	v_lshlrev_b64 v[6:7], s24, v[25:26]
	s_add_u32 s24, s24, 8
	s_addc_u32 s25, s25, 0
	s_add_u32 s26, s26, 1
	s_addc_u32 s27, s27, 0
	v_or_b32_e32 v2, v6, v2
	s_cmp_lg_u32 s22, s24
	v_or_b32_e32 v3, v7, v3
	s_cbranch_scc1 .LBB6_46
.LBB6_47:                               ;   in Loop: Header=BB6_43 Depth=1
	s_mov_b32 s15, 0
	s_andn2_b64 vcc, exec, s[4:5]
	s_mov_b64 s[4:5], s[16:17]
	s_cbranch_vccz .LBB6_49
	s_branch .LBB6_50
.LBB6_48:                               ;   in Loop: Header=BB6_43 Depth=1
                                        ; implicit-def: $vgpr2_vgpr3
                                        ; implicit-def: $sgpr15
	s_mov_b64 s[4:5], s[16:17]
.LBB6_49:                               ;   in Loop: Header=BB6_43 Depth=1
	global_load_dwordx2 v[2:3], v26, s[16:17]
	s_add_i32 s15, s20, -8
	s_add_u32 s4, s16, 8
	s_addc_u32 s5, s17, 0
.LBB6_50:                               ;   in Loop: Header=BB6_43 Depth=1
	s_cmp_gt_u32 s15, 7
	s_cbranch_scc1 .LBB6_54
; %bb.51:                               ;   in Loop: Header=BB6_43 Depth=1
	s_cmp_eq_u32 s15, 0
	s_cbranch_scc1 .LBB6_55
; %bb.52:                               ;   in Loop: Header=BB6_43 Depth=1
	v_mov_b32_e32 v10, 0
	s_mov_b64 s[22:23], 0
	v_mov_b32_e32 v11, 0
	s_mov_b64 s[24:25], 0
.LBB6_53:                               ;   Parent Loop BB6_43 Depth=1
                                        ; =>  This Inner Loop Header: Depth=2
	s_add_u32 s26, s4, s24
	s_addc_u32 s27, s5, s25
	global_load_ubyte v6, v26, s[26:27]
	s_add_u32 s24, s24, 1
	s_addc_u32 s25, s25, 0
	s_waitcnt vmcnt(0)
	v_and_b32_e32 v25, 0xffff, v6
	v_lshlrev_b64 v[6:7], s22, v[25:26]
	s_add_u32 s22, s22, 8
	s_addc_u32 s23, s23, 0
	v_or_b32_e32 v10, v6, v10
	s_cmp_lg_u32 s15, s24
	v_or_b32_e32 v11, v7, v11
	s_cbranch_scc1 .LBB6_53
	s_branch .LBB6_56
.LBB6_54:                               ;   in Loop: Header=BB6_43 Depth=1
                                        ; implicit-def: $vgpr10_vgpr11
                                        ; implicit-def: $sgpr26
	s_branch .LBB6_57
.LBB6_55:                               ;   in Loop: Header=BB6_43 Depth=1
	v_mov_b32_e32 v10, 0
	v_mov_b32_e32 v11, 0
.LBB6_56:                               ;   in Loop: Header=BB6_43 Depth=1
	s_mov_b32 s26, 0
	s_cbranch_execnz .LBB6_58
.LBB6_57:                               ;   in Loop: Header=BB6_43 Depth=1
	global_load_dwordx2 v[10:11], v26, s[4:5]
	s_add_i32 s26, s15, -8
	s_add_u32 s4, s4, 8
	s_addc_u32 s5, s5, 0
.LBB6_58:                               ;   in Loop: Header=BB6_43 Depth=1
	s_cmp_gt_u32 s26, 7
	s_cbranch_scc1 .LBB6_62
; %bb.59:                               ;   in Loop: Header=BB6_43 Depth=1
	s_cmp_eq_u32 s26, 0
	s_cbranch_scc1 .LBB6_63
; %bb.60:                               ;   in Loop: Header=BB6_43 Depth=1
	v_mov_b32_e32 v12, 0
	s_mov_b64 s[22:23], 0
	v_mov_b32_e32 v13, 0
	s_mov_b64 s[24:25], 0
.LBB6_61:                               ;   Parent Loop BB6_43 Depth=1
                                        ; =>  This Inner Loop Header: Depth=2
	s_add_u32 s28, s4, s24
	s_addc_u32 s29, s5, s25
	global_load_ubyte v6, v26, s[28:29]
	s_add_u32 s24, s24, 1
	s_addc_u32 s25, s25, 0
	s_waitcnt vmcnt(0)
	v_and_b32_e32 v25, 0xffff, v6
	v_lshlrev_b64 v[6:7], s22, v[25:26]
	s_add_u32 s22, s22, 8
	s_addc_u32 s23, s23, 0
	v_or_b32_e32 v12, v6, v12
	s_cmp_lg_u32 s26, s24
	v_or_b32_e32 v13, v7, v13
	s_cbranch_scc1 .LBB6_61
	s_branch .LBB6_64
.LBB6_62:                               ;   in Loop: Header=BB6_43 Depth=1
                                        ; implicit-def: $sgpr15
	s_branch .LBB6_65
.LBB6_63:                               ;   in Loop: Header=BB6_43 Depth=1
	v_mov_b32_e32 v12, 0
	v_mov_b32_e32 v13, 0
.LBB6_64:                               ;   in Loop: Header=BB6_43 Depth=1
	s_mov_b32 s15, 0
	s_cbranch_execnz .LBB6_66
.LBB6_65:                               ;   in Loop: Header=BB6_43 Depth=1
	global_load_dwordx2 v[12:13], v26, s[4:5]
	s_add_i32 s15, s26, -8
	s_add_u32 s4, s4, 8
	s_addc_u32 s5, s5, 0
.LBB6_66:                               ;   in Loop: Header=BB6_43 Depth=1
	s_cmp_gt_u32 s15, 7
	s_cbranch_scc1 .LBB6_70
; %bb.67:                               ;   in Loop: Header=BB6_43 Depth=1
	s_cmp_eq_u32 s15, 0
	s_cbranch_scc1 .LBB6_71
; %bb.68:                               ;   in Loop: Header=BB6_43 Depth=1
	v_mov_b32_e32 v14, 0
	s_mov_b64 s[22:23], 0
	v_mov_b32_e32 v15, 0
	s_mov_b64 s[24:25], 0
.LBB6_69:                               ;   Parent Loop BB6_43 Depth=1
                                        ; =>  This Inner Loop Header: Depth=2
	s_add_u32 s26, s4, s24
	s_addc_u32 s27, s5, s25
	global_load_ubyte v6, v26, s[26:27]
	s_add_u32 s24, s24, 1
	s_addc_u32 s25, s25, 0
	s_waitcnt vmcnt(0)
	v_and_b32_e32 v25, 0xffff, v6
	v_lshlrev_b64 v[6:7], s22, v[25:26]
	s_add_u32 s22, s22, 8
	s_addc_u32 s23, s23, 0
	v_or_b32_e32 v14, v6, v14
	s_cmp_lg_u32 s15, s24
	v_or_b32_e32 v15, v7, v15
	s_cbranch_scc1 .LBB6_69
	s_branch .LBB6_72
.LBB6_70:                               ;   in Loop: Header=BB6_43 Depth=1
                                        ; implicit-def: $vgpr14_vgpr15
                                        ; implicit-def: $sgpr26
	s_branch .LBB6_73
.LBB6_71:                               ;   in Loop: Header=BB6_43 Depth=1
	v_mov_b32_e32 v14, 0
	v_mov_b32_e32 v15, 0
.LBB6_72:                               ;   in Loop: Header=BB6_43 Depth=1
	s_mov_b32 s26, 0
	s_cbranch_execnz .LBB6_74
.LBB6_73:                               ;   in Loop: Header=BB6_43 Depth=1
	global_load_dwordx2 v[14:15], v26, s[4:5]
	s_add_i32 s26, s15, -8
	s_add_u32 s4, s4, 8
	s_addc_u32 s5, s5, 0
.LBB6_74:                               ;   in Loop: Header=BB6_43 Depth=1
	s_cmp_gt_u32 s26, 7
	s_cbranch_scc1 .LBB6_78
; %bb.75:                               ;   in Loop: Header=BB6_43 Depth=1
	s_cmp_eq_u32 s26, 0
	s_cbranch_scc1 .LBB6_79
; %bb.76:                               ;   in Loop: Header=BB6_43 Depth=1
	v_mov_b32_e32 v16, 0
	s_mov_b64 s[22:23], 0
	v_mov_b32_e32 v17, 0
	s_mov_b64 s[24:25], 0
.LBB6_77:                               ;   Parent Loop BB6_43 Depth=1
                                        ; =>  This Inner Loop Header: Depth=2
	s_add_u32 s28, s4, s24
	s_addc_u32 s29, s5, s25
	global_load_ubyte v6, v26, s[28:29]
	s_add_u32 s24, s24, 1
	s_addc_u32 s25, s25, 0
	s_waitcnt vmcnt(0)
	v_and_b32_e32 v25, 0xffff, v6
	v_lshlrev_b64 v[6:7], s22, v[25:26]
	s_add_u32 s22, s22, 8
	s_addc_u32 s23, s23, 0
	v_or_b32_e32 v16, v6, v16
	s_cmp_lg_u32 s26, s24
	v_or_b32_e32 v17, v7, v17
	s_cbranch_scc1 .LBB6_77
	s_branch .LBB6_80
.LBB6_78:                               ;   in Loop: Header=BB6_43 Depth=1
                                        ; implicit-def: $sgpr15
	s_branch .LBB6_81
.LBB6_79:                               ;   in Loop: Header=BB6_43 Depth=1
	v_mov_b32_e32 v16, 0
	v_mov_b32_e32 v17, 0
.LBB6_80:                               ;   in Loop: Header=BB6_43 Depth=1
	s_mov_b32 s15, 0
	s_cbranch_execnz .LBB6_82
.LBB6_81:                               ;   in Loop: Header=BB6_43 Depth=1
	global_load_dwordx2 v[16:17], v26, s[4:5]
	s_add_i32 s15, s26, -8
	s_add_u32 s4, s4, 8
	s_addc_u32 s5, s5, 0
.LBB6_82:                               ;   in Loop: Header=BB6_43 Depth=1
	s_cmp_gt_u32 s15, 7
	s_cbranch_scc1 .LBB6_86
; %bb.83:                               ;   in Loop: Header=BB6_43 Depth=1
	s_cmp_eq_u32 s15, 0
	s_cbranch_scc1 .LBB6_87
; %bb.84:                               ;   in Loop: Header=BB6_43 Depth=1
	v_mov_b32_e32 v18, 0
	s_mov_b64 s[22:23], 0
	v_mov_b32_e32 v19, 0
	s_mov_b64 s[24:25], 0
.LBB6_85:                               ;   Parent Loop BB6_43 Depth=1
                                        ; =>  This Inner Loop Header: Depth=2
	s_add_u32 s26, s4, s24
	s_addc_u32 s27, s5, s25
	global_load_ubyte v6, v26, s[26:27]
	s_add_u32 s24, s24, 1
	s_addc_u32 s25, s25, 0
	s_waitcnt vmcnt(0)
	v_and_b32_e32 v25, 0xffff, v6
	v_lshlrev_b64 v[6:7], s22, v[25:26]
	s_add_u32 s22, s22, 8
	s_addc_u32 s23, s23, 0
	v_or_b32_e32 v18, v6, v18
	s_cmp_lg_u32 s15, s24
	v_or_b32_e32 v19, v7, v19
	s_cbranch_scc1 .LBB6_85
	s_branch .LBB6_88
.LBB6_86:                               ;   in Loop: Header=BB6_43 Depth=1
                                        ; implicit-def: $vgpr18_vgpr19
                                        ; implicit-def: $sgpr26
	s_branch .LBB6_89
.LBB6_87:                               ;   in Loop: Header=BB6_43 Depth=1
	v_mov_b32_e32 v18, 0
	v_mov_b32_e32 v19, 0
.LBB6_88:                               ;   in Loop: Header=BB6_43 Depth=1
	s_mov_b32 s26, 0
	s_cbranch_execnz .LBB6_90
.LBB6_89:                               ;   in Loop: Header=BB6_43 Depth=1
	global_load_dwordx2 v[18:19], v26, s[4:5]
	s_add_i32 s26, s15, -8
	s_add_u32 s4, s4, 8
	s_addc_u32 s5, s5, 0
.LBB6_90:                               ;   in Loop: Header=BB6_43 Depth=1
	s_cmp_gt_u32 s26, 7
	s_cbranch_scc1 .LBB6_94
; %bb.91:                               ;   in Loop: Header=BB6_43 Depth=1
	s_cmp_eq_u32 s26, 0
	s_cbranch_scc1 .LBB6_95
; %bb.92:                               ;   in Loop: Header=BB6_43 Depth=1
	v_mov_b32_e32 v20, 0
	s_mov_b64 s[22:23], 0
	v_mov_b32_e32 v21, 0
	s_mov_b64 s[24:25], s[4:5]
.LBB6_93:                               ;   Parent Loop BB6_43 Depth=1
                                        ; =>  This Inner Loop Header: Depth=2
	global_load_ubyte v6, v26, s[24:25]
	s_add_i32 s26, s26, -1
	s_waitcnt vmcnt(0)
	v_and_b32_e32 v25, 0xffff, v6
	v_lshlrev_b64 v[6:7], s22, v[25:26]
	s_add_u32 s22, s22, 8
	s_addc_u32 s23, s23, 0
	s_add_u32 s24, s24, 1
	s_addc_u32 s25, s25, 0
	v_or_b32_e32 v20, v6, v20
	s_cmp_lg_u32 s26, 0
	v_or_b32_e32 v21, v7, v21
	s_cbranch_scc1 .LBB6_93
	s_branch .LBB6_96
.LBB6_94:                               ;   in Loop: Header=BB6_43 Depth=1
	s_branch .LBB6_97
.LBB6_95:                               ;   in Loop: Header=BB6_43 Depth=1
	v_mov_b32_e32 v20, 0
	v_mov_b32_e32 v21, 0
.LBB6_96:                               ;   in Loop: Header=BB6_43 Depth=1
	s_cbranch_execnz .LBB6_98
.LBB6_97:                               ;   in Loop: Header=BB6_43 Depth=1
	global_load_dwordx2 v[20:21], v26, s[4:5]
.LBB6_98:                               ;   in Loop: Header=BB6_43 Depth=1
	v_readfirstlane_b32 s4, v32
	v_mov_b32_e32 v6, 0
	v_mov_b32_e32 v7, 0
	v_cmp_eq_u32_e64 s[4:5], s4, v32
	s_and_saveexec_b64 s[22:23], s[4:5]
	s_cbranch_execz .LBB6_104
; %bb.99:                               ;   in Loop: Header=BB6_43 Depth=1
	global_load_dwordx2 v[24:25], v26, s[6:7] offset:24 glc
	s_waitcnt vmcnt(0)
	buffer_wbinvl1_vol
	global_load_dwordx2 v[6:7], v26, s[6:7] offset:40
	global_load_dwordx2 v[22:23], v26, s[6:7]
	s_waitcnt vmcnt(1)
	v_and_b32_e32 v6, v6, v24
	v_and_b32_e32 v7, v7, v25
	v_mul_lo_u32 v7, v7, 24
	v_mul_hi_u32 v27, v6, 24
	v_mul_lo_u32 v6, v6, 24
	v_add_u32_e32 v7, v27, v7
	s_waitcnt vmcnt(0)
	v_add_co_u32_e32 v6, vcc, v22, v6
	v_addc_co_u32_e32 v7, vcc, v23, v7, vcc
	global_load_dwordx2 v[22:23], v[6:7], off glc
	s_waitcnt vmcnt(0)
	global_atomic_cmpswap_x2 v[6:7], v26, v[22:25], s[6:7] offset:24 glc
	s_waitcnt vmcnt(0)
	buffer_wbinvl1_vol
	v_cmp_ne_u64_e32 vcc, v[6:7], v[24:25]
	s_and_saveexec_b64 s[24:25], vcc
	s_cbranch_execz .LBB6_103
; %bb.100:                              ;   in Loop: Header=BB6_43 Depth=1
	s_mov_b64 s[26:27], 0
.LBB6_101:                              ;   Parent Loop BB6_43 Depth=1
                                        ; =>  This Inner Loop Header: Depth=2
	s_sleep 1
	global_load_dwordx2 v[22:23], v26, s[6:7] offset:40
	global_load_dwordx2 v[27:28], v26, s[6:7]
	v_mov_b32_e32 v25, v7
	v_mov_b32_e32 v24, v6
	s_waitcnt vmcnt(1)
	v_and_b32_e32 v6, v22, v24
	s_waitcnt vmcnt(0)
	v_mad_u64_u32 v[6:7], s[28:29], v6, 24, v[27:28]
	v_and_b32_e32 v22, v23, v25
	v_mad_u64_u32 v[22:23], s[28:29], v22, 24, v[7:8]
	v_mov_b32_e32 v7, v22
	global_load_dwordx2 v[22:23], v[6:7], off glc
	s_waitcnt vmcnt(0)
	global_atomic_cmpswap_x2 v[6:7], v26, v[22:25], s[6:7] offset:24 glc
	s_waitcnt vmcnt(0)
	buffer_wbinvl1_vol
	v_cmp_eq_u64_e32 vcc, v[6:7], v[24:25]
	s_or_b64 s[26:27], vcc, s[26:27]
	s_andn2_b64 exec, exec, s[26:27]
	s_cbranch_execnz .LBB6_101
; %bb.102:                              ;   in Loop: Header=BB6_43 Depth=1
	s_or_b64 exec, exec, s[26:27]
.LBB6_103:                              ;   in Loop: Header=BB6_43 Depth=1
	s_or_b64 exec, exec, s[24:25]
.LBB6_104:                              ;   in Loop: Header=BB6_43 Depth=1
	s_or_b64 exec, exec, s[22:23]
	global_load_dwordx2 v[27:28], v26, s[6:7] offset:40
	global_load_dwordx4 v[22:25], v26, s[6:7]
	v_readfirstlane_b32 s22, v6
	v_readfirstlane_b32 s23, v7
	s_mov_b64 s[24:25], exec
	s_waitcnt vmcnt(1)
	v_readfirstlane_b32 s26, v27
	v_readfirstlane_b32 s27, v28
	s_and_b64 s[26:27], s[22:23], s[26:27]
	s_mul_i32 s15, s27, 24
	s_mul_hi_u32 s28, s26, 24
	s_mul_i32 s29, s26, 24
	s_add_i32 s15, s28, s15
	v_mov_b32_e32 v6, s15
	s_waitcnt vmcnt(0)
	v_add_co_u32_e32 v27, vcc, s29, v22
	v_addc_co_u32_e32 v28, vcc, v23, v6, vcc
	s_and_saveexec_b64 s[28:29], s[4:5]
	s_cbranch_execz .LBB6_106
; %bb.105:                              ;   in Loop: Header=BB6_43 Depth=1
	v_mov_b32_e32 v6, s24
	v_mov_b32_e32 v7, s25
	global_store_dwordx4 v[27:28], v[6:9], off offset:8
.LBB6_106:                              ;   in Loop: Header=BB6_43 Depth=1
	s_or_b64 exec, exec, s[28:29]
	s_lshl_b64 s[24:25], s[26:27], 12
	v_mov_b32_e32 v6, s25
	v_add_co_u32_e32 v24, vcc, s24, v24
	v_addc_co_u32_e32 v30, vcc, v25, v6, vcc
	v_cmp_gt_u64_e64 vcc, s[18:19], 56
	v_or_b32_e32 v7, v0, v29
	s_lshl_b32 s15, s20, 2
	v_cndmask_b32_e32 v0, v7, v0, vcc
	s_add_i32 s15, s15, 28
	v_or_b32_e32 v6, 0, v1
	s_and_b32 s15, s15, 0x1e0
	v_and_b32_e32 v0, 0xffffff1f, v0
	v_cndmask_b32_e32 v1, v6, v1, vcc
	v_or_b32_e32 v0, s15, v0
	v_readfirstlane_b32 s24, v24
	v_readfirstlane_b32 s25, v30
	s_nop 4
	global_store_dwordx4 v31, v[0:3], s[24:25]
	global_store_dwordx4 v31, v[10:13], s[24:25] offset:16
	global_store_dwordx4 v31, v[14:17], s[24:25] offset:32
	;; [unrolled: 1-line block ×3, first 2 shown]
	s_and_saveexec_b64 s[24:25], s[4:5]
	s_cbranch_execz .LBB6_114
; %bb.107:                              ;   in Loop: Header=BB6_43 Depth=1
	global_load_dwordx2 v[12:13], v26, s[6:7] offset:32 glc
	global_load_dwordx2 v[0:1], v26, s[6:7] offset:40
	v_mov_b32_e32 v10, s22
	v_mov_b32_e32 v11, s23
	s_waitcnt vmcnt(0)
	v_readfirstlane_b32 s26, v0
	v_readfirstlane_b32 s27, v1
	s_and_b64 s[26:27], s[26:27], s[22:23]
	s_mul_i32 s15, s27, 24
	s_mul_hi_u32 s27, s26, 24
	s_mul_i32 s26, s26, 24
	s_add_i32 s15, s27, s15
	v_mov_b32_e32 v0, s15
	v_add_co_u32_e32 v6, vcc, s26, v22
	v_addc_co_u32_e32 v7, vcc, v23, v0, vcc
	global_store_dwordx2 v[6:7], v[12:13], off
	s_waitcnt vmcnt(0)
	global_atomic_cmpswap_x2 v[2:3], v26, v[10:13], s[6:7] offset:32 glc
	s_waitcnt vmcnt(0)
	v_cmp_ne_u64_e32 vcc, v[2:3], v[12:13]
	s_and_saveexec_b64 s[26:27], vcc
	s_cbranch_execz .LBB6_110
; %bb.108:                              ;   in Loop: Header=BB6_43 Depth=1
	s_mov_b64 s[28:29], 0
.LBB6_109:                              ;   Parent Loop BB6_43 Depth=1
                                        ; =>  This Inner Loop Header: Depth=2
	s_sleep 1
	global_store_dwordx2 v[6:7], v[2:3], off
	v_mov_b32_e32 v0, s22
	v_mov_b32_e32 v1, s23
	s_waitcnt vmcnt(0)
	global_atomic_cmpswap_x2 v[0:1], v26, v[0:3], s[6:7] offset:32 glc
	s_waitcnt vmcnt(0)
	v_cmp_eq_u64_e32 vcc, v[0:1], v[2:3]
	v_mov_b32_e32 v3, v1
	s_or_b64 s[28:29], vcc, s[28:29]
	v_mov_b32_e32 v2, v0
	s_andn2_b64 exec, exec, s[28:29]
	s_cbranch_execnz .LBB6_109
.LBB6_110:                              ;   in Loop: Header=BB6_43 Depth=1
	s_or_b64 exec, exec, s[26:27]
	global_load_dwordx2 v[0:1], v26, s[6:7] offset:16
	s_mov_b64 s[28:29], exec
	v_mbcnt_lo_u32_b32 v2, s28, 0
	v_mbcnt_hi_u32_b32 v2, s29, v2
	v_cmp_eq_u32_e32 vcc, 0, v2
	s_and_saveexec_b64 s[26:27], vcc
	s_cbranch_execz .LBB6_112
; %bb.111:                              ;   in Loop: Header=BB6_43 Depth=1
	s_bcnt1_i32_b64 s15, s[28:29]
	v_mov_b32_e32 v25, s15
	s_waitcnt vmcnt(0)
	global_atomic_add_x2 v[0:1], v[25:26], off offset:8
.LBB6_112:                              ;   in Loop: Header=BB6_43 Depth=1
	s_or_b64 exec, exec, s[26:27]
	s_waitcnt vmcnt(0)
	global_load_dwordx2 v[2:3], v[0:1], off offset:16
	s_waitcnt vmcnt(0)
	v_cmp_eq_u64_e32 vcc, 0, v[2:3]
	s_cbranch_vccnz .LBB6_114
; %bb.113:                              ;   in Loop: Header=BB6_43 Depth=1
	global_load_dword v25, v[0:1], off offset:24
	s_waitcnt vmcnt(0)
	v_and_b32_e32 v0, 0xffffff, v25
	v_readfirstlane_b32 m0, v0
	global_store_dwordx2 v[2:3], v[25:26], off
	s_sendmsg sendmsg(MSG_INTERRUPT)
.LBB6_114:                              ;   in Loop: Header=BB6_43 Depth=1
	s_or_b64 exec, exec, s[24:25]
	v_add_co_u32_e32 v0, vcc, v24, v31
	v_addc_co_u32_e32 v1, vcc, 0, v30, vcc
	s_branch .LBB6_118
.LBB6_115:                              ;   in Loop: Header=BB6_118 Depth=2
	s_or_b64 exec, exec, s[24:25]
	v_readfirstlane_b32 s15, v2
	s_cmp_eq_u32 s15, 0
	s_cbranch_scc1 .LBB6_117
; %bb.116:                              ;   in Loop: Header=BB6_118 Depth=2
	s_sleep 1
	s_cbranch_execnz .LBB6_118
	s_branch .LBB6_120
.LBB6_117:                              ;   in Loop: Header=BB6_43 Depth=1
	s_branch .LBB6_120
.LBB6_118:                              ;   Parent Loop BB6_43 Depth=1
                                        ; =>  This Inner Loop Header: Depth=2
	v_mov_b32_e32 v2, 1
	s_and_saveexec_b64 s[24:25], s[4:5]
	s_cbranch_execz .LBB6_115
; %bb.119:                              ;   in Loop: Header=BB6_118 Depth=2
	global_load_dword v2, v[27:28], off offset:20 glc
	s_waitcnt vmcnt(0)
	buffer_wbinvl1_vol
	v_and_b32_e32 v2, 1, v2
	s_branch .LBB6_115
.LBB6_120:                              ;   in Loop: Header=BB6_43 Depth=1
	global_load_dwordx4 v[0:3], v[0:1], off
	s_and_saveexec_b64 s[24:25], s[4:5]
	s_cbranch_execz .LBB6_42
; %bb.121:                              ;   in Loop: Header=BB6_43 Depth=1
	global_load_dwordx2 v[2:3], v26, s[6:7] offset:40
	global_load_dwordx2 v[6:7], v26, s[6:7] offset:24 glc
	global_load_dwordx2 v[13:14], v26, s[6:7]
	v_mov_b32_e32 v11, s23
	s_waitcnt vmcnt(2)
	v_add_co_u32_e32 v12, vcc, 1, v2
	v_addc_co_u32_e32 v15, vcc, 0, v3, vcc
	v_add_co_u32_e32 v10, vcc, s22, v12
	v_addc_co_u32_e32 v11, vcc, v15, v11, vcc
	v_cmp_eq_u64_e32 vcc, 0, v[10:11]
	v_cndmask_b32_e32 v11, v11, v15, vcc
	v_cndmask_b32_e32 v10, v10, v12, vcc
	v_and_b32_e32 v3, v11, v3
	v_and_b32_e32 v2, v10, v2
	v_mul_lo_u32 v3, v3, 24
	v_mul_hi_u32 v15, v2, 24
	v_mul_lo_u32 v2, v2, 24
	s_waitcnt vmcnt(1)
	v_mov_b32_e32 v12, v6
	v_add_u32_e32 v3, v15, v3
	s_waitcnt vmcnt(0)
	v_add_co_u32_e32 v2, vcc, v13, v2
	v_addc_co_u32_e32 v3, vcc, v14, v3, vcc
	global_store_dwordx2 v[2:3], v[6:7], off
	v_mov_b32_e32 v13, v7
	s_waitcnt vmcnt(0)
	global_atomic_cmpswap_x2 v[12:13], v26, v[10:13], s[6:7] offset:24 glc
	s_waitcnt vmcnt(0)
	v_cmp_ne_u64_e32 vcc, v[12:13], v[6:7]
	s_and_b64 exec, exec, vcc
	s_cbranch_execz .LBB6_42
; %bb.122:                              ;   in Loop: Header=BB6_43 Depth=1
	s_mov_b64 s[4:5], 0
.LBB6_123:                              ;   Parent Loop BB6_43 Depth=1
                                        ; =>  This Inner Loop Header: Depth=2
	s_sleep 1
	global_store_dwordx2 v[2:3], v[12:13], off
	s_waitcnt vmcnt(0)
	global_atomic_cmpswap_x2 v[6:7], v26, v[10:13], s[6:7] offset:24 glc
	s_waitcnt vmcnt(0)
	v_cmp_eq_u64_e32 vcc, v[6:7], v[12:13]
	v_mov_b32_e32 v13, v7
	s_or_b64 s[4:5], vcc, s[4:5]
	v_mov_b32_e32 v12, v6
	s_andn2_b64 exec, exec, s[4:5]
	s_cbranch_execnz .LBB6_123
	s_branch .LBB6_42
.LBB6_124:
	s_branch .LBB6_152
.LBB6_125:
                                        ; implicit-def: $vgpr0_vgpr1
	s_cbranch_execz .LBB6_152
; %bb.126:
	v_readfirstlane_b32 s4, v32
	v_mov_b32_e32 v7, 0
	v_mov_b32_e32 v8, 0
	v_cmp_eq_u32_e64 s[4:5], s4, v32
	s_and_saveexec_b64 s[16:17], s[4:5]
	s_cbranch_execz .LBB6_132
; %bb.127:
	s_waitcnt vmcnt(0)
	v_mov_b32_e32 v0, 0
	global_load_dwordx2 v[9:10], v0, s[6:7] offset:24 glc
	s_waitcnt vmcnt(0)
	buffer_wbinvl1_vol
	global_load_dwordx2 v[1:2], v0, s[6:7] offset:40
	global_load_dwordx2 v[6:7], v0, s[6:7]
	s_waitcnt vmcnt(1)
	v_and_b32_e32 v1, v1, v9
	v_and_b32_e32 v2, v2, v10
	v_mul_lo_u32 v2, v2, 24
	v_mul_hi_u32 v3, v1, 24
	v_mul_lo_u32 v1, v1, 24
	v_add_u32_e32 v2, v3, v2
	s_waitcnt vmcnt(0)
	v_add_co_u32_e32 v1, vcc, v6, v1
	v_addc_co_u32_e32 v2, vcc, v7, v2, vcc
	global_load_dwordx2 v[7:8], v[1:2], off glc
	s_waitcnt vmcnt(0)
	global_atomic_cmpswap_x2 v[7:8], v0, v[7:10], s[6:7] offset:24 glc
	s_waitcnt vmcnt(0)
	buffer_wbinvl1_vol
	v_cmp_ne_u64_e32 vcc, v[7:8], v[9:10]
	s_and_saveexec_b64 s[18:19], vcc
	s_cbranch_execz .LBB6_131
; %bb.128:
	s_mov_b64 s[20:21], 0
.LBB6_129:                              ; =>This Inner Loop Header: Depth=1
	s_sleep 1
	global_load_dwordx2 v[1:2], v0, s[6:7] offset:40
	global_load_dwordx2 v[11:12], v0, s[6:7]
	v_mov_b32_e32 v10, v8
	v_mov_b32_e32 v9, v7
	s_waitcnt vmcnt(1)
	v_and_b32_e32 v1, v1, v9
	s_waitcnt vmcnt(0)
	v_mad_u64_u32 v[6:7], s[22:23], v1, 24, v[11:12]
	v_and_b32_e32 v2, v2, v10
	v_mov_b32_e32 v1, v7
	v_mad_u64_u32 v[1:2], s[22:23], v2, 24, v[1:2]
	v_mov_b32_e32 v7, v1
	global_load_dwordx2 v[7:8], v[6:7], off glc
	s_waitcnt vmcnt(0)
	global_atomic_cmpswap_x2 v[7:8], v0, v[7:10], s[6:7] offset:24 glc
	s_waitcnt vmcnt(0)
	buffer_wbinvl1_vol
	v_cmp_eq_u64_e32 vcc, v[7:8], v[9:10]
	s_or_b64 s[20:21], vcc, s[20:21]
	s_andn2_b64 exec, exec, s[20:21]
	s_cbranch_execnz .LBB6_129
; %bb.130:
	s_or_b64 exec, exec, s[20:21]
.LBB6_131:
	s_or_b64 exec, exec, s[18:19]
.LBB6_132:
	s_or_b64 exec, exec, s[16:17]
	v_mov_b32_e32 v6, 0
	global_load_dwordx2 v[9:10], v6, s[6:7] offset:40
	global_load_dwordx4 v[0:3], v6, s[6:7]
	v_readfirstlane_b32 s16, v7
	v_readfirstlane_b32 s17, v8
	s_mov_b64 s[18:19], exec
	s_waitcnt vmcnt(1)
	v_readfirstlane_b32 s20, v9
	v_readfirstlane_b32 s21, v10
	s_and_b64 s[20:21], s[16:17], s[20:21]
	s_mul_i32 s15, s21, 24
	s_mul_hi_u32 s22, s20, 24
	s_mul_i32 s23, s20, 24
	s_add_i32 s15, s22, s15
	v_mov_b32_e32 v7, s15
	s_waitcnt vmcnt(0)
	v_add_co_u32_e32 v8, vcc, s23, v0
	v_addc_co_u32_e32 v9, vcc, v1, v7, vcc
	s_and_saveexec_b64 s[22:23], s[4:5]
	s_cbranch_execz .LBB6_134
; %bb.133:
	v_mov_b32_e32 v10, s18
	v_mov_b32_e32 v11, s19
	;; [unrolled: 1-line block ×4, first 2 shown]
	global_store_dwordx4 v[8:9], v[10:13], off offset:8
.LBB6_134:
	s_or_b64 exec, exec, s[22:23]
	s_lshl_b64 s[18:19], s[20:21], 12
	v_mov_b32_e32 v7, s19
	v_add_co_u32_e32 v2, vcc, s18, v2
	v_addc_co_u32_e32 v3, vcc, v3, v7, vcc
	s_movk_i32 s15, 0xff1f
	v_and_or_b32 v4, v4, s15, 32
	v_add_co_u32_e32 v10, vcc, v2, v31
	s_mov_b32 s20, 0
	v_mov_b32_e32 v7, v6
	v_readfirstlane_b32 s18, v2
	v_readfirstlane_b32 s19, v3
	v_addc_co_u32_e32 v11, vcc, 0, v3, vcc
	s_mov_b32 s21, s20
	s_mov_b32 s22, s20
	;; [unrolled: 1-line block ×3, first 2 shown]
	s_nop 0
	global_store_dwordx4 v31, v[4:7], s[18:19]
	v_mov_b32_e32 v2, s20
	v_mov_b32_e32 v3, s21
	;; [unrolled: 1-line block ×4, first 2 shown]
	global_store_dwordx4 v31, v[2:5], s[18:19] offset:16
	global_store_dwordx4 v31, v[2:5], s[18:19] offset:32
	;; [unrolled: 1-line block ×3, first 2 shown]
	s_and_saveexec_b64 s[18:19], s[4:5]
	s_cbranch_execz .LBB6_142
; %bb.135:
	v_mov_b32_e32 v6, 0
	global_load_dwordx2 v[14:15], v6, s[6:7] offset:32 glc
	global_load_dwordx2 v[2:3], v6, s[6:7] offset:40
	v_mov_b32_e32 v12, s16
	v_mov_b32_e32 v13, s17
	s_waitcnt vmcnt(0)
	v_readfirstlane_b32 s20, v2
	v_readfirstlane_b32 s21, v3
	s_and_b64 s[20:21], s[20:21], s[16:17]
	s_mul_i32 s15, s21, 24
	s_mul_hi_u32 s21, s20, 24
	s_mul_i32 s20, s20, 24
	s_add_i32 s15, s21, s15
	v_mov_b32_e32 v2, s15
	v_add_co_u32_e32 v4, vcc, s20, v0
	v_addc_co_u32_e32 v5, vcc, v1, v2, vcc
	global_store_dwordx2 v[4:5], v[14:15], off
	s_waitcnt vmcnt(0)
	global_atomic_cmpswap_x2 v[2:3], v6, v[12:15], s[6:7] offset:32 glc
	s_waitcnt vmcnt(0)
	v_cmp_ne_u64_e32 vcc, v[2:3], v[14:15]
	s_and_saveexec_b64 s[20:21], vcc
	s_cbranch_execz .LBB6_138
; %bb.136:
	s_mov_b64 s[22:23], 0
.LBB6_137:                              ; =>This Inner Loop Header: Depth=1
	s_sleep 1
	global_store_dwordx2 v[4:5], v[2:3], off
	v_mov_b32_e32 v0, s16
	v_mov_b32_e32 v1, s17
	s_waitcnt vmcnt(0)
	global_atomic_cmpswap_x2 v[0:1], v6, v[0:3], s[6:7] offset:32 glc
	s_waitcnt vmcnt(0)
	v_cmp_eq_u64_e32 vcc, v[0:1], v[2:3]
	v_mov_b32_e32 v3, v1
	s_or_b64 s[22:23], vcc, s[22:23]
	v_mov_b32_e32 v2, v0
	s_andn2_b64 exec, exec, s[22:23]
	s_cbranch_execnz .LBB6_137
.LBB6_138:
	s_or_b64 exec, exec, s[20:21]
	v_mov_b32_e32 v3, 0
	global_load_dwordx2 v[0:1], v3, s[6:7] offset:16
	s_mov_b64 s[20:21], exec
	v_mbcnt_lo_u32_b32 v2, s20, 0
	v_mbcnt_hi_u32_b32 v2, s21, v2
	v_cmp_eq_u32_e32 vcc, 0, v2
	s_and_saveexec_b64 s[22:23], vcc
	s_cbranch_execz .LBB6_140
; %bb.139:
	s_bcnt1_i32_b64 s15, s[20:21]
	v_mov_b32_e32 v2, s15
	s_waitcnt vmcnt(0)
	global_atomic_add_x2 v[0:1], v[2:3], off offset:8
.LBB6_140:
	s_or_b64 exec, exec, s[22:23]
	s_waitcnt vmcnt(0)
	global_load_dwordx2 v[2:3], v[0:1], off offset:16
	s_waitcnt vmcnt(0)
	v_cmp_eq_u64_e32 vcc, 0, v[2:3]
	s_cbranch_vccnz .LBB6_142
; %bb.141:
	global_load_dword v0, v[0:1], off offset:24
	v_mov_b32_e32 v1, 0
	s_waitcnt vmcnt(0)
	global_store_dwordx2 v[2:3], v[0:1], off
	v_and_b32_e32 v0, 0xffffff, v0
	v_readfirstlane_b32 m0, v0
	s_sendmsg sendmsg(MSG_INTERRUPT)
.LBB6_142:
	s_or_b64 exec, exec, s[18:19]
	s_branch .LBB6_146
.LBB6_143:                              ;   in Loop: Header=BB6_146 Depth=1
	s_or_b64 exec, exec, s[18:19]
	v_readfirstlane_b32 s15, v0
	s_cmp_eq_u32 s15, 0
	s_cbranch_scc1 .LBB6_145
; %bb.144:                              ;   in Loop: Header=BB6_146 Depth=1
	s_sleep 1
	s_cbranch_execnz .LBB6_146
	s_branch .LBB6_148
.LBB6_145:
	s_branch .LBB6_148
.LBB6_146:                              ; =>This Inner Loop Header: Depth=1
	v_mov_b32_e32 v0, 1
	s_and_saveexec_b64 s[18:19], s[4:5]
	s_cbranch_execz .LBB6_143
; %bb.147:                              ;   in Loop: Header=BB6_146 Depth=1
	global_load_dword v0, v[8:9], off offset:20 glc
	s_waitcnt vmcnt(0)
	buffer_wbinvl1_vol
	v_and_b32_e32 v0, 1, v0
	s_branch .LBB6_143
.LBB6_148:
	global_load_dwordx2 v[0:1], v[10:11], off
	s_and_saveexec_b64 s[18:19], s[4:5]
	s_cbranch_execz .LBB6_151
; %bb.149:
	v_mov_b32_e32 v8, 0
	global_load_dwordx2 v[4:5], v8, s[6:7] offset:40
	global_load_dwordx2 v[9:10], v8, s[6:7] offset:24 glc
	global_load_dwordx2 v[6:7], v8, s[6:7]
	v_mov_b32_e32 v3, s17
	s_mov_b64 s[4:5], 0
	s_waitcnt vmcnt(2)
	v_add_co_u32_e32 v11, vcc, 1, v4
	v_addc_co_u32_e32 v12, vcc, 0, v5, vcc
	v_add_co_u32_e32 v2, vcc, s16, v11
	v_addc_co_u32_e32 v3, vcc, v12, v3, vcc
	v_cmp_eq_u64_e32 vcc, 0, v[2:3]
	v_cndmask_b32_e32 v3, v3, v12, vcc
	v_cndmask_b32_e32 v2, v2, v11, vcc
	v_and_b32_e32 v5, v3, v5
	v_and_b32_e32 v4, v2, v4
	v_mul_lo_u32 v5, v5, 24
	v_mul_hi_u32 v11, v4, 24
	v_mul_lo_u32 v12, v4, 24
	s_waitcnt vmcnt(1)
	v_mov_b32_e32 v4, v9
	v_add_u32_e32 v5, v11, v5
	s_waitcnt vmcnt(0)
	v_add_co_u32_e32 v6, vcc, v6, v12
	v_addc_co_u32_e32 v7, vcc, v7, v5, vcc
	global_store_dwordx2 v[6:7], v[9:10], off
	v_mov_b32_e32 v5, v10
	s_waitcnt vmcnt(0)
	global_atomic_cmpswap_x2 v[4:5], v8, v[2:5], s[6:7] offset:24 glc
	s_waitcnt vmcnt(0)
	v_cmp_ne_u64_e32 vcc, v[4:5], v[9:10]
	s_and_b64 exec, exec, vcc
	s_cbranch_execz .LBB6_151
.LBB6_150:                              ; =>This Inner Loop Header: Depth=1
	s_sleep 1
	global_store_dwordx2 v[6:7], v[4:5], off
	s_waitcnt vmcnt(0)
	global_atomic_cmpswap_x2 v[9:10], v8, v[2:5], s[6:7] offset:24 glc
	s_waitcnt vmcnt(0)
	v_cmp_eq_u64_e32 vcc, v[9:10], v[4:5]
	v_mov_b32_e32 v4, v9
	s_or_b64 s[4:5], vcc, s[4:5]
	v_mov_b32_e32 v5, v10
	s_andn2_b64 exec, exec, s[4:5]
	s_cbranch_execnz .LBB6_150
.LBB6_151:
	s_or_b64 exec, exec, s[18:19]
.LBB6_152:
	s_getpc_b64 s[16:17]
	s_add_u32 s16, s16, __PRETTY_FUNCTION__._ZL22merge_negative_numbersRN8migraphx4test12test_managerE@rel32@lo+4
	s_addc_u32 s17, s17, __PRETTY_FUNCTION__._ZL22merge_negative_numbersRN8migraphx4test12test_managerE@rel32@hi+12
	s_cmp_lg_u64 s[16:17], 0
	s_cbranch_scc0 .LBB6_237
; %bb.153:
	s_waitcnt vmcnt(0)
	v_and_b32_e32 v6, -3, v0
	v_mov_b32_e32 v7, v1
	s_mov_b64 s[18:19], 60
	v_mov_b32_e32 v26, 0
	v_mov_b32_e32 v4, 2
	;; [unrolled: 1-line block ×3, first 2 shown]
	s_branch .LBB6_155
.LBB6_154:                              ;   in Loop: Header=BB6_155 Depth=1
	s_or_b64 exec, exec, s[24:25]
	s_sub_u32 s18, s18, s20
	s_subb_u32 s19, s19, s21
	s_add_u32 s16, s16, s20
	s_addc_u32 s17, s17, s21
	s_cmp_lg_u64 s[18:19], 0
	s_cbranch_scc0 .LBB6_236
.LBB6_155:                              ; =>This Loop Header: Depth=1
                                        ;     Child Loop BB6_158 Depth 2
                                        ;     Child Loop BB6_165 Depth 2
	;; [unrolled: 1-line block ×11, first 2 shown]
	v_cmp_lt_u64_e64 s[4:5], s[18:19], 56
	v_cmp_gt_u64_e64 s[22:23], s[18:19], 7
	s_and_b64 s[4:5], s[4:5], exec
	s_cselect_b32 s21, s19, 0
	s_cselect_b32 s20, s18, 56
	s_and_b64 vcc, exec, s[22:23]
	s_cbranch_vccnz .LBB6_160
; %bb.156:                              ;   in Loop: Header=BB6_155 Depth=1
	s_waitcnt vmcnt(0)
	v_mov_b32_e32 v8, 0
	s_cmp_eq_u64 s[18:19], 0
	v_mov_b32_e32 v9, 0
	s_mov_b64 s[4:5], 0
	s_cbranch_scc1 .LBB6_159
; %bb.157:                              ;   in Loop: Header=BB6_155 Depth=1
	v_mov_b32_e32 v8, 0
	s_lshl_b64 s[22:23], s[20:21], 3
	s_mov_b64 s[24:25], 0
	v_mov_b32_e32 v9, 0
	s_mov_b64 s[26:27], s[16:17]
.LBB6_158:                              ;   Parent Loop BB6_155 Depth=1
                                        ; =>  This Inner Loop Header: Depth=2
	global_load_ubyte v2, v26, s[26:27]
	s_waitcnt vmcnt(0)
	v_and_b32_e32 v25, 0xffff, v2
	v_lshlrev_b64 v[2:3], s24, v[25:26]
	s_add_u32 s24, s24, 8
	s_addc_u32 s25, s25, 0
	s_add_u32 s26, s26, 1
	s_addc_u32 s27, s27, 0
	v_or_b32_e32 v8, v2, v8
	s_cmp_lg_u32 s22, s24
	v_or_b32_e32 v9, v3, v9
	s_cbranch_scc1 .LBB6_158
.LBB6_159:                              ;   in Loop: Header=BB6_155 Depth=1
	s_mov_b32 s15, 0
	s_andn2_b64 vcc, exec, s[4:5]
	s_mov_b64 s[4:5], s[16:17]
	s_cbranch_vccz .LBB6_161
	s_branch .LBB6_162
.LBB6_160:                              ;   in Loop: Header=BB6_155 Depth=1
                                        ; implicit-def: $sgpr15
	s_mov_b64 s[4:5], s[16:17]
.LBB6_161:                              ;   in Loop: Header=BB6_155 Depth=1
	global_load_dwordx2 v[8:9], v26, s[16:17]
	s_add_i32 s15, s20, -8
	s_add_u32 s4, s16, 8
	s_addc_u32 s5, s17, 0
.LBB6_162:                              ;   in Loop: Header=BB6_155 Depth=1
	s_cmp_gt_u32 s15, 7
	s_cbranch_scc1 .LBB6_166
; %bb.163:                              ;   in Loop: Header=BB6_155 Depth=1
	s_cmp_eq_u32 s15, 0
	s_cbranch_scc1 .LBB6_167
; %bb.164:                              ;   in Loop: Header=BB6_155 Depth=1
	v_mov_b32_e32 v10, 0
	s_mov_b64 s[22:23], 0
	v_mov_b32_e32 v11, 0
	s_mov_b64 s[24:25], 0
.LBB6_165:                              ;   Parent Loop BB6_155 Depth=1
                                        ; =>  This Inner Loop Header: Depth=2
	s_add_u32 s26, s4, s24
	s_addc_u32 s27, s5, s25
	global_load_ubyte v2, v26, s[26:27]
	s_add_u32 s24, s24, 1
	s_addc_u32 s25, s25, 0
	s_waitcnt vmcnt(0)
	v_and_b32_e32 v25, 0xffff, v2
	v_lshlrev_b64 v[2:3], s22, v[25:26]
	s_add_u32 s22, s22, 8
	s_addc_u32 s23, s23, 0
	v_or_b32_e32 v10, v2, v10
	s_cmp_lg_u32 s15, s24
	v_or_b32_e32 v11, v3, v11
	s_cbranch_scc1 .LBB6_165
	s_branch .LBB6_168
.LBB6_166:                              ;   in Loop: Header=BB6_155 Depth=1
                                        ; implicit-def: $vgpr10_vgpr11
                                        ; implicit-def: $sgpr26
	s_branch .LBB6_169
.LBB6_167:                              ;   in Loop: Header=BB6_155 Depth=1
	v_mov_b32_e32 v10, 0
	v_mov_b32_e32 v11, 0
.LBB6_168:                              ;   in Loop: Header=BB6_155 Depth=1
	s_mov_b32 s26, 0
	s_cbranch_execnz .LBB6_170
.LBB6_169:                              ;   in Loop: Header=BB6_155 Depth=1
	global_load_dwordx2 v[10:11], v26, s[4:5]
	s_add_i32 s26, s15, -8
	s_add_u32 s4, s4, 8
	s_addc_u32 s5, s5, 0
.LBB6_170:                              ;   in Loop: Header=BB6_155 Depth=1
	s_cmp_gt_u32 s26, 7
	s_cbranch_scc1 .LBB6_174
; %bb.171:                              ;   in Loop: Header=BB6_155 Depth=1
	s_cmp_eq_u32 s26, 0
	s_cbranch_scc1 .LBB6_175
; %bb.172:                              ;   in Loop: Header=BB6_155 Depth=1
	v_mov_b32_e32 v12, 0
	s_mov_b64 s[22:23], 0
	v_mov_b32_e32 v13, 0
	s_mov_b64 s[24:25], 0
.LBB6_173:                              ;   Parent Loop BB6_155 Depth=1
                                        ; =>  This Inner Loop Header: Depth=2
	s_add_u32 s28, s4, s24
	s_addc_u32 s29, s5, s25
	global_load_ubyte v2, v26, s[28:29]
	s_add_u32 s24, s24, 1
	s_addc_u32 s25, s25, 0
	s_waitcnt vmcnt(0)
	v_and_b32_e32 v25, 0xffff, v2
	v_lshlrev_b64 v[2:3], s22, v[25:26]
	s_add_u32 s22, s22, 8
	s_addc_u32 s23, s23, 0
	v_or_b32_e32 v12, v2, v12
	s_cmp_lg_u32 s26, s24
	v_or_b32_e32 v13, v3, v13
	s_cbranch_scc1 .LBB6_173
	s_branch .LBB6_176
.LBB6_174:                              ;   in Loop: Header=BB6_155 Depth=1
                                        ; implicit-def: $sgpr15
	s_branch .LBB6_177
.LBB6_175:                              ;   in Loop: Header=BB6_155 Depth=1
	v_mov_b32_e32 v12, 0
	v_mov_b32_e32 v13, 0
.LBB6_176:                              ;   in Loop: Header=BB6_155 Depth=1
	s_mov_b32 s15, 0
	s_cbranch_execnz .LBB6_178
.LBB6_177:                              ;   in Loop: Header=BB6_155 Depth=1
	global_load_dwordx2 v[12:13], v26, s[4:5]
	s_add_i32 s15, s26, -8
	s_add_u32 s4, s4, 8
	s_addc_u32 s5, s5, 0
.LBB6_178:                              ;   in Loop: Header=BB6_155 Depth=1
	s_cmp_gt_u32 s15, 7
	s_cbranch_scc1 .LBB6_182
; %bb.179:                              ;   in Loop: Header=BB6_155 Depth=1
	s_cmp_eq_u32 s15, 0
	s_cbranch_scc1 .LBB6_183
; %bb.180:                              ;   in Loop: Header=BB6_155 Depth=1
	v_mov_b32_e32 v14, 0
	s_mov_b64 s[22:23], 0
	v_mov_b32_e32 v15, 0
	s_mov_b64 s[24:25], 0
.LBB6_181:                              ;   Parent Loop BB6_155 Depth=1
                                        ; =>  This Inner Loop Header: Depth=2
	s_add_u32 s26, s4, s24
	s_addc_u32 s27, s5, s25
	global_load_ubyte v2, v26, s[26:27]
	s_add_u32 s24, s24, 1
	s_addc_u32 s25, s25, 0
	s_waitcnt vmcnt(0)
	v_and_b32_e32 v25, 0xffff, v2
	v_lshlrev_b64 v[2:3], s22, v[25:26]
	s_add_u32 s22, s22, 8
	s_addc_u32 s23, s23, 0
	v_or_b32_e32 v14, v2, v14
	s_cmp_lg_u32 s15, s24
	v_or_b32_e32 v15, v3, v15
	s_cbranch_scc1 .LBB6_181
	s_branch .LBB6_184
.LBB6_182:                              ;   in Loop: Header=BB6_155 Depth=1
                                        ; implicit-def: $vgpr14_vgpr15
                                        ; implicit-def: $sgpr26
	s_branch .LBB6_185
.LBB6_183:                              ;   in Loop: Header=BB6_155 Depth=1
	v_mov_b32_e32 v14, 0
	v_mov_b32_e32 v15, 0
.LBB6_184:                              ;   in Loop: Header=BB6_155 Depth=1
	s_mov_b32 s26, 0
	s_cbranch_execnz .LBB6_186
.LBB6_185:                              ;   in Loop: Header=BB6_155 Depth=1
	global_load_dwordx2 v[14:15], v26, s[4:5]
	s_add_i32 s26, s15, -8
	s_add_u32 s4, s4, 8
	s_addc_u32 s5, s5, 0
.LBB6_186:                              ;   in Loop: Header=BB6_155 Depth=1
	s_cmp_gt_u32 s26, 7
	s_cbranch_scc1 .LBB6_190
; %bb.187:                              ;   in Loop: Header=BB6_155 Depth=1
	s_cmp_eq_u32 s26, 0
	s_cbranch_scc1 .LBB6_191
; %bb.188:                              ;   in Loop: Header=BB6_155 Depth=1
	v_mov_b32_e32 v16, 0
	s_mov_b64 s[22:23], 0
	v_mov_b32_e32 v17, 0
	s_mov_b64 s[24:25], 0
.LBB6_189:                              ;   Parent Loop BB6_155 Depth=1
                                        ; =>  This Inner Loop Header: Depth=2
	s_add_u32 s28, s4, s24
	s_addc_u32 s29, s5, s25
	global_load_ubyte v2, v26, s[28:29]
	s_add_u32 s24, s24, 1
	s_addc_u32 s25, s25, 0
	s_waitcnt vmcnt(0)
	v_and_b32_e32 v25, 0xffff, v2
	v_lshlrev_b64 v[2:3], s22, v[25:26]
	s_add_u32 s22, s22, 8
	s_addc_u32 s23, s23, 0
	v_or_b32_e32 v16, v2, v16
	s_cmp_lg_u32 s26, s24
	v_or_b32_e32 v17, v3, v17
	s_cbranch_scc1 .LBB6_189
	s_branch .LBB6_192
.LBB6_190:                              ;   in Loop: Header=BB6_155 Depth=1
                                        ; implicit-def: $sgpr15
	s_branch .LBB6_193
.LBB6_191:                              ;   in Loop: Header=BB6_155 Depth=1
	v_mov_b32_e32 v16, 0
	v_mov_b32_e32 v17, 0
.LBB6_192:                              ;   in Loop: Header=BB6_155 Depth=1
	s_mov_b32 s15, 0
	s_cbranch_execnz .LBB6_194
.LBB6_193:                              ;   in Loop: Header=BB6_155 Depth=1
	global_load_dwordx2 v[16:17], v26, s[4:5]
	s_add_i32 s15, s26, -8
	s_add_u32 s4, s4, 8
	s_addc_u32 s5, s5, 0
.LBB6_194:                              ;   in Loop: Header=BB6_155 Depth=1
	s_cmp_gt_u32 s15, 7
	s_cbranch_scc1 .LBB6_198
; %bb.195:                              ;   in Loop: Header=BB6_155 Depth=1
	s_cmp_eq_u32 s15, 0
	s_cbranch_scc1 .LBB6_199
; %bb.196:                              ;   in Loop: Header=BB6_155 Depth=1
	v_mov_b32_e32 v18, 0
	s_mov_b64 s[22:23], 0
	v_mov_b32_e32 v19, 0
	s_mov_b64 s[24:25], 0
.LBB6_197:                              ;   Parent Loop BB6_155 Depth=1
                                        ; =>  This Inner Loop Header: Depth=2
	s_add_u32 s26, s4, s24
	s_addc_u32 s27, s5, s25
	global_load_ubyte v2, v26, s[26:27]
	s_add_u32 s24, s24, 1
	s_addc_u32 s25, s25, 0
	s_waitcnt vmcnt(0)
	v_and_b32_e32 v25, 0xffff, v2
	v_lshlrev_b64 v[2:3], s22, v[25:26]
	s_add_u32 s22, s22, 8
	s_addc_u32 s23, s23, 0
	v_or_b32_e32 v18, v2, v18
	s_cmp_lg_u32 s15, s24
	v_or_b32_e32 v19, v3, v19
	s_cbranch_scc1 .LBB6_197
	s_branch .LBB6_200
.LBB6_198:                              ;   in Loop: Header=BB6_155 Depth=1
                                        ; implicit-def: $vgpr18_vgpr19
                                        ; implicit-def: $sgpr26
	s_branch .LBB6_201
.LBB6_199:                              ;   in Loop: Header=BB6_155 Depth=1
	v_mov_b32_e32 v18, 0
	v_mov_b32_e32 v19, 0
.LBB6_200:                              ;   in Loop: Header=BB6_155 Depth=1
	s_mov_b32 s26, 0
	s_cbranch_execnz .LBB6_202
.LBB6_201:                              ;   in Loop: Header=BB6_155 Depth=1
	global_load_dwordx2 v[18:19], v26, s[4:5]
	s_add_i32 s26, s15, -8
	s_add_u32 s4, s4, 8
	s_addc_u32 s5, s5, 0
.LBB6_202:                              ;   in Loop: Header=BB6_155 Depth=1
	s_cmp_gt_u32 s26, 7
	s_cbranch_scc1 .LBB6_206
; %bb.203:                              ;   in Loop: Header=BB6_155 Depth=1
	s_cmp_eq_u32 s26, 0
	s_cbranch_scc1 .LBB6_207
; %bb.204:                              ;   in Loop: Header=BB6_155 Depth=1
	v_mov_b32_e32 v20, 0
	s_mov_b64 s[22:23], 0
	v_mov_b32_e32 v21, 0
	s_mov_b64 s[24:25], s[4:5]
.LBB6_205:                              ;   Parent Loop BB6_155 Depth=1
                                        ; =>  This Inner Loop Header: Depth=2
	global_load_ubyte v2, v26, s[24:25]
	s_add_i32 s26, s26, -1
	s_waitcnt vmcnt(0)
	v_and_b32_e32 v25, 0xffff, v2
	v_lshlrev_b64 v[2:3], s22, v[25:26]
	s_add_u32 s22, s22, 8
	s_addc_u32 s23, s23, 0
	s_add_u32 s24, s24, 1
	s_addc_u32 s25, s25, 0
	v_or_b32_e32 v20, v2, v20
	s_cmp_lg_u32 s26, 0
	v_or_b32_e32 v21, v3, v21
	s_cbranch_scc1 .LBB6_205
	s_branch .LBB6_208
.LBB6_206:                              ;   in Loop: Header=BB6_155 Depth=1
	s_branch .LBB6_209
.LBB6_207:                              ;   in Loop: Header=BB6_155 Depth=1
	v_mov_b32_e32 v20, 0
	v_mov_b32_e32 v21, 0
.LBB6_208:                              ;   in Loop: Header=BB6_155 Depth=1
	s_cbranch_execnz .LBB6_210
.LBB6_209:                              ;   in Loop: Header=BB6_155 Depth=1
	global_load_dwordx2 v[20:21], v26, s[4:5]
.LBB6_210:                              ;   in Loop: Header=BB6_155 Depth=1
	v_readfirstlane_b32 s4, v32
	v_mov_b32_e32 v2, 0
	v_mov_b32_e32 v3, 0
	v_cmp_eq_u32_e64 s[4:5], s4, v32
	s_and_saveexec_b64 s[22:23], s[4:5]
	s_cbranch_execz .LBB6_216
; %bb.211:                              ;   in Loop: Header=BB6_155 Depth=1
	global_load_dwordx2 v[24:25], v26, s[6:7] offset:24 glc
	s_waitcnt vmcnt(0)
	buffer_wbinvl1_vol
	global_load_dwordx2 v[2:3], v26, s[6:7] offset:40
	global_load_dwordx2 v[22:23], v26, s[6:7]
	s_waitcnt vmcnt(1)
	v_and_b32_e32 v2, v2, v24
	v_and_b32_e32 v3, v3, v25
	v_mul_lo_u32 v3, v3, 24
	v_mul_hi_u32 v27, v2, 24
	v_mul_lo_u32 v2, v2, 24
	v_add_u32_e32 v3, v27, v3
	s_waitcnt vmcnt(0)
	v_add_co_u32_e32 v2, vcc, v22, v2
	v_addc_co_u32_e32 v3, vcc, v23, v3, vcc
	global_load_dwordx2 v[22:23], v[2:3], off glc
	s_waitcnt vmcnt(0)
	global_atomic_cmpswap_x2 v[2:3], v26, v[22:25], s[6:7] offset:24 glc
	s_waitcnt vmcnt(0)
	buffer_wbinvl1_vol
	v_cmp_ne_u64_e32 vcc, v[2:3], v[24:25]
	s_and_saveexec_b64 s[24:25], vcc
	s_cbranch_execz .LBB6_215
; %bb.212:                              ;   in Loop: Header=BB6_155 Depth=1
	s_mov_b64 s[26:27], 0
.LBB6_213:                              ;   Parent Loop BB6_155 Depth=1
                                        ; =>  This Inner Loop Header: Depth=2
	s_sleep 1
	global_load_dwordx2 v[22:23], v26, s[6:7] offset:40
	global_load_dwordx2 v[27:28], v26, s[6:7]
	v_mov_b32_e32 v25, v3
	v_mov_b32_e32 v24, v2
	s_waitcnt vmcnt(1)
	v_and_b32_e32 v2, v22, v24
	s_waitcnt vmcnt(0)
	v_mad_u64_u32 v[2:3], s[28:29], v2, 24, v[27:28]
	v_and_b32_e32 v22, v23, v25
	v_mad_u64_u32 v[22:23], s[28:29], v22, 24, v[3:4]
	v_mov_b32_e32 v3, v22
	global_load_dwordx2 v[22:23], v[2:3], off glc
	s_waitcnt vmcnt(0)
	global_atomic_cmpswap_x2 v[2:3], v26, v[22:25], s[6:7] offset:24 glc
	s_waitcnt vmcnt(0)
	buffer_wbinvl1_vol
	v_cmp_eq_u64_e32 vcc, v[2:3], v[24:25]
	s_or_b64 s[26:27], vcc, s[26:27]
	s_andn2_b64 exec, exec, s[26:27]
	s_cbranch_execnz .LBB6_213
; %bb.214:                              ;   in Loop: Header=BB6_155 Depth=1
	s_or_b64 exec, exec, s[26:27]
.LBB6_215:                              ;   in Loop: Header=BB6_155 Depth=1
	s_or_b64 exec, exec, s[24:25]
.LBB6_216:                              ;   in Loop: Header=BB6_155 Depth=1
	s_or_b64 exec, exec, s[22:23]
	global_load_dwordx2 v[27:28], v26, s[6:7] offset:40
	global_load_dwordx4 v[22:25], v26, s[6:7]
	v_readfirstlane_b32 s22, v2
	v_readfirstlane_b32 s23, v3
	s_mov_b64 s[24:25], exec
	s_waitcnt vmcnt(1)
	v_readfirstlane_b32 s26, v27
	v_readfirstlane_b32 s27, v28
	s_and_b64 s[26:27], s[22:23], s[26:27]
	s_mul_i32 s15, s27, 24
	s_mul_hi_u32 s28, s26, 24
	s_mul_i32 s29, s26, 24
	s_add_i32 s15, s28, s15
	v_mov_b32_e32 v2, s15
	s_waitcnt vmcnt(0)
	v_add_co_u32_e32 v27, vcc, s29, v22
	v_addc_co_u32_e32 v28, vcc, v23, v2, vcc
	s_and_saveexec_b64 s[28:29], s[4:5]
	s_cbranch_execz .LBB6_218
; %bb.217:                              ;   in Loop: Header=BB6_155 Depth=1
	v_mov_b32_e32 v2, s24
	v_mov_b32_e32 v3, s25
	global_store_dwordx4 v[27:28], v[2:5], off offset:8
.LBB6_218:                              ;   in Loop: Header=BB6_155 Depth=1
	s_or_b64 exec, exec, s[28:29]
	s_lshl_b64 s[24:25], s[26:27], 12
	v_mov_b32_e32 v2, s25
	v_add_co_u32_e32 v24, vcc, s24, v24
	v_addc_co_u32_e32 v29, vcc, v25, v2, vcc
	v_cmp_gt_u64_e64 vcc, s[18:19], 56
	v_or_b32_e32 v2, 2, v6
	s_lshl_b32 s15, s20, 2
	v_cndmask_b32_e32 v2, v2, v6, vcc
	s_add_i32 s15, s15, 28
	s_and_b32 s15, s15, 0x1e0
	v_and_b32_e32 v2, 0xffffff1f, v2
	v_or_b32_e32 v6, s15, v2
	v_readfirstlane_b32 s24, v24
	v_readfirstlane_b32 s25, v29
	s_nop 4
	global_store_dwordx4 v31, v[6:9], s[24:25]
	global_store_dwordx4 v31, v[10:13], s[24:25] offset:16
	global_store_dwordx4 v31, v[14:17], s[24:25] offset:32
	;; [unrolled: 1-line block ×3, first 2 shown]
	s_and_saveexec_b64 s[24:25], s[4:5]
	s_cbranch_execz .LBB6_226
; %bb.219:                              ;   in Loop: Header=BB6_155 Depth=1
	global_load_dwordx2 v[10:11], v26, s[6:7] offset:32 glc
	global_load_dwordx2 v[2:3], v26, s[6:7] offset:40
	v_mov_b32_e32 v8, s22
	v_mov_b32_e32 v9, s23
	s_waitcnt vmcnt(0)
	v_readfirstlane_b32 s26, v2
	v_readfirstlane_b32 s27, v3
	s_and_b64 s[26:27], s[26:27], s[22:23]
	s_mul_i32 s15, s27, 24
	s_mul_hi_u32 s27, s26, 24
	s_mul_i32 s26, s26, 24
	s_add_i32 s15, s27, s15
	v_mov_b32_e32 v3, s15
	v_add_co_u32_e32 v2, vcc, s26, v22
	v_addc_co_u32_e32 v3, vcc, v23, v3, vcc
	global_store_dwordx2 v[2:3], v[10:11], off
	s_waitcnt vmcnt(0)
	global_atomic_cmpswap_x2 v[8:9], v26, v[8:11], s[6:7] offset:32 glc
	s_waitcnt vmcnt(0)
	v_cmp_ne_u64_e32 vcc, v[8:9], v[10:11]
	s_and_saveexec_b64 s[26:27], vcc
	s_cbranch_execz .LBB6_222
; %bb.220:                              ;   in Loop: Header=BB6_155 Depth=1
	s_mov_b64 s[28:29], 0
.LBB6_221:                              ;   Parent Loop BB6_155 Depth=1
                                        ; =>  This Inner Loop Header: Depth=2
	s_sleep 1
	global_store_dwordx2 v[2:3], v[8:9], off
	v_mov_b32_e32 v6, s22
	v_mov_b32_e32 v7, s23
	s_waitcnt vmcnt(0)
	global_atomic_cmpswap_x2 v[6:7], v26, v[6:9], s[6:7] offset:32 glc
	s_waitcnt vmcnt(0)
	v_cmp_eq_u64_e32 vcc, v[6:7], v[8:9]
	v_mov_b32_e32 v9, v7
	s_or_b64 s[28:29], vcc, s[28:29]
	v_mov_b32_e32 v8, v6
	s_andn2_b64 exec, exec, s[28:29]
	s_cbranch_execnz .LBB6_221
.LBB6_222:                              ;   in Loop: Header=BB6_155 Depth=1
	s_or_b64 exec, exec, s[26:27]
	global_load_dwordx2 v[2:3], v26, s[6:7] offset:16
	s_mov_b64 s[28:29], exec
	v_mbcnt_lo_u32_b32 v6, s28, 0
	v_mbcnt_hi_u32_b32 v6, s29, v6
	v_cmp_eq_u32_e32 vcc, 0, v6
	s_and_saveexec_b64 s[26:27], vcc
	s_cbranch_execz .LBB6_224
; %bb.223:                              ;   in Loop: Header=BB6_155 Depth=1
	s_bcnt1_i32_b64 s15, s[28:29]
	v_mov_b32_e32 v25, s15
	s_waitcnt vmcnt(0)
	global_atomic_add_x2 v[2:3], v[25:26], off offset:8
.LBB6_224:                              ;   in Loop: Header=BB6_155 Depth=1
	s_or_b64 exec, exec, s[26:27]
	s_waitcnt vmcnt(0)
	global_load_dwordx2 v[6:7], v[2:3], off offset:16
	s_waitcnt vmcnt(0)
	v_cmp_eq_u64_e32 vcc, 0, v[6:7]
	s_cbranch_vccnz .LBB6_226
; %bb.225:                              ;   in Loop: Header=BB6_155 Depth=1
	global_load_dword v25, v[2:3], off offset:24
	s_waitcnt vmcnt(0)
	v_and_b32_e32 v2, 0xffffff, v25
	v_readfirstlane_b32 m0, v2
	global_store_dwordx2 v[6:7], v[25:26], off
	s_sendmsg sendmsg(MSG_INTERRUPT)
.LBB6_226:                              ;   in Loop: Header=BB6_155 Depth=1
	s_or_b64 exec, exec, s[24:25]
	v_add_co_u32_e32 v2, vcc, v24, v31
	v_addc_co_u32_e32 v3, vcc, 0, v29, vcc
	s_branch .LBB6_230
.LBB6_227:                              ;   in Loop: Header=BB6_230 Depth=2
	s_or_b64 exec, exec, s[24:25]
	v_readfirstlane_b32 s15, v6
	s_cmp_eq_u32 s15, 0
	s_cbranch_scc1 .LBB6_229
; %bb.228:                              ;   in Loop: Header=BB6_230 Depth=2
	s_sleep 1
	s_cbranch_execnz .LBB6_230
	s_branch .LBB6_232
.LBB6_229:                              ;   in Loop: Header=BB6_155 Depth=1
	s_branch .LBB6_232
.LBB6_230:                              ;   Parent Loop BB6_155 Depth=1
                                        ; =>  This Inner Loop Header: Depth=2
	v_mov_b32_e32 v6, 1
	s_and_saveexec_b64 s[24:25], s[4:5]
	s_cbranch_execz .LBB6_227
; %bb.231:                              ;   in Loop: Header=BB6_230 Depth=2
	global_load_dword v6, v[27:28], off offset:20 glc
	s_waitcnt vmcnt(0)
	buffer_wbinvl1_vol
	v_and_b32_e32 v6, 1, v6
	s_branch .LBB6_227
.LBB6_232:                              ;   in Loop: Header=BB6_155 Depth=1
	global_load_dwordx4 v[6:9], v[2:3], off
	s_and_saveexec_b64 s[24:25], s[4:5]
	s_cbranch_execz .LBB6_154
; %bb.233:                              ;   in Loop: Header=BB6_155 Depth=1
	global_load_dwordx2 v[2:3], v26, s[6:7] offset:40
	global_load_dwordx2 v[12:13], v26, s[6:7] offset:24 glc
	global_load_dwordx2 v[14:15], v26, s[6:7]
	s_waitcnt vmcnt(3)
	v_mov_b32_e32 v9, s23
	s_waitcnt vmcnt(2)
	v_add_co_u32_e32 v10, vcc, 1, v2
	v_addc_co_u32_e32 v11, vcc, 0, v3, vcc
	v_add_co_u32_e32 v8, vcc, s22, v10
	v_addc_co_u32_e32 v9, vcc, v11, v9, vcc
	v_cmp_eq_u64_e32 vcc, 0, v[8:9]
	v_cndmask_b32_e32 v9, v9, v11, vcc
	v_cndmask_b32_e32 v8, v8, v10, vcc
	v_and_b32_e32 v3, v9, v3
	v_and_b32_e32 v2, v8, v2
	v_mul_lo_u32 v3, v3, 24
	v_mul_hi_u32 v11, v2, 24
	v_mul_lo_u32 v2, v2, 24
	s_waitcnt vmcnt(1)
	v_mov_b32_e32 v10, v12
	v_add_u32_e32 v3, v11, v3
	s_waitcnt vmcnt(0)
	v_add_co_u32_e32 v2, vcc, v14, v2
	v_addc_co_u32_e32 v3, vcc, v15, v3, vcc
	global_store_dwordx2 v[2:3], v[12:13], off
	v_mov_b32_e32 v11, v13
	s_waitcnt vmcnt(0)
	global_atomic_cmpswap_x2 v[10:11], v26, v[8:11], s[6:7] offset:24 glc
	s_waitcnt vmcnt(0)
	v_cmp_ne_u64_e32 vcc, v[10:11], v[12:13]
	s_and_b64 exec, exec, vcc
	s_cbranch_execz .LBB6_154
; %bb.234:                              ;   in Loop: Header=BB6_155 Depth=1
	s_mov_b64 s[4:5], 0
.LBB6_235:                              ;   Parent Loop BB6_155 Depth=1
                                        ; =>  This Inner Loop Header: Depth=2
	s_sleep 1
	global_store_dwordx2 v[2:3], v[10:11], off
	s_waitcnt vmcnt(0)
	global_atomic_cmpswap_x2 v[12:13], v26, v[8:11], s[6:7] offset:24 glc
	s_waitcnt vmcnt(0)
	v_cmp_eq_u64_e32 vcc, v[12:13], v[10:11]
	v_mov_b32_e32 v10, v12
	s_or_b64 s[4:5], vcc, s[4:5]
	v_mov_b32_e32 v11, v13
	s_andn2_b64 exec, exec, s[4:5]
	s_cbranch_execnz .LBB6_235
	s_branch .LBB6_154
.LBB6_236:
	s_branch .LBB6_264
.LBB6_237:
	s_cbranch_execz .LBB6_264
; %bb.238:
	v_readfirstlane_b32 s4, v32
	s_waitcnt vmcnt(0)
	v_mov_b32_e32 v8, 0
	v_mov_b32_e32 v9, 0
	v_cmp_eq_u32_e64 s[4:5], s4, v32
	s_and_saveexec_b64 s[16:17], s[4:5]
	s_cbranch_execz .LBB6_244
; %bb.239:
	v_mov_b32_e32 v2, 0
	global_load_dwordx2 v[5:6], v2, s[6:7] offset:24 glc
	s_waitcnt vmcnt(0)
	buffer_wbinvl1_vol
	global_load_dwordx2 v[3:4], v2, s[6:7] offset:40
	global_load_dwordx2 v[7:8], v2, s[6:7]
	s_waitcnt vmcnt(1)
	v_and_b32_e32 v3, v3, v5
	v_and_b32_e32 v4, v4, v6
	v_mul_lo_u32 v4, v4, 24
	v_mul_hi_u32 v9, v3, 24
	v_mul_lo_u32 v3, v3, 24
	v_add_u32_e32 v4, v9, v4
	s_waitcnt vmcnt(0)
	v_add_co_u32_e32 v3, vcc, v7, v3
	v_addc_co_u32_e32 v4, vcc, v8, v4, vcc
	global_load_dwordx2 v[3:4], v[3:4], off glc
	s_waitcnt vmcnt(0)
	global_atomic_cmpswap_x2 v[8:9], v2, v[3:6], s[6:7] offset:24 glc
	s_waitcnt vmcnt(0)
	buffer_wbinvl1_vol
	v_cmp_ne_u64_e32 vcc, v[8:9], v[5:6]
	s_and_saveexec_b64 s[18:19], vcc
	s_cbranch_execz .LBB6_243
; %bb.240:
	s_mov_b64 s[20:21], 0
.LBB6_241:                              ; =>This Inner Loop Header: Depth=1
	s_sleep 1
	global_load_dwordx2 v[3:4], v2, s[6:7] offset:40
	global_load_dwordx2 v[10:11], v2, s[6:7]
	v_mov_b32_e32 v5, v8
	v_mov_b32_e32 v6, v9
	s_waitcnt vmcnt(1)
	v_and_b32_e32 v3, v3, v5
	s_waitcnt vmcnt(0)
	v_mad_u64_u32 v[7:8], s[22:23], v3, 24, v[10:11]
	v_and_b32_e32 v4, v4, v6
	v_mov_b32_e32 v3, v8
	v_mad_u64_u32 v[3:4], s[22:23], v4, 24, v[3:4]
	v_mov_b32_e32 v8, v3
	global_load_dwordx2 v[3:4], v[7:8], off glc
	s_waitcnt vmcnt(0)
	global_atomic_cmpswap_x2 v[8:9], v2, v[3:6], s[6:7] offset:24 glc
	s_waitcnt vmcnt(0)
	buffer_wbinvl1_vol
	v_cmp_eq_u64_e32 vcc, v[8:9], v[5:6]
	s_or_b64 s[20:21], vcc, s[20:21]
	s_andn2_b64 exec, exec, s[20:21]
	s_cbranch_execnz .LBB6_241
; %bb.242:
	s_or_b64 exec, exec, s[20:21]
.LBB6_243:
	s_or_b64 exec, exec, s[18:19]
.LBB6_244:
	s_or_b64 exec, exec, s[16:17]
	v_mov_b32_e32 v2, 0
	global_load_dwordx2 v[10:11], v2, s[6:7] offset:40
	global_load_dwordx4 v[4:7], v2, s[6:7]
	v_readfirstlane_b32 s16, v8
	v_readfirstlane_b32 s17, v9
	s_mov_b64 s[18:19], exec
	s_waitcnt vmcnt(1)
	v_readfirstlane_b32 s20, v10
	v_readfirstlane_b32 s21, v11
	s_and_b64 s[20:21], s[16:17], s[20:21]
	s_mul_i32 s15, s21, 24
	s_mul_hi_u32 s22, s20, 24
	s_mul_i32 s23, s20, 24
	s_add_i32 s15, s22, s15
	v_mov_b32_e32 v3, s15
	s_waitcnt vmcnt(0)
	v_add_co_u32_e32 v8, vcc, s23, v4
	v_addc_co_u32_e32 v9, vcc, v5, v3, vcc
	s_and_saveexec_b64 s[22:23], s[4:5]
	s_cbranch_execz .LBB6_246
; %bb.245:
	v_mov_b32_e32 v10, s18
	v_mov_b32_e32 v11, s19
	;; [unrolled: 1-line block ×4, first 2 shown]
	global_store_dwordx4 v[8:9], v[10:13], off offset:8
.LBB6_246:
	s_or_b64 exec, exec, s[22:23]
	s_lshl_b64 s[18:19], s[20:21], 12
	v_mov_b32_e32 v3, s19
	v_add_co_u32_e32 v6, vcc, s18, v6
	v_addc_co_u32_e32 v7, vcc, v7, v3, vcc
	s_movk_i32 s15, 0xff1d
	v_and_or_b32 v0, v0, s15, 34
	s_mov_b32 s20, 0
	v_mov_b32_e32 v3, v2
	v_readfirstlane_b32 s18, v6
	v_readfirstlane_b32 s19, v7
	s_mov_b32 s21, s20
	s_mov_b32 s22, s20
	;; [unrolled: 1-line block ×3, first 2 shown]
	s_nop 1
	global_store_dwordx4 v31, v[0:3], s[18:19]
	s_nop 0
	v_mov_b32_e32 v0, s20
	v_mov_b32_e32 v1, s21
	;; [unrolled: 1-line block ×4, first 2 shown]
	global_store_dwordx4 v31, v[0:3], s[18:19] offset:16
	global_store_dwordx4 v31, v[0:3], s[18:19] offset:32
	;; [unrolled: 1-line block ×3, first 2 shown]
	s_and_saveexec_b64 s[18:19], s[4:5]
	s_cbranch_execz .LBB6_254
; %bb.247:
	v_mov_b32_e32 v6, 0
	global_load_dwordx2 v[12:13], v6, s[6:7] offset:32 glc
	global_load_dwordx2 v[0:1], v6, s[6:7] offset:40
	v_mov_b32_e32 v10, s16
	v_mov_b32_e32 v11, s17
	s_waitcnt vmcnt(0)
	v_readfirstlane_b32 s20, v0
	v_readfirstlane_b32 s21, v1
	s_and_b64 s[20:21], s[20:21], s[16:17]
	s_mul_i32 s15, s21, 24
	s_mul_hi_u32 s21, s20, 24
	s_mul_i32 s20, s20, 24
	s_add_i32 s15, s21, s15
	v_mov_b32_e32 v0, s15
	v_add_co_u32_e32 v4, vcc, s20, v4
	v_addc_co_u32_e32 v5, vcc, v5, v0, vcc
	global_store_dwordx2 v[4:5], v[12:13], off
	s_waitcnt vmcnt(0)
	global_atomic_cmpswap_x2 v[2:3], v6, v[10:13], s[6:7] offset:32 glc
	s_waitcnt vmcnt(0)
	v_cmp_ne_u64_e32 vcc, v[2:3], v[12:13]
	s_and_saveexec_b64 s[20:21], vcc
	s_cbranch_execz .LBB6_250
; %bb.248:
	s_mov_b64 s[22:23], 0
.LBB6_249:                              ; =>This Inner Loop Header: Depth=1
	s_sleep 1
	global_store_dwordx2 v[4:5], v[2:3], off
	v_mov_b32_e32 v0, s16
	v_mov_b32_e32 v1, s17
	s_waitcnt vmcnt(0)
	global_atomic_cmpswap_x2 v[0:1], v6, v[0:3], s[6:7] offset:32 glc
	s_waitcnt vmcnt(0)
	v_cmp_eq_u64_e32 vcc, v[0:1], v[2:3]
	v_mov_b32_e32 v3, v1
	s_or_b64 s[22:23], vcc, s[22:23]
	v_mov_b32_e32 v2, v0
	s_andn2_b64 exec, exec, s[22:23]
	s_cbranch_execnz .LBB6_249
.LBB6_250:
	s_or_b64 exec, exec, s[20:21]
	v_mov_b32_e32 v3, 0
	global_load_dwordx2 v[0:1], v3, s[6:7] offset:16
	s_mov_b64 s[20:21], exec
	v_mbcnt_lo_u32_b32 v2, s20, 0
	v_mbcnt_hi_u32_b32 v2, s21, v2
	v_cmp_eq_u32_e32 vcc, 0, v2
	s_and_saveexec_b64 s[22:23], vcc
	s_cbranch_execz .LBB6_252
; %bb.251:
	s_bcnt1_i32_b64 s15, s[20:21]
	v_mov_b32_e32 v2, s15
	s_waitcnt vmcnt(0)
	global_atomic_add_x2 v[0:1], v[2:3], off offset:8
.LBB6_252:
	s_or_b64 exec, exec, s[22:23]
	s_waitcnt vmcnt(0)
	global_load_dwordx2 v[2:3], v[0:1], off offset:16
	s_waitcnt vmcnt(0)
	v_cmp_eq_u64_e32 vcc, 0, v[2:3]
	s_cbranch_vccnz .LBB6_254
; %bb.253:
	global_load_dword v0, v[0:1], off offset:24
	v_mov_b32_e32 v1, 0
	s_waitcnt vmcnt(0)
	global_store_dwordx2 v[2:3], v[0:1], off
	v_and_b32_e32 v0, 0xffffff, v0
	v_readfirstlane_b32 m0, v0
	s_sendmsg sendmsg(MSG_INTERRUPT)
.LBB6_254:
	s_or_b64 exec, exec, s[18:19]
	s_branch .LBB6_258
.LBB6_255:                              ;   in Loop: Header=BB6_258 Depth=1
	s_or_b64 exec, exec, s[18:19]
	v_readfirstlane_b32 s15, v0
	s_cmp_eq_u32 s15, 0
	s_cbranch_scc1 .LBB6_257
; %bb.256:                              ;   in Loop: Header=BB6_258 Depth=1
	s_sleep 1
	s_cbranch_execnz .LBB6_258
	s_branch .LBB6_260
.LBB6_257:
	s_branch .LBB6_260
.LBB6_258:                              ; =>This Inner Loop Header: Depth=1
	v_mov_b32_e32 v0, 1
	s_and_saveexec_b64 s[18:19], s[4:5]
	s_cbranch_execz .LBB6_255
; %bb.259:                              ;   in Loop: Header=BB6_258 Depth=1
	global_load_dword v0, v[8:9], off offset:20 glc
	s_waitcnt vmcnt(0)
	buffer_wbinvl1_vol
	v_and_b32_e32 v0, 1, v0
	s_branch .LBB6_255
.LBB6_260:
	s_and_saveexec_b64 s[18:19], s[4:5]
	s_cbranch_execz .LBB6_263
; %bb.261:
	v_mov_b32_e32 v6, 0
	global_load_dwordx2 v[2:3], v6, s[6:7] offset:40
	global_load_dwordx2 v[7:8], v6, s[6:7] offset:24 glc
	global_load_dwordx2 v[4:5], v6, s[6:7]
	v_mov_b32_e32 v1, s17
	s_mov_b64 s[4:5], 0
	s_waitcnt vmcnt(2)
	v_add_co_u32_e32 v9, vcc, 1, v2
	v_addc_co_u32_e32 v10, vcc, 0, v3, vcc
	v_add_co_u32_e32 v0, vcc, s16, v9
	v_addc_co_u32_e32 v1, vcc, v10, v1, vcc
	v_cmp_eq_u64_e32 vcc, 0, v[0:1]
	v_cndmask_b32_e32 v1, v1, v10, vcc
	v_cndmask_b32_e32 v0, v0, v9, vcc
	v_and_b32_e32 v3, v1, v3
	v_and_b32_e32 v2, v0, v2
	v_mul_lo_u32 v3, v3, 24
	v_mul_hi_u32 v9, v2, 24
	v_mul_lo_u32 v10, v2, 24
	s_waitcnt vmcnt(1)
	v_mov_b32_e32 v2, v7
	v_add_u32_e32 v3, v9, v3
	s_waitcnt vmcnt(0)
	v_add_co_u32_e32 v4, vcc, v4, v10
	v_addc_co_u32_e32 v5, vcc, v5, v3, vcc
	global_store_dwordx2 v[4:5], v[7:8], off
	v_mov_b32_e32 v3, v8
	s_waitcnt vmcnt(0)
	global_atomic_cmpswap_x2 v[2:3], v6, v[0:3], s[6:7] offset:24 glc
	s_waitcnt vmcnt(0)
	v_cmp_ne_u64_e32 vcc, v[2:3], v[7:8]
	s_and_b64 exec, exec, vcc
	s_cbranch_execz .LBB6_263
.LBB6_262:                              ; =>This Inner Loop Header: Depth=1
	s_sleep 1
	global_store_dwordx2 v[4:5], v[2:3], off
	s_waitcnt vmcnt(0)
	global_atomic_cmpswap_x2 v[7:8], v6, v[0:3], s[6:7] offset:24 glc
	s_waitcnt vmcnt(0)
	v_cmp_eq_u64_e32 vcc, v[7:8], v[2:3]
	v_mov_b32_e32 v2, v7
	s_or_b64 s[4:5], vcc, s[4:5]
	v_mov_b32_e32 v3, v8
	s_andn2_b64 exec, exec, s[4:5]
	s_cbranch_execnz .LBB6_262
.LBB6_263:
	s_or_b64 exec, exec, s[18:19]
.LBB6_264:
	v_readfirstlane_b32 s4, v32
	s_waitcnt vmcnt(0)
	v_mov_b32_e32 v5, 0
	v_mov_b32_e32 v6, 0
	v_cmp_eq_u32_e64 s[4:5], s4, v32
	s_and_saveexec_b64 s[16:17], s[4:5]
	s_cbranch_execz .LBB6_270
; %bb.265:
	v_mov_b32_e32 v0, 0
	global_load_dwordx2 v[3:4], v0, s[6:7] offset:24 glc
	s_waitcnt vmcnt(0)
	buffer_wbinvl1_vol
	global_load_dwordx2 v[1:2], v0, s[6:7] offset:40
	global_load_dwordx2 v[5:6], v0, s[6:7]
	s_waitcnt vmcnt(1)
	v_and_b32_e32 v1, v1, v3
	v_and_b32_e32 v2, v2, v4
	v_mul_lo_u32 v2, v2, 24
	v_mul_hi_u32 v7, v1, 24
	v_mul_lo_u32 v1, v1, 24
	v_add_u32_e32 v2, v7, v2
	s_waitcnt vmcnt(0)
	v_add_co_u32_e32 v1, vcc, v5, v1
	v_addc_co_u32_e32 v2, vcc, v6, v2, vcc
	global_load_dwordx2 v[1:2], v[1:2], off glc
	s_waitcnt vmcnt(0)
	global_atomic_cmpswap_x2 v[5:6], v0, v[1:4], s[6:7] offset:24 glc
	s_waitcnt vmcnt(0)
	buffer_wbinvl1_vol
	v_cmp_ne_u64_e32 vcc, v[5:6], v[3:4]
	s_and_saveexec_b64 s[18:19], vcc
	s_cbranch_execz .LBB6_269
; %bb.266:
	s_mov_b64 s[20:21], 0
.LBB6_267:                              ; =>This Inner Loop Header: Depth=1
	s_sleep 1
	global_load_dwordx2 v[1:2], v0, s[6:7] offset:40
	global_load_dwordx2 v[7:8], v0, s[6:7]
	v_mov_b32_e32 v3, v5
	v_mov_b32_e32 v4, v6
	s_waitcnt vmcnt(1)
	v_and_b32_e32 v1, v1, v3
	s_waitcnt vmcnt(0)
	v_mad_u64_u32 v[5:6], s[22:23], v1, 24, v[7:8]
	v_and_b32_e32 v2, v2, v4
	v_mov_b32_e32 v1, v6
	v_mad_u64_u32 v[1:2], s[22:23], v2, 24, v[1:2]
	v_mov_b32_e32 v6, v1
	global_load_dwordx2 v[1:2], v[5:6], off glc
	s_waitcnt vmcnt(0)
	global_atomic_cmpswap_x2 v[5:6], v0, v[1:4], s[6:7] offset:24 glc
	s_waitcnt vmcnt(0)
	buffer_wbinvl1_vol
	v_cmp_eq_u64_e32 vcc, v[5:6], v[3:4]
	s_or_b64 s[20:21], vcc, s[20:21]
	s_andn2_b64 exec, exec, s[20:21]
	s_cbranch_execnz .LBB6_267
; %bb.268:
	s_or_b64 exec, exec, s[20:21]
.LBB6_269:
	s_or_b64 exec, exec, s[18:19]
.LBB6_270:
	s_or_b64 exec, exec, s[16:17]
	v_mov_b32_e32 v4, 0
	global_load_dwordx2 v[7:8], v4, s[6:7] offset:40
	global_load_dwordx4 v[0:3], v4, s[6:7]
	v_readfirstlane_b32 s16, v5
	v_readfirstlane_b32 s17, v6
	s_mov_b64 s[18:19], exec
	s_waitcnt vmcnt(1)
	v_readfirstlane_b32 s20, v7
	v_readfirstlane_b32 s21, v8
	s_and_b64 s[20:21], s[16:17], s[20:21]
	s_mul_i32 s15, s21, 24
	s_mul_hi_u32 s22, s20, 24
	s_mul_i32 s23, s20, 24
	s_add_i32 s15, s22, s15
	v_mov_b32_e32 v5, s15
	s_waitcnt vmcnt(0)
	v_add_co_u32_e32 v7, vcc, s23, v0
	v_addc_co_u32_e32 v8, vcc, v1, v5, vcc
	s_and_saveexec_b64 s[22:23], s[4:5]
	s_cbranch_execz .LBB6_272
; %bb.271:
	v_mov_b32_e32 v9, s18
	v_mov_b32_e32 v10, s19
	;; [unrolled: 1-line block ×4, first 2 shown]
	global_store_dwordx4 v[7:8], v[9:12], off offset:8
.LBB6_272:
	s_or_b64 exec, exec, s[22:23]
	s_lshl_b64 s[18:19], s[20:21], 12
	v_mov_b32_e32 v5, s19
	v_add_co_u32_e32 v2, vcc, s18, v2
	v_addc_co_u32_e32 v11, vcc, v3, v5, vcc
	s_mov_b32 s20, 0
	v_mov_b32_e32 v3, 33
	v_mov_b32_e32 v5, v4
	;; [unrolled: 1-line block ×3, first 2 shown]
	v_readfirstlane_b32 s18, v2
	v_readfirstlane_b32 s19, v11
	v_add_co_u32_e32 v9, vcc, v2, v31
	s_mov_b32 s21, s20
	s_mov_b32 s22, s20
	;; [unrolled: 1-line block ×3, first 2 shown]
	s_nop 0
	global_store_dwordx4 v31, v[3:6], s[18:19]
	v_mov_b32_e32 v2, s20
	v_addc_co_u32_e32 v10, vcc, 0, v11, vcc
	v_mov_b32_e32 v3, s21
	v_mov_b32_e32 v4, s22
	;; [unrolled: 1-line block ×3, first 2 shown]
	global_store_dwordx4 v31, v[2:5], s[18:19] offset:16
	global_store_dwordx4 v31, v[2:5], s[18:19] offset:32
	;; [unrolled: 1-line block ×3, first 2 shown]
	s_and_saveexec_b64 s[18:19], s[4:5]
	s_cbranch_execz .LBB6_280
; %bb.273:
	v_mov_b32_e32 v6, 0
	global_load_dwordx2 v[13:14], v6, s[6:7] offset:32 glc
	global_load_dwordx2 v[2:3], v6, s[6:7] offset:40
	v_mov_b32_e32 v11, s16
	v_mov_b32_e32 v12, s17
	s_waitcnt vmcnt(0)
	v_readfirstlane_b32 s20, v2
	v_readfirstlane_b32 s21, v3
	s_and_b64 s[20:21], s[20:21], s[16:17]
	s_mul_i32 s15, s21, 24
	s_mul_hi_u32 s21, s20, 24
	s_mul_i32 s20, s20, 24
	s_add_i32 s15, s21, s15
	v_mov_b32_e32 v2, s15
	v_add_co_u32_e32 v4, vcc, s20, v0
	v_addc_co_u32_e32 v5, vcc, v1, v2, vcc
	global_store_dwordx2 v[4:5], v[13:14], off
	s_waitcnt vmcnt(0)
	global_atomic_cmpswap_x2 v[2:3], v6, v[11:14], s[6:7] offset:32 glc
	s_waitcnt vmcnt(0)
	v_cmp_ne_u64_e32 vcc, v[2:3], v[13:14]
	s_and_saveexec_b64 s[20:21], vcc
	s_cbranch_execz .LBB6_276
; %bb.274:
	s_mov_b64 s[22:23], 0
.LBB6_275:                              ; =>This Inner Loop Header: Depth=1
	s_sleep 1
	global_store_dwordx2 v[4:5], v[2:3], off
	v_mov_b32_e32 v0, s16
	v_mov_b32_e32 v1, s17
	s_waitcnt vmcnt(0)
	global_atomic_cmpswap_x2 v[0:1], v6, v[0:3], s[6:7] offset:32 glc
	s_waitcnt vmcnt(0)
	v_cmp_eq_u64_e32 vcc, v[0:1], v[2:3]
	v_mov_b32_e32 v3, v1
	s_or_b64 s[22:23], vcc, s[22:23]
	v_mov_b32_e32 v2, v0
	s_andn2_b64 exec, exec, s[22:23]
	s_cbranch_execnz .LBB6_275
.LBB6_276:
	s_or_b64 exec, exec, s[20:21]
	v_mov_b32_e32 v3, 0
	global_load_dwordx2 v[0:1], v3, s[6:7] offset:16
	s_mov_b64 s[20:21], exec
	v_mbcnt_lo_u32_b32 v2, s20, 0
	v_mbcnt_hi_u32_b32 v2, s21, v2
	v_cmp_eq_u32_e32 vcc, 0, v2
	s_and_saveexec_b64 s[22:23], vcc
	s_cbranch_execz .LBB6_278
; %bb.277:
	s_bcnt1_i32_b64 s15, s[20:21]
	v_mov_b32_e32 v2, s15
	s_waitcnt vmcnt(0)
	global_atomic_add_x2 v[0:1], v[2:3], off offset:8
.LBB6_278:
	s_or_b64 exec, exec, s[22:23]
	s_waitcnt vmcnt(0)
	global_load_dwordx2 v[2:3], v[0:1], off offset:16
	s_waitcnt vmcnt(0)
	v_cmp_eq_u64_e32 vcc, 0, v[2:3]
	s_cbranch_vccnz .LBB6_280
; %bb.279:
	global_load_dword v0, v[0:1], off offset:24
	v_mov_b32_e32 v1, 0
	s_waitcnt vmcnt(0)
	global_store_dwordx2 v[2:3], v[0:1], off
	v_and_b32_e32 v0, 0xffffff, v0
	v_readfirstlane_b32 m0, v0
	s_sendmsg sendmsg(MSG_INTERRUPT)
.LBB6_280:
	s_or_b64 exec, exec, s[18:19]
	s_branch .LBB6_284
.LBB6_281:                              ;   in Loop: Header=BB6_284 Depth=1
	s_or_b64 exec, exec, s[18:19]
	v_readfirstlane_b32 s15, v0
	s_cmp_eq_u32 s15, 0
	s_cbranch_scc1 .LBB6_283
; %bb.282:                              ;   in Loop: Header=BB6_284 Depth=1
	s_sleep 1
	s_cbranch_execnz .LBB6_284
	s_branch .LBB6_286
.LBB6_283:
	s_branch .LBB6_286
.LBB6_284:                              ; =>This Inner Loop Header: Depth=1
	v_mov_b32_e32 v0, 1
	s_and_saveexec_b64 s[18:19], s[4:5]
	s_cbranch_execz .LBB6_281
; %bb.285:                              ;   in Loop: Header=BB6_284 Depth=1
	global_load_dword v0, v[7:8], off offset:20 glc
	s_waitcnt vmcnt(0)
	buffer_wbinvl1_vol
	v_and_b32_e32 v0, 1, v0
	s_branch .LBB6_281
.LBB6_286:
	global_load_dwordx2 v[0:1], v[9:10], off
	s_and_saveexec_b64 s[18:19], s[4:5]
	s_cbranch_execz .LBB6_289
; %bb.287:
	v_mov_b32_e32 v8, 0
	global_load_dwordx2 v[4:5], v8, s[6:7] offset:40
	global_load_dwordx2 v[9:10], v8, s[6:7] offset:24 glc
	global_load_dwordx2 v[6:7], v8, s[6:7]
	v_mov_b32_e32 v3, s17
	s_mov_b64 s[4:5], 0
	s_waitcnt vmcnt(2)
	v_add_co_u32_e32 v11, vcc, 1, v4
	v_addc_co_u32_e32 v12, vcc, 0, v5, vcc
	v_add_co_u32_e32 v2, vcc, s16, v11
	v_addc_co_u32_e32 v3, vcc, v12, v3, vcc
	v_cmp_eq_u64_e32 vcc, 0, v[2:3]
	v_cndmask_b32_e32 v3, v3, v12, vcc
	v_cndmask_b32_e32 v2, v2, v11, vcc
	v_and_b32_e32 v5, v3, v5
	v_and_b32_e32 v4, v2, v4
	v_mul_lo_u32 v5, v5, 24
	v_mul_hi_u32 v11, v4, 24
	v_mul_lo_u32 v12, v4, 24
	s_waitcnt vmcnt(1)
	v_mov_b32_e32 v4, v9
	v_add_u32_e32 v5, v11, v5
	s_waitcnt vmcnt(0)
	v_add_co_u32_e32 v6, vcc, v6, v12
	v_addc_co_u32_e32 v7, vcc, v7, v5, vcc
	global_store_dwordx2 v[6:7], v[9:10], off
	v_mov_b32_e32 v5, v10
	s_waitcnt vmcnt(0)
	global_atomic_cmpswap_x2 v[4:5], v8, v[2:5], s[6:7] offset:24 glc
	s_waitcnt vmcnt(0)
	v_cmp_ne_u64_e32 vcc, v[4:5], v[9:10]
	s_and_b64 exec, exec, vcc
	s_cbranch_execz .LBB6_289
.LBB6_288:                              ; =>This Inner Loop Header: Depth=1
	s_sleep 1
	global_store_dwordx2 v[6:7], v[4:5], off
	s_waitcnt vmcnt(0)
	global_atomic_cmpswap_x2 v[9:10], v8, v[2:5], s[6:7] offset:24 glc
	s_waitcnt vmcnt(0)
	v_cmp_eq_u64_e32 vcc, v[9:10], v[4:5]
	v_mov_b32_e32 v4, v9
	s_or_b64 s[4:5], vcc, s[4:5]
	v_mov_b32_e32 v5, v10
	s_andn2_b64 exec, exec, s[4:5]
	s_cbranch_execnz .LBB6_288
.LBB6_289:
	s_or_b64 exec, exec, s[18:19]
	s_getpc_b64 s[18:19]
	s_add_u32 s18, s18, .str.6@rel32@lo+4
	s_addc_u32 s19, s19, .str.6@rel32@hi+12
	s_cmp_lg_u64 s[18:19], 0
	s_cselect_b64 s[16:17], -1, 0
	s_and_b64 vcc, exec, s[16:17]
	s_cbranch_vccz .LBB6_374
; %bb.290:
	s_waitcnt vmcnt(0)
	v_and_b32_e32 v33, 2, v0
	v_mov_b32_e32 v28, 0
	v_and_b32_e32 v2, -3, v0
	v_mov_b32_e32 v3, v1
	s_mov_b64 s[20:21], 3
	v_mov_b32_e32 v6, 2
	v_mov_b32_e32 v7, 1
	s_branch .LBB6_292
.LBB6_291:                              ;   in Loop: Header=BB6_292 Depth=1
	s_or_b64 exec, exec, s[26:27]
	s_sub_u32 s20, s20, s22
	s_subb_u32 s21, s21, s23
	s_add_u32 s18, s18, s22
	s_addc_u32 s19, s19, s23
	s_cmp_lg_u64 s[20:21], 0
	s_cbranch_scc0 .LBB6_373
.LBB6_292:                              ; =>This Loop Header: Depth=1
                                        ;     Child Loop BB6_295 Depth 2
                                        ;     Child Loop BB6_302 Depth 2
	;; [unrolled: 1-line block ×11, first 2 shown]
	v_cmp_lt_u64_e64 s[4:5], s[20:21], 56
	v_cmp_gt_u64_e64 s[24:25], s[20:21], 7
	s_and_b64 s[4:5], s[4:5], exec
	s_cselect_b32 s23, s21, 0
	s_cselect_b32 s22, s20, 56
	s_and_b64 vcc, exec, s[24:25]
	s_cbranch_vccnz .LBB6_297
; %bb.293:                              ;   in Loop: Header=BB6_292 Depth=1
	v_mov_b32_e32 v10, 0
	s_cmp_eq_u64 s[20:21], 0
	v_mov_b32_e32 v11, 0
	s_mov_b64 s[4:5], 0
	s_cbranch_scc1 .LBB6_296
; %bb.294:                              ;   in Loop: Header=BB6_292 Depth=1
	v_mov_b32_e32 v10, 0
	s_lshl_b64 s[24:25], s[22:23], 3
	s_mov_b64 s[26:27], 0
	v_mov_b32_e32 v11, 0
	s_mov_b64 s[28:29], s[18:19]
.LBB6_295:                              ;   Parent Loop BB6_292 Depth=1
                                        ; =>  This Inner Loop Header: Depth=2
	global_load_ubyte v4, v28, s[28:29]
	s_waitcnt vmcnt(0)
	v_and_b32_e32 v27, 0xffff, v4
	v_lshlrev_b64 v[4:5], s26, v[27:28]
	s_add_u32 s26, s26, 8
	s_addc_u32 s27, s27, 0
	s_add_u32 s28, s28, 1
	s_addc_u32 s29, s29, 0
	v_or_b32_e32 v10, v4, v10
	s_cmp_lg_u32 s24, s26
	v_or_b32_e32 v11, v5, v11
	s_cbranch_scc1 .LBB6_295
.LBB6_296:                              ;   in Loop: Header=BB6_292 Depth=1
	s_mov_b32 s15, 0
	s_andn2_b64 vcc, exec, s[4:5]
	s_mov_b64 s[4:5], s[18:19]
	s_cbranch_vccz .LBB6_298
	s_branch .LBB6_299
.LBB6_297:                              ;   in Loop: Header=BB6_292 Depth=1
                                        ; implicit-def: $vgpr10_vgpr11
                                        ; implicit-def: $sgpr15
	s_mov_b64 s[4:5], s[18:19]
.LBB6_298:                              ;   in Loop: Header=BB6_292 Depth=1
	global_load_dwordx2 v[10:11], v28, s[18:19]
	s_add_i32 s15, s22, -8
	s_add_u32 s4, s18, 8
	s_addc_u32 s5, s19, 0
.LBB6_299:                              ;   in Loop: Header=BB6_292 Depth=1
	s_cmp_gt_u32 s15, 7
	s_cbranch_scc1 .LBB6_303
; %bb.300:                              ;   in Loop: Header=BB6_292 Depth=1
	s_cmp_eq_u32 s15, 0
	s_cbranch_scc1 .LBB6_304
; %bb.301:                              ;   in Loop: Header=BB6_292 Depth=1
	v_mov_b32_e32 v12, 0
	s_mov_b64 s[24:25], 0
	v_mov_b32_e32 v13, 0
	s_mov_b64 s[26:27], 0
.LBB6_302:                              ;   Parent Loop BB6_292 Depth=1
                                        ; =>  This Inner Loop Header: Depth=2
	s_add_u32 s28, s4, s26
	s_addc_u32 s29, s5, s27
	global_load_ubyte v4, v28, s[28:29]
	s_add_u32 s26, s26, 1
	s_addc_u32 s27, s27, 0
	s_waitcnt vmcnt(0)
	v_and_b32_e32 v27, 0xffff, v4
	v_lshlrev_b64 v[4:5], s24, v[27:28]
	s_add_u32 s24, s24, 8
	s_addc_u32 s25, s25, 0
	v_or_b32_e32 v12, v4, v12
	s_cmp_lg_u32 s15, s26
	v_or_b32_e32 v13, v5, v13
	s_cbranch_scc1 .LBB6_302
	s_branch .LBB6_305
.LBB6_303:                              ;   in Loop: Header=BB6_292 Depth=1
                                        ; implicit-def: $vgpr12_vgpr13
                                        ; implicit-def: $sgpr28
	s_branch .LBB6_306
.LBB6_304:                              ;   in Loop: Header=BB6_292 Depth=1
	v_mov_b32_e32 v12, 0
	v_mov_b32_e32 v13, 0
.LBB6_305:                              ;   in Loop: Header=BB6_292 Depth=1
	s_mov_b32 s28, 0
	s_cbranch_execnz .LBB6_307
.LBB6_306:                              ;   in Loop: Header=BB6_292 Depth=1
	global_load_dwordx2 v[12:13], v28, s[4:5]
	s_add_i32 s28, s15, -8
	s_add_u32 s4, s4, 8
	s_addc_u32 s5, s5, 0
.LBB6_307:                              ;   in Loop: Header=BB6_292 Depth=1
	s_cmp_gt_u32 s28, 7
	s_cbranch_scc1 .LBB6_311
; %bb.308:                              ;   in Loop: Header=BB6_292 Depth=1
	s_cmp_eq_u32 s28, 0
	s_cbranch_scc1 .LBB6_312
; %bb.309:                              ;   in Loop: Header=BB6_292 Depth=1
	v_mov_b32_e32 v14, 0
	s_mov_b64 s[24:25], 0
	v_mov_b32_e32 v15, 0
	s_mov_b64 s[26:27], 0
.LBB6_310:                              ;   Parent Loop BB6_292 Depth=1
                                        ; =>  This Inner Loop Header: Depth=2
	s_add_u32 vcc_lo, s4, s26
	s_addc_u32 vcc_hi, s5, s27
	global_load_ubyte v4, v28, vcc
	s_add_u32 s26, s26, 1
	s_addc_u32 s27, s27, 0
	s_waitcnt vmcnt(0)
	v_and_b32_e32 v27, 0xffff, v4
	v_lshlrev_b64 v[4:5], s24, v[27:28]
	s_add_u32 s24, s24, 8
	s_addc_u32 s25, s25, 0
	v_or_b32_e32 v14, v4, v14
	s_cmp_lg_u32 s28, s26
	v_or_b32_e32 v15, v5, v15
	s_cbranch_scc1 .LBB6_310
	s_branch .LBB6_313
.LBB6_311:                              ;   in Loop: Header=BB6_292 Depth=1
                                        ; implicit-def: $sgpr15
	s_branch .LBB6_314
.LBB6_312:                              ;   in Loop: Header=BB6_292 Depth=1
	v_mov_b32_e32 v14, 0
	v_mov_b32_e32 v15, 0
.LBB6_313:                              ;   in Loop: Header=BB6_292 Depth=1
	s_mov_b32 s15, 0
	s_cbranch_execnz .LBB6_315
.LBB6_314:                              ;   in Loop: Header=BB6_292 Depth=1
	global_load_dwordx2 v[14:15], v28, s[4:5]
	s_add_i32 s15, s28, -8
	s_add_u32 s4, s4, 8
	s_addc_u32 s5, s5, 0
.LBB6_315:                              ;   in Loop: Header=BB6_292 Depth=1
	s_cmp_gt_u32 s15, 7
	s_cbranch_scc1 .LBB6_319
; %bb.316:                              ;   in Loop: Header=BB6_292 Depth=1
	s_cmp_eq_u32 s15, 0
	s_cbranch_scc1 .LBB6_320
; %bb.317:                              ;   in Loop: Header=BB6_292 Depth=1
	v_mov_b32_e32 v16, 0
	s_mov_b64 s[24:25], 0
	v_mov_b32_e32 v17, 0
	s_mov_b64 s[26:27], 0
.LBB6_318:                              ;   Parent Loop BB6_292 Depth=1
                                        ; =>  This Inner Loop Header: Depth=2
	s_add_u32 s28, s4, s26
	s_addc_u32 s29, s5, s27
	global_load_ubyte v4, v28, s[28:29]
	s_add_u32 s26, s26, 1
	s_addc_u32 s27, s27, 0
	s_waitcnt vmcnt(0)
	v_and_b32_e32 v27, 0xffff, v4
	v_lshlrev_b64 v[4:5], s24, v[27:28]
	s_add_u32 s24, s24, 8
	s_addc_u32 s25, s25, 0
	v_or_b32_e32 v16, v4, v16
	s_cmp_lg_u32 s15, s26
	v_or_b32_e32 v17, v5, v17
	s_cbranch_scc1 .LBB6_318
	s_branch .LBB6_321
.LBB6_319:                              ;   in Loop: Header=BB6_292 Depth=1
                                        ; implicit-def: $vgpr16_vgpr17
                                        ; implicit-def: $sgpr28
	s_branch .LBB6_322
.LBB6_320:                              ;   in Loop: Header=BB6_292 Depth=1
	v_mov_b32_e32 v16, 0
	v_mov_b32_e32 v17, 0
.LBB6_321:                              ;   in Loop: Header=BB6_292 Depth=1
	s_mov_b32 s28, 0
	s_cbranch_execnz .LBB6_323
.LBB6_322:                              ;   in Loop: Header=BB6_292 Depth=1
	global_load_dwordx2 v[16:17], v28, s[4:5]
	s_add_i32 s28, s15, -8
	s_add_u32 s4, s4, 8
	s_addc_u32 s5, s5, 0
.LBB6_323:                              ;   in Loop: Header=BB6_292 Depth=1
	s_cmp_gt_u32 s28, 7
	s_cbranch_scc1 .LBB6_327
; %bb.324:                              ;   in Loop: Header=BB6_292 Depth=1
	s_cmp_eq_u32 s28, 0
	s_cbranch_scc1 .LBB6_328
; %bb.325:                              ;   in Loop: Header=BB6_292 Depth=1
	v_mov_b32_e32 v18, 0
	s_mov_b64 s[24:25], 0
	v_mov_b32_e32 v19, 0
	s_mov_b64 s[26:27], 0
.LBB6_326:                              ;   Parent Loop BB6_292 Depth=1
                                        ; =>  This Inner Loop Header: Depth=2
	s_add_u32 vcc_lo, s4, s26
	s_addc_u32 vcc_hi, s5, s27
	global_load_ubyte v4, v28, vcc
	s_add_u32 s26, s26, 1
	s_addc_u32 s27, s27, 0
	s_waitcnt vmcnt(0)
	v_and_b32_e32 v27, 0xffff, v4
	v_lshlrev_b64 v[4:5], s24, v[27:28]
	s_add_u32 s24, s24, 8
	s_addc_u32 s25, s25, 0
	v_or_b32_e32 v18, v4, v18
	s_cmp_lg_u32 s28, s26
	v_or_b32_e32 v19, v5, v19
	s_cbranch_scc1 .LBB6_326
	s_branch .LBB6_329
.LBB6_327:                              ;   in Loop: Header=BB6_292 Depth=1
                                        ; implicit-def: $sgpr15
	s_branch .LBB6_330
.LBB6_328:                              ;   in Loop: Header=BB6_292 Depth=1
	v_mov_b32_e32 v18, 0
	v_mov_b32_e32 v19, 0
.LBB6_329:                              ;   in Loop: Header=BB6_292 Depth=1
	s_mov_b32 s15, 0
	s_cbranch_execnz .LBB6_331
.LBB6_330:                              ;   in Loop: Header=BB6_292 Depth=1
	global_load_dwordx2 v[18:19], v28, s[4:5]
	s_add_i32 s15, s28, -8
	s_add_u32 s4, s4, 8
	s_addc_u32 s5, s5, 0
.LBB6_331:                              ;   in Loop: Header=BB6_292 Depth=1
	s_cmp_gt_u32 s15, 7
	s_cbranch_scc1 .LBB6_335
; %bb.332:                              ;   in Loop: Header=BB6_292 Depth=1
	s_cmp_eq_u32 s15, 0
	s_cbranch_scc1 .LBB6_336
; %bb.333:                              ;   in Loop: Header=BB6_292 Depth=1
	v_mov_b32_e32 v20, 0
	s_mov_b64 s[24:25], 0
	v_mov_b32_e32 v21, 0
	s_mov_b64 s[26:27], 0
.LBB6_334:                              ;   Parent Loop BB6_292 Depth=1
                                        ; =>  This Inner Loop Header: Depth=2
	s_add_u32 s28, s4, s26
	s_addc_u32 s29, s5, s27
	global_load_ubyte v4, v28, s[28:29]
	s_add_u32 s26, s26, 1
	s_addc_u32 s27, s27, 0
	s_waitcnt vmcnt(0)
	v_and_b32_e32 v27, 0xffff, v4
	v_lshlrev_b64 v[4:5], s24, v[27:28]
	s_add_u32 s24, s24, 8
	s_addc_u32 s25, s25, 0
	v_or_b32_e32 v20, v4, v20
	s_cmp_lg_u32 s15, s26
	v_or_b32_e32 v21, v5, v21
	s_cbranch_scc1 .LBB6_334
	s_branch .LBB6_337
.LBB6_335:                              ;   in Loop: Header=BB6_292 Depth=1
                                        ; implicit-def: $vgpr20_vgpr21
                                        ; implicit-def: $sgpr28
	s_branch .LBB6_338
.LBB6_336:                              ;   in Loop: Header=BB6_292 Depth=1
	v_mov_b32_e32 v20, 0
	v_mov_b32_e32 v21, 0
.LBB6_337:                              ;   in Loop: Header=BB6_292 Depth=1
	s_mov_b32 s28, 0
	s_cbranch_execnz .LBB6_339
.LBB6_338:                              ;   in Loop: Header=BB6_292 Depth=1
	global_load_dwordx2 v[20:21], v28, s[4:5]
	s_add_i32 s28, s15, -8
	s_add_u32 s4, s4, 8
	s_addc_u32 s5, s5, 0
.LBB6_339:                              ;   in Loop: Header=BB6_292 Depth=1
	s_cmp_gt_u32 s28, 7
	s_cbranch_scc1 .LBB6_343
; %bb.340:                              ;   in Loop: Header=BB6_292 Depth=1
	s_cmp_eq_u32 s28, 0
	s_cbranch_scc1 .LBB6_344
; %bb.341:                              ;   in Loop: Header=BB6_292 Depth=1
	v_mov_b32_e32 v22, 0
	s_mov_b64 s[24:25], 0
	v_mov_b32_e32 v23, 0
	s_mov_b64 s[26:27], s[4:5]
.LBB6_342:                              ;   Parent Loop BB6_292 Depth=1
                                        ; =>  This Inner Loop Header: Depth=2
	global_load_ubyte v4, v28, s[26:27]
	s_add_i32 s28, s28, -1
	s_waitcnt vmcnt(0)
	v_and_b32_e32 v27, 0xffff, v4
	v_lshlrev_b64 v[4:5], s24, v[27:28]
	s_add_u32 s24, s24, 8
	s_addc_u32 s25, s25, 0
	s_add_u32 s26, s26, 1
	s_addc_u32 s27, s27, 0
	v_or_b32_e32 v22, v4, v22
	s_cmp_lg_u32 s28, 0
	v_or_b32_e32 v23, v5, v23
	s_cbranch_scc1 .LBB6_342
	s_branch .LBB6_345
.LBB6_343:                              ;   in Loop: Header=BB6_292 Depth=1
	s_branch .LBB6_346
.LBB6_344:                              ;   in Loop: Header=BB6_292 Depth=1
	v_mov_b32_e32 v22, 0
	v_mov_b32_e32 v23, 0
.LBB6_345:                              ;   in Loop: Header=BB6_292 Depth=1
	s_cbranch_execnz .LBB6_347
.LBB6_346:                              ;   in Loop: Header=BB6_292 Depth=1
	global_load_dwordx2 v[22:23], v28, s[4:5]
.LBB6_347:                              ;   in Loop: Header=BB6_292 Depth=1
	v_readfirstlane_b32 s4, v32
	s_waitcnt vmcnt(0)
	v_mov_b32_e32 v4, 0
	v_mov_b32_e32 v5, 0
	v_cmp_eq_u32_e64 s[4:5], s4, v32
	s_and_saveexec_b64 s[24:25], s[4:5]
	s_cbranch_execz .LBB6_353
; %bb.348:                              ;   in Loop: Header=BB6_292 Depth=1
	global_load_dwordx2 v[26:27], v28, s[6:7] offset:24 glc
	s_waitcnt vmcnt(0)
	buffer_wbinvl1_vol
	global_load_dwordx2 v[4:5], v28, s[6:7] offset:40
	global_load_dwordx2 v[8:9], v28, s[6:7]
	s_waitcnt vmcnt(1)
	v_and_b32_e32 v4, v4, v26
	v_and_b32_e32 v5, v5, v27
	v_mul_lo_u32 v5, v5, 24
	v_mul_hi_u32 v24, v4, 24
	v_mul_lo_u32 v4, v4, 24
	v_add_u32_e32 v5, v24, v5
	s_waitcnt vmcnt(0)
	v_add_co_u32_e32 v4, vcc, v8, v4
	v_addc_co_u32_e32 v5, vcc, v9, v5, vcc
	global_load_dwordx2 v[24:25], v[4:5], off glc
	s_waitcnt vmcnt(0)
	global_atomic_cmpswap_x2 v[4:5], v28, v[24:27], s[6:7] offset:24 glc
	s_waitcnt vmcnt(0)
	buffer_wbinvl1_vol
	v_cmp_ne_u64_e32 vcc, v[4:5], v[26:27]
	s_and_saveexec_b64 s[26:27], vcc
	s_cbranch_execz .LBB6_352
; %bb.349:                              ;   in Loop: Header=BB6_292 Depth=1
	s_mov_b64 s[28:29], 0
.LBB6_350:                              ;   Parent Loop BB6_292 Depth=1
                                        ; =>  This Inner Loop Header: Depth=2
	s_sleep 1
	global_load_dwordx2 v[8:9], v28, s[6:7] offset:40
	global_load_dwordx2 v[24:25], v28, s[6:7]
	v_mov_b32_e32 v27, v5
	v_mov_b32_e32 v26, v4
	s_waitcnt vmcnt(1)
	v_and_b32_e32 v4, v8, v26
	s_waitcnt vmcnt(0)
	v_mad_u64_u32 v[4:5], vcc, v4, 24, v[24:25]
	v_and_b32_e32 v8, v9, v27
	v_mad_u64_u32 v[8:9], vcc, v8, 24, v[5:6]
	v_mov_b32_e32 v5, v8
	global_load_dwordx2 v[24:25], v[4:5], off glc
	s_waitcnt vmcnt(0)
	global_atomic_cmpswap_x2 v[4:5], v28, v[24:27], s[6:7] offset:24 glc
	s_waitcnt vmcnt(0)
	buffer_wbinvl1_vol
	v_cmp_eq_u64_e32 vcc, v[4:5], v[26:27]
	s_or_b64 s[28:29], vcc, s[28:29]
	s_andn2_b64 exec, exec, s[28:29]
	s_cbranch_execnz .LBB6_350
; %bb.351:                              ;   in Loop: Header=BB6_292 Depth=1
	s_or_b64 exec, exec, s[28:29]
.LBB6_352:                              ;   in Loop: Header=BB6_292 Depth=1
	s_or_b64 exec, exec, s[26:27]
.LBB6_353:                              ;   in Loop: Header=BB6_292 Depth=1
	s_or_b64 exec, exec, s[24:25]
	global_load_dwordx2 v[8:9], v28, s[6:7] offset:40
	global_load_dwordx4 v[24:27], v28, s[6:7]
	v_readfirstlane_b32 s24, v4
	v_readfirstlane_b32 s25, v5
	s_mov_b64 s[26:27], exec
	s_waitcnt vmcnt(1)
	v_readfirstlane_b32 s28, v8
	v_readfirstlane_b32 s29, v9
	s_and_b64 s[28:29], s[24:25], s[28:29]
	s_mul_i32 s15, s29, 24
	s_mul_hi_u32 vcc_lo, s28, 24
	s_mul_i32 vcc_hi, s28, 24
	s_add_i32 s15, vcc_lo, s15
	v_mov_b32_e32 v4, s15
	s_waitcnt vmcnt(0)
	v_add_co_u32_e32 v29, vcc, vcc_hi, v24
	v_addc_co_u32_e32 v30, vcc, v25, v4, vcc
	s_and_saveexec_b64 vcc, s[4:5]
	s_cbranch_execz .LBB6_355
; %bb.354:                              ;   in Loop: Header=BB6_292 Depth=1
	v_mov_b32_e32 v4, s26
	v_mov_b32_e32 v5, s27
	global_store_dwordx4 v[29:30], v[4:7], off offset:8
.LBB6_355:                              ;   in Loop: Header=BB6_292 Depth=1
	s_or_b64 exec, exec, vcc
	s_lshl_b64 s[26:27], s[28:29], 12
	v_mov_b32_e32 v4, s27
	v_add_co_u32_e32 v26, vcc, s26, v26
	v_addc_co_u32_e32 v34, vcc, v27, v4, vcc
	v_cmp_gt_u64_e64 vcc, s[20:21], 56
	v_or_b32_e32 v5, v2, v33
	s_lshl_b32 s15, s22, 2
	v_cndmask_b32_e32 v2, v5, v2, vcc
	s_add_i32 s15, s15, 28
	v_or_b32_e32 v4, 0, v3
	s_and_b32 s15, s15, 0x1e0
	v_and_b32_e32 v2, 0xffffff1f, v2
	v_cndmask_b32_e32 v9, v4, v3, vcc
	v_or_b32_e32 v8, s15, v2
	v_readfirstlane_b32 s26, v26
	v_readfirstlane_b32 s27, v34
	s_nop 4
	global_store_dwordx4 v31, v[8:11], s[26:27]
	global_store_dwordx4 v31, v[12:15], s[26:27] offset:16
	global_store_dwordx4 v31, v[16:19], s[26:27] offset:32
	;; [unrolled: 1-line block ×3, first 2 shown]
	s_and_saveexec_b64 s[26:27], s[4:5]
	s_cbranch_execz .LBB6_363
; %bb.356:                              ;   in Loop: Header=BB6_292 Depth=1
	global_load_dwordx2 v[12:13], v28, s[6:7] offset:32 glc
	global_load_dwordx2 v[2:3], v28, s[6:7] offset:40
	v_mov_b32_e32 v10, s24
	v_mov_b32_e32 v11, s25
	s_waitcnt vmcnt(0)
	v_readfirstlane_b32 s28, v2
	v_readfirstlane_b32 s29, v3
	s_and_b64 s[28:29], s[28:29], s[24:25]
	s_mul_i32 s15, s29, 24
	s_mul_hi_u32 s29, s28, 24
	s_mul_i32 s28, s28, 24
	s_add_i32 s15, s29, s15
	v_mov_b32_e32 v2, s15
	v_add_co_u32_e32 v8, vcc, s28, v24
	v_addc_co_u32_e32 v9, vcc, v25, v2, vcc
	global_store_dwordx2 v[8:9], v[12:13], off
	s_waitcnt vmcnt(0)
	global_atomic_cmpswap_x2 v[4:5], v28, v[10:13], s[6:7] offset:32 glc
	s_waitcnt vmcnt(0)
	v_cmp_ne_u64_e32 vcc, v[4:5], v[12:13]
	s_and_saveexec_b64 s[28:29], vcc
	s_cbranch_execz .LBB6_359
; %bb.357:                              ;   in Loop: Header=BB6_292 Depth=1
	s_mov_b64 s[30:31], 0
.LBB6_358:                              ;   Parent Loop BB6_292 Depth=1
                                        ; =>  This Inner Loop Header: Depth=2
	s_sleep 1
	global_store_dwordx2 v[8:9], v[4:5], off
	v_mov_b32_e32 v2, s24
	v_mov_b32_e32 v3, s25
	s_waitcnt vmcnt(0)
	global_atomic_cmpswap_x2 v[2:3], v28, v[2:5], s[6:7] offset:32 glc
	s_waitcnt vmcnt(0)
	v_cmp_eq_u64_e32 vcc, v[2:3], v[4:5]
	v_mov_b32_e32 v5, v3
	s_or_b64 s[30:31], vcc, s[30:31]
	v_mov_b32_e32 v4, v2
	s_andn2_b64 exec, exec, s[30:31]
	s_cbranch_execnz .LBB6_358
.LBB6_359:                              ;   in Loop: Header=BB6_292 Depth=1
	s_or_b64 exec, exec, s[28:29]
	global_load_dwordx2 v[2:3], v28, s[6:7] offset:16
	s_mov_b64 s[30:31], exec
	v_mbcnt_lo_u32_b32 v4, s30, 0
	v_mbcnt_hi_u32_b32 v4, s31, v4
	v_cmp_eq_u32_e32 vcc, 0, v4
	s_and_saveexec_b64 s[28:29], vcc
	s_cbranch_execz .LBB6_361
; %bb.360:                              ;   in Loop: Header=BB6_292 Depth=1
	s_bcnt1_i32_b64 s15, s[30:31]
	v_mov_b32_e32 v27, s15
	s_waitcnt vmcnt(0)
	global_atomic_add_x2 v[2:3], v[27:28], off offset:8
.LBB6_361:                              ;   in Loop: Header=BB6_292 Depth=1
	s_or_b64 exec, exec, s[28:29]
	s_waitcnt vmcnt(0)
	global_load_dwordx2 v[4:5], v[2:3], off offset:16
	s_waitcnt vmcnt(0)
	v_cmp_eq_u64_e32 vcc, 0, v[4:5]
	s_cbranch_vccnz .LBB6_363
; %bb.362:                              ;   in Loop: Header=BB6_292 Depth=1
	global_load_dword v27, v[2:3], off offset:24
	s_waitcnt vmcnt(0)
	v_and_b32_e32 v2, 0xffffff, v27
	v_readfirstlane_b32 m0, v2
	global_store_dwordx2 v[4:5], v[27:28], off
	s_sendmsg sendmsg(MSG_INTERRUPT)
.LBB6_363:                              ;   in Loop: Header=BB6_292 Depth=1
	s_or_b64 exec, exec, s[26:27]
	v_add_co_u32_e32 v2, vcc, v26, v31
	v_addc_co_u32_e32 v3, vcc, 0, v34, vcc
	s_branch .LBB6_367
.LBB6_364:                              ;   in Loop: Header=BB6_367 Depth=2
	s_or_b64 exec, exec, s[26:27]
	v_readfirstlane_b32 s15, v4
	s_cmp_eq_u32 s15, 0
	s_cbranch_scc1 .LBB6_366
; %bb.365:                              ;   in Loop: Header=BB6_367 Depth=2
	s_sleep 1
	s_cbranch_execnz .LBB6_367
	s_branch .LBB6_369
.LBB6_366:                              ;   in Loop: Header=BB6_292 Depth=1
	s_branch .LBB6_369
.LBB6_367:                              ;   Parent Loop BB6_292 Depth=1
                                        ; =>  This Inner Loop Header: Depth=2
	v_mov_b32_e32 v4, 1
	s_and_saveexec_b64 s[26:27], s[4:5]
	s_cbranch_execz .LBB6_364
; %bb.368:                              ;   in Loop: Header=BB6_367 Depth=2
	global_load_dword v4, v[29:30], off offset:20 glc
	s_waitcnt vmcnt(0)
	buffer_wbinvl1_vol
	v_and_b32_e32 v4, 1, v4
	s_branch .LBB6_364
.LBB6_369:                              ;   in Loop: Header=BB6_292 Depth=1
	global_load_dwordx4 v[2:5], v[2:3], off
	s_and_saveexec_b64 s[26:27], s[4:5]
	s_cbranch_execz .LBB6_291
; %bb.370:                              ;   in Loop: Header=BB6_292 Depth=1
	global_load_dwordx2 v[4:5], v28, s[6:7] offset:40
	global_load_dwordx2 v[12:13], v28, s[6:7] offset:24 glc
	global_load_dwordx2 v[14:15], v28, s[6:7]
	v_mov_b32_e32 v9, s25
	s_waitcnt vmcnt(2)
	v_add_co_u32_e32 v10, vcc, 1, v4
	v_addc_co_u32_e32 v11, vcc, 0, v5, vcc
	v_add_co_u32_e32 v8, vcc, s24, v10
	v_addc_co_u32_e32 v9, vcc, v11, v9, vcc
	v_cmp_eq_u64_e32 vcc, 0, v[8:9]
	v_cndmask_b32_e32 v9, v9, v11, vcc
	v_cndmask_b32_e32 v8, v8, v10, vcc
	v_and_b32_e32 v5, v9, v5
	v_and_b32_e32 v4, v8, v4
	v_mul_lo_u32 v5, v5, 24
	v_mul_hi_u32 v11, v4, 24
	v_mul_lo_u32 v4, v4, 24
	s_waitcnt vmcnt(1)
	v_mov_b32_e32 v10, v12
	v_add_u32_e32 v5, v11, v5
	s_waitcnt vmcnt(0)
	v_add_co_u32_e32 v4, vcc, v14, v4
	v_addc_co_u32_e32 v5, vcc, v15, v5, vcc
	global_store_dwordx2 v[4:5], v[12:13], off
	v_mov_b32_e32 v11, v13
	s_waitcnt vmcnt(0)
	global_atomic_cmpswap_x2 v[10:11], v28, v[8:11], s[6:7] offset:24 glc
	s_waitcnt vmcnt(0)
	v_cmp_ne_u64_e32 vcc, v[10:11], v[12:13]
	s_and_b64 exec, exec, vcc
	s_cbranch_execz .LBB6_291
; %bb.371:                              ;   in Loop: Header=BB6_292 Depth=1
	s_mov_b64 s[4:5], 0
.LBB6_372:                              ;   Parent Loop BB6_292 Depth=1
                                        ; =>  This Inner Loop Header: Depth=2
	s_sleep 1
	global_store_dwordx2 v[4:5], v[10:11], off
	s_waitcnt vmcnt(0)
	global_atomic_cmpswap_x2 v[12:13], v28, v[8:11], s[6:7] offset:24 glc
	s_waitcnt vmcnt(0)
	v_cmp_eq_u64_e32 vcc, v[12:13], v[10:11]
	v_mov_b32_e32 v10, v12
	s_or_b64 s[4:5], vcc, s[4:5]
	v_mov_b32_e32 v11, v13
	s_andn2_b64 exec, exec, s[4:5]
	s_cbranch_execnz .LBB6_372
	s_branch .LBB6_291
.LBB6_373:
	s_branch .LBB6_401
.LBB6_374:
                                        ; implicit-def: $vgpr2_vgpr3
	s_cbranch_execz .LBB6_401
; %bb.375:
	v_readfirstlane_b32 s4, v32
	v_mov_b32_e32 v8, 0
	v_mov_b32_e32 v9, 0
	v_cmp_eq_u32_e64 s[4:5], s4, v32
	s_and_saveexec_b64 s[18:19], s[4:5]
	s_cbranch_execz .LBB6_381
; %bb.376:
	s_waitcnt vmcnt(0)
	v_mov_b32_e32 v2, 0
	global_load_dwordx2 v[5:6], v2, s[6:7] offset:24 glc
	s_waitcnt vmcnt(0)
	buffer_wbinvl1_vol
	global_load_dwordx2 v[3:4], v2, s[6:7] offset:40
	global_load_dwordx2 v[7:8], v2, s[6:7]
	s_waitcnt vmcnt(1)
	v_and_b32_e32 v3, v3, v5
	v_and_b32_e32 v4, v4, v6
	v_mul_lo_u32 v4, v4, 24
	v_mul_hi_u32 v9, v3, 24
	v_mul_lo_u32 v3, v3, 24
	v_add_u32_e32 v4, v9, v4
	s_waitcnt vmcnt(0)
	v_add_co_u32_e32 v3, vcc, v7, v3
	v_addc_co_u32_e32 v4, vcc, v8, v4, vcc
	global_load_dwordx2 v[3:4], v[3:4], off glc
	s_waitcnt vmcnt(0)
	global_atomic_cmpswap_x2 v[8:9], v2, v[3:6], s[6:7] offset:24 glc
	s_waitcnt vmcnt(0)
	buffer_wbinvl1_vol
	v_cmp_ne_u64_e32 vcc, v[8:9], v[5:6]
	s_and_saveexec_b64 s[20:21], vcc
	s_cbranch_execz .LBB6_380
; %bb.377:
	s_mov_b64 s[22:23], 0
.LBB6_378:                              ; =>This Inner Loop Header: Depth=1
	s_sleep 1
	global_load_dwordx2 v[3:4], v2, s[6:7] offset:40
	global_load_dwordx2 v[10:11], v2, s[6:7]
	v_mov_b32_e32 v5, v8
	v_mov_b32_e32 v6, v9
	s_waitcnt vmcnt(1)
	v_and_b32_e32 v3, v3, v5
	s_waitcnt vmcnt(0)
	v_mad_u64_u32 v[7:8], s[24:25], v3, 24, v[10:11]
	v_and_b32_e32 v4, v4, v6
	v_mov_b32_e32 v3, v8
	v_mad_u64_u32 v[3:4], s[24:25], v4, 24, v[3:4]
	v_mov_b32_e32 v8, v3
	global_load_dwordx2 v[3:4], v[7:8], off glc
	s_waitcnt vmcnt(0)
	global_atomic_cmpswap_x2 v[8:9], v2, v[3:6], s[6:7] offset:24 glc
	s_waitcnt vmcnt(0)
	buffer_wbinvl1_vol
	v_cmp_eq_u64_e32 vcc, v[8:9], v[5:6]
	s_or_b64 s[22:23], vcc, s[22:23]
	s_andn2_b64 exec, exec, s[22:23]
	s_cbranch_execnz .LBB6_378
; %bb.379:
	s_or_b64 exec, exec, s[22:23]
.LBB6_380:
	s_or_b64 exec, exec, s[20:21]
.LBB6_381:
	s_or_b64 exec, exec, s[18:19]
	s_waitcnt vmcnt(0)
	v_mov_b32_e32 v2, 0
	global_load_dwordx2 v[10:11], v2, s[6:7] offset:40
	global_load_dwordx4 v[4:7], v2, s[6:7]
	v_readfirstlane_b32 s18, v8
	v_readfirstlane_b32 s19, v9
	s_mov_b64 s[20:21], exec
	s_waitcnt vmcnt(1)
	v_readfirstlane_b32 s22, v10
	v_readfirstlane_b32 s23, v11
	s_and_b64 s[22:23], s[18:19], s[22:23]
	s_mul_i32 s15, s23, 24
	s_mul_hi_u32 s24, s22, 24
	s_mul_i32 s25, s22, 24
	s_add_i32 s15, s24, s15
	v_mov_b32_e32 v3, s15
	s_waitcnt vmcnt(0)
	v_add_co_u32_e32 v8, vcc, s25, v4
	v_addc_co_u32_e32 v9, vcc, v5, v3, vcc
	s_and_saveexec_b64 s[24:25], s[4:5]
	s_cbranch_execz .LBB6_383
; %bb.382:
	v_mov_b32_e32 v10, s20
	v_mov_b32_e32 v11, s21
	;; [unrolled: 1-line block ×4, first 2 shown]
	global_store_dwordx4 v[8:9], v[10:13], off offset:8
.LBB6_383:
	s_or_b64 exec, exec, s[24:25]
	s_lshl_b64 s[20:21], s[22:23], 12
	v_mov_b32_e32 v3, s21
	v_add_co_u32_e32 v10, vcc, s20, v6
	v_addc_co_u32_e32 v11, vcc, v7, v3, vcc
	s_movk_i32 s15, 0xff1f
	v_and_or_b32 v0, v0, s15, 32
	s_mov_b32 s20, 0
	v_mov_b32_e32 v3, v2
	v_readfirstlane_b32 s24, v10
	v_readfirstlane_b32 s25, v11
	v_add_co_u32_e32 v6, vcc, v10, v31
	s_mov_b32 s21, s20
	s_mov_b32 s22, s20
	;; [unrolled: 1-line block ×3, first 2 shown]
	s_nop 0
	global_store_dwordx4 v31, v[0:3], s[24:25]
	v_addc_co_u32_e32 v7, vcc, 0, v11, vcc
	v_mov_b32_e32 v0, s20
	v_mov_b32_e32 v1, s21
	;; [unrolled: 1-line block ×4, first 2 shown]
	global_store_dwordx4 v31, v[0:3], s[24:25] offset:16
	global_store_dwordx4 v31, v[0:3], s[24:25] offset:32
	;; [unrolled: 1-line block ×3, first 2 shown]
	s_and_saveexec_b64 s[20:21], s[4:5]
	s_cbranch_execz .LBB6_391
; %bb.384:
	v_mov_b32_e32 v10, 0
	global_load_dwordx2 v[13:14], v10, s[6:7] offset:32 glc
	global_load_dwordx2 v[0:1], v10, s[6:7] offset:40
	v_mov_b32_e32 v11, s18
	v_mov_b32_e32 v12, s19
	s_waitcnt vmcnt(0)
	v_readfirstlane_b32 s22, v0
	v_readfirstlane_b32 s23, v1
	s_and_b64 s[22:23], s[22:23], s[18:19]
	s_mul_i32 s15, s23, 24
	s_mul_hi_u32 s23, s22, 24
	s_mul_i32 s22, s22, 24
	s_add_i32 s15, s23, s15
	v_mov_b32_e32 v0, s15
	v_add_co_u32_e32 v4, vcc, s22, v4
	v_addc_co_u32_e32 v5, vcc, v5, v0, vcc
	global_store_dwordx2 v[4:5], v[13:14], off
	s_waitcnt vmcnt(0)
	global_atomic_cmpswap_x2 v[2:3], v10, v[11:14], s[6:7] offset:32 glc
	s_waitcnt vmcnt(0)
	v_cmp_ne_u64_e32 vcc, v[2:3], v[13:14]
	s_and_saveexec_b64 s[22:23], vcc
	s_cbranch_execz .LBB6_387
; %bb.385:
	s_mov_b64 s[24:25], 0
.LBB6_386:                              ; =>This Inner Loop Header: Depth=1
	s_sleep 1
	global_store_dwordx2 v[4:5], v[2:3], off
	v_mov_b32_e32 v0, s18
	v_mov_b32_e32 v1, s19
	s_waitcnt vmcnt(0)
	global_atomic_cmpswap_x2 v[0:1], v10, v[0:3], s[6:7] offset:32 glc
	s_waitcnt vmcnt(0)
	v_cmp_eq_u64_e32 vcc, v[0:1], v[2:3]
	v_mov_b32_e32 v3, v1
	s_or_b64 s[24:25], vcc, s[24:25]
	v_mov_b32_e32 v2, v0
	s_andn2_b64 exec, exec, s[24:25]
	s_cbranch_execnz .LBB6_386
.LBB6_387:
	s_or_b64 exec, exec, s[22:23]
	v_mov_b32_e32 v3, 0
	global_load_dwordx2 v[0:1], v3, s[6:7] offset:16
	s_mov_b64 s[22:23], exec
	v_mbcnt_lo_u32_b32 v2, s22, 0
	v_mbcnt_hi_u32_b32 v2, s23, v2
	v_cmp_eq_u32_e32 vcc, 0, v2
	s_and_saveexec_b64 s[24:25], vcc
	s_cbranch_execz .LBB6_389
; %bb.388:
	s_bcnt1_i32_b64 s15, s[22:23]
	v_mov_b32_e32 v2, s15
	s_waitcnt vmcnt(0)
	global_atomic_add_x2 v[0:1], v[2:3], off offset:8
.LBB6_389:
	s_or_b64 exec, exec, s[24:25]
	s_waitcnt vmcnt(0)
	global_load_dwordx2 v[2:3], v[0:1], off offset:16
	s_waitcnt vmcnt(0)
	v_cmp_eq_u64_e32 vcc, 0, v[2:3]
	s_cbranch_vccnz .LBB6_391
; %bb.390:
	global_load_dword v0, v[0:1], off offset:24
	v_mov_b32_e32 v1, 0
	s_waitcnt vmcnt(0)
	global_store_dwordx2 v[2:3], v[0:1], off
	v_and_b32_e32 v0, 0xffffff, v0
	v_readfirstlane_b32 m0, v0
	s_sendmsg sendmsg(MSG_INTERRUPT)
.LBB6_391:
	s_or_b64 exec, exec, s[20:21]
	s_branch .LBB6_395
.LBB6_392:                              ;   in Loop: Header=BB6_395 Depth=1
	s_or_b64 exec, exec, s[20:21]
	v_readfirstlane_b32 s15, v0
	s_cmp_eq_u32 s15, 0
	s_cbranch_scc1 .LBB6_394
; %bb.393:                              ;   in Loop: Header=BB6_395 Depth=1
	s_sleep 1
	s_cbranch_execnz .LBB6_395
	s_branch .LBB6_397
.LBB6_394:
	s_branch .LBB6_397
.LBB6_395:                              ; =>This Inner Loop Header: Depth=1
	v_mov_b32_e32 v0, 1
	s_and_saveexec_b64 s[20:21], s[4:5]
	s_cbranch_execz .LBB6_392
; %bb.396:                              ;   in Loop: Header=BB6_395 Depth=1
	global_load_dword v0, v[8:9], off offset:20 glc
	s_waitcnt vmcnt(0)
	buffer_wbinvl1_vol
	v_and_b32_e32 v0, 1, v0
	s_branch .LBB6_392
.LBB6_397:
	global_load_dwordx2 v[2:3], v[6:7], off
	s_and_saveexec_b64 s[20:21], s[4:5]
	s_cbranch_execz .LBB6_400
; %bb.398:
	v_mov_b32_e32 v8, 0
	global_load_dwordx2 v[0:1], v8, s[6:7] offset:40
	global_load_dwordx2 v[9:10], v8, s[6:7] offset:24 glc
	global_load_dwordx2 v[11:12], v8, s[6:7]
	v_mov_b32_e32 v5, s19
	s_mov_b64 s[4:5], 0
	s_waitcnt vmcnt(2)
	v_add_co_u32_e32 v6, vcc, 1, v0
	v_addc_co_u32_e32 v7, vcc, 0, v1, vcc
	v_add_co_u32_e32 v4, vcc, s18, v6
	v_addc_co_u32_e32 v5, vcc, v7, v5, vcc
	v_cmp_eq_u64_e32 vcc, 0, v[4:5]
	v_cndmask_b32_e32 v5, v5, v7, vcc
	v_cndmask_b32_e32 v4, v4, v6, vcc
	v_and_b32_e32 v1, v5, v1
	v_and_b32_e32 v0, v4, v0
	v_mul_lo_u32 v1, v1, 24
	v_mul_hi_u32 v7, v0, 24
	v_mul_lo_u32 v0, v0, 24
	s_waitcnt vmcnt(1)
	v_mov_b32_e32 v6, v9
	v_add_u32_e32 v1, v7, v1
	s_waitcnt vmcnt(0)
	v_add_co_u32_e32 v0, vcc, v11, v0
	v_addc_co_u32_e32 v1, vcc, v12, v1, vcc
	global_store_dwordx2 v[0:1], v[9:10], off
	v_mov_b32_e32 v7, v10
	s_waitcnt vmcnt(0)
	global_atomic_cmpswap_x2 v[6:7], v8, v[4:7], s[6:7] offset:24 glc
	s_waitcnt vmcnt(0)
	v_cmp_ne_u64_e32 vcc, v[6:7], v[9:10]
	s_and_b64 exec, exec, vcc
	s_cbranch_execz .LBB6_400
.LBB6_399:                              ; =>This Inner Loop Header: Depth=1
	s_sleep 1
	global_store_dwordx2 v[0:1], v[6:7], off
	s_waitcnt vmcnt(0)
	global_atomic_cmpswap_x2 v[9:10], v8, v[4:7], s[6:7] offset:24 glc
	s_waitcnt vmcnt(0)
	v_cmp_eq_u64_e32 vcc, v[9:10], v[6:7]
	v_mov_b32_e32 v6, v9
	s_or_b64 s[4:5], vcc, s[4:5]
	v_mov_b32_e32 v7, v10
	s_andn2_b64 exec, exec, s[4:5]
	s_cbranch_execnz .LBB6_399
.LBB6_400:
	s_or_b64 exec, exec, s[20:21]
.LBB6_401:
	v_readfirstlane_b32 s4, v32
	s_waitcnt vmcnt(0)
	v_mov_b32_e32 v0, 0
	v_mov_b32_e32 v1, 0
	v_cmp_eq_u32_e64 s[4:5], s4, v32
	s_and_saveexec_b64 s[18:19], s[4:5]
	s_cbranch_execz .LBB6_407
; %bb.402:
	v_mov_b32_e32 v4, 0
	global_load_dwordx2 v[7:8], v4, s[6:7] offset:24 glc
	s_waitcnt vmcnt(0)
	buffer_wbinvl1_vol
	global_load_dwordx2 v[0:1], v4, s[6:7] offset:40
	global_load_dwordx2 v[5:6], v4, s[6:7]
	s_waitcnt vmcnt(1)
	v_and_b32_e32 v0, v0, v7
	v_and_b32_e32 v1, v1, v8
	v_mul_lo_u32 v1, v1, 24
	v_mul_hi_u32 v9, v0, 24
	v_mul_lo_u32 v0, v0, 24
	v_add_u32_e32 v1, v9, v1
	s_waitcnt vmcnt(0)
	v_add_co_u32_e32 v0, vcc, v5, v0
	v_addc_co_u32_e32 v1, vcc, v6, v1, vcc
	global_load_dwordx2 v[5:6], v[0:1], off glc
	s_waitcnt vmcnt(0)
	global_atomic_cmpswap_x2 v[0:1], v4, v[5:8], s[6:7] offset:24 glc
	s_waitcnt vmcnt(0)
	buffer_wbinvl1_vol
	v_cmp_ne_u64_e32 vcc, v[0:1], v[7:8]
	s_and_saveexec_b64 s[20:21], vcc
	s_cbranch_execz .LBB6_406
; %bb.403:
	s_mov_b64 s[22:23], 0
.LBB6_404:                              ; =>This Inner Loop Header: Depth=1
	s_sleep 1
	global_load_dwordx2 v[5:6], v4, s[6:7] offset:40
	global_load_dwordx2 v[9:10], v4, s[6:7]
	v_mov_b32_e32 v8, v1
	v_mov_b32_e32 v7, v0
	s_waitcnt vmcnt(1)
	v_and_b32_e32 v0, v5, v7
	s_waitcnt vmcnt(0)
	v_mad_u64_u32 v[0:1], s[24:25], v0, 24, v[9:10]
	v_and_b32_e32 v5, v6, v8
	v_mad_u64_u32 v[5:6], s[24:25], v5, 24, v[1:2]
	v_mov_b32_e32 v1, v5
	global_load_dwordx2 v[5:6], v[0:1], off glc
	s_waitcnt vmcnt(0)
	global_atomic_cmpswap_x2 v[0:1], v4, v[5:8], s[6:7] offset:24 glc
	s_waitcnt vmcnt(0)
	buffer_wbinvl1_vol
	v_cmp_eq_u64_e32 vcc, v[0:1], v[7:8]
	s_or_b64 s[22:23], vcc, s[22:23]
	s_andn2_b64 exec, exec, s[22:23]
	s_cbranch_execnz .LBB6_404
; %bb.405:
	s_or_b64 exec, exec, s[22:23]
.LBB6_406:
	s_or_b64 exec, exec, s[20:21]
.LBB6_407:
	s_or_b64 exec, exec, s[18:19]
	v_mov_b32_e32 v5, 0
	global_load_dwordx2 v[10:11], v5, s[6:7] offset:40
	global_load_dwordx4 v[6:9], v5, s[6:7]
	v_readfirstlane_b32 s18, v0
	v_readfirstlane_b32 s19, v1
	s_mov_b64 s[20:21], exec
	s_waitcnt vmcnt(1)
	v_readfirstlane_b32 s22, v10
	v_readfirstlane_b32 s23, v11
	s_and_b64 s[22:23], s[18:19], s[22:23]
	s_mul_i32 s15, s23, 24
	s_mul_hi_u32 s24, s22, 24
	s_mul_i32 s25, s22, 24
	s_add_i32 s15, s24, s15
	v_mov_b32_e32 v0, s15
	s_waitcnt vmcnt(0)
	v_add_co_u32_e32 v10, vcc, s25, v6
	v_addc_co_u32_e32 v11, vcc, v7, v0, vcc
	s_and_saveexec_b64 s[24:25], s[4:5]
	s_cbranch_execz .LBB6_409
; %bb.408:
	v_mov_b32_e32 v12, s20
	v_mov_b32_e32 v13, s21
	;; [unrolled: 1-line block ×4, first 2 shown]
	global_store_dwordx4 v[10:11], v[12:15], off offset:8
.LBB6_409:
	s_or_b64 exec, exec, s[24:25]
	s_lshl_b64 s[20:21], s[22:23], 12
	v_mov_b32_e32 v0, s21
	v_add_co_u32_e32 v1, vcc, s20, v8
	v_addc_co_u32_e32 v0, vcc, v9, v0, vcc
	s_movk_i32 s15, 0xff1d
	v_and_or_b32 v2, v2, s15, 34
	s_mov_b32 s20, 0
	v_mov_b32_e32 v4, 10
	v_readfirstlane_b32 s24, v1
	v_readfirstlane_b32 s25, v0
	s_mov_b32 s21, s20
	s_mov_b32 s22, s20
	s_mov_b32 s23, s20
	s_nop 1
	global_store_dwordx4 v31, v[2:5], s[24:25]
	v_mov_b32_e32 v0, s20
	v_mov_b32_e32 v1, s21
	;; [unrolled: 1-line block ×4, first 2 shown]
	global_store_dwordx4 v31, v[0:3], s[24:25] offset:16
	global_store_dwordx4 v31, v[0:3], s[24:25] offset:32
	;; [unrolled: 1-line block ×3, first 2 shown]
	s_and_saveexec_b64 s[20:21], s[4:5]
	s_cbranch_execz .LBB6_417
; %bb.410:
	v_mov_b32_e32 v8, 0
	global_load_dwordx2 v[14:15], v8, s[6:7] offset:32 glc
	global_load_dwordx2 v[0:1], v8, s[6:7] offset:40
	v_mov_b32_e32 v12, s18
	v_mov_b32_e32 v13, s19
	s_waitcnt vmcnt(0)
	v_readfirstlane_b32 s22, v0
	v_readfirstlane_b32 s23, v1
	s_and_b64 s[22:23], s[22:23], s[18:19]
	s_mul_i32 s15, s23, 24
	s_mul_hi_u32 s23, s22, 24
	s_mul_i32 s22, s22, 24
	s_add_i32 s15, s23, s15
	v_mov_b32_e32 v0, s15
	v_add_co_u32_e32 v4, vcc, s22, v6
	v_addc_co_u32_e32 v5, vcc, v7, v0, vcc
	global_store_dwordx2 v[4:5], v[14:15], off
	s_waitcnt vmcnt(0)
	global_atomic_cmpswap_x2 v[2:3], v8, v[12:15], s[6:7] offset:32 glc
	s_waitcnt vmcnt(0)
	v_cmp_ne_u64_e32 vcc, v[2:3], v[14:15]
	s_and_saveexec_b64 s[22:23], vcc
	s_cbranch_execz .LBB6_413
; %bb.411:
	s_mov_b64 s[24:25], 0
.LBB6_412:                              ; =>This Inner Loop Header: Depth=1
	s_sleep 1
	global_store_dwordx2 v[4:5], v[2:3], off
	v_mov_b32_e32 v0, s18
	v_mov_b32_e32 v1, s19
	s_waitcnt vmcnt(0)
	global_atomic_cmpswap_x2 v[0:1], v8, v[0:3], s[6:7] offset:32 glc
	s_waitcnt vmcnt(0)
	v_cmp_eq_u64_e32 vcc, v[0:1], v[2:3]
	v_mov_b32_e32 v3, v1
	s_or_b64 s[24:25], vcc, s[24:25]
	v_mov_b32_e32 v2, v0
	s_andn2_b64 exec, exec, s[24:25]
	s_cbranch_execnz .LBB6_412
.LBB6_413:
	s_or_b64 exec, exec, s[22:23]
	v_mov_b32_e32 v3, 0
	global_load_dwordx2 v[0:1], v3, s[6:7] offset:16
	s_mov_b64 s[22:23], exec
	v_mbcnt_lo_u32_b32 v2, s22, 0
	v_mbcnt_hi_u32_b32 v2, s23, v2
	v_cmp_eq_u32_e32 vcc, 0, v2
	s_and_saveexec_b64 s[24:25], vcc
	s_cbranch_execz .LBB6_415
; %bb.414:
	s_bcnt1_i32_b64 s15, s[22:23]
	v_mov_b32_e32 v2, s15
	s_waitcnt vmcnt(0)
	global_atomic_add_x2 v[0:1], v[2:3], off offset:8
.LBB6_415:
	s_or_b64 exec, exec, s[24:25]
	s_waitcnt vmcnt(0)
	global_load_dwordx2 v[2:3], v[0:1], off offset:16
	s_waitcnt vmcnt(0)
	v_cmp_eq_u64_e32 vcc, 0, v[2:3]
	s_cbranch_vccnz .LBB6_417
; %bb.416:
	global_load_dword v0, v[0:1], off offset:24
	v_mov_b32_e32 v1, 0
	s_waitcnt vmcnt(0)
	global_store_dwordx2 v[2:3], v[0:1], off
	v_and_b32_e32 v0, 0xffffff, v0
	v_readfirstlane_b32 m0, v0
	s_sendmsg sendmsg(MSG_INTERRUPT)
.LBB6_417:
	s_or_b64 exec, exec, s[20:21]
	s_branch .LBB6_421
.LBB6_418:                              ;   in Loop: Header=BB6_421 Depth=1
	s_or_b64 exec, exec, s[20:21]
	v_readfirstlane_b32 s15, v0
	s_cmp_eq_u32 s15, 0
	s_cbranch_scc1 .LBB6_420
; %bb.419:                              ;   in Loop: Header=BB6_421 Depth=1
	s_sleep 1
	s_cbranch_execnz .LBB6_421
	s_branch .LBB6_423
.LBB6_420:
	s_branch .LBB6_423
.LBB6_421:                              ; =>This Inner Loop Header: Depth=1
	v_mov_b32_e32 v0, 1
	s_and_saveexec_b64 s[20:21], s[4:5]
	s_cbranch_execz .LBB6_418
; %bb.422:                              ;   in Loop: Header=BB6_421 Depth=1
	global_load_dword v0, v[10:11], off offset:20 glc
	s_waitcnt vmcnt(0)
	buffer_wbinvl1_vol
	v_and_b32_e32 v0, 1, v0
	s_branch .LBB6_418
.LBB6_423:
	s_and_saveexec_b64 s[20:21], s[4:5]
	s_cbranch_execz .LBB6_426
; %bb.424:
	v_mov_b32_e32 v6, 0
	global_load_dwordx2 v[2:3], v6, s[6:7] offset:40
	global_load_dwordx2 v[7:8], v6, s[6:7] offset:24 glc
	global_load_dwordx2 v[4:5], v6, s[6:7]
	v_mov_b32_e32 v1, s19
	s_mov_b64 s[4:5], 0
	s_waitcnt vmcnt(2)
	v_add_co_u32_e32 v9, vcc, 1, v2
	v_addc_co_u32_e32 v10, vcc, 0, v3, vcc
	v_add_co_u32_e32 v0, vcc, s18, v9
	v_addc_co_u32_e32 v1, vcc, v10, v1, vcc
	v_cmp_eq_u64_e32 vcc, 0, v[0:1]
	v_cndmask_b32_e32 v1, v1, v10, vcc
	v_cndmask_b32_e32 v0, v0, v9, vcc
	v_and_b32_e32 v3, v1, v3
	v_and_b32_e32 v2, v0, v2
	v_mul_lo_u32 v3, v3, 24
	v_mul_hi_u32 v9, v2, 24
	v_mul_lo_u32 v10, v2, 24
	s_waitcnt vmcnt(1)
	v_mov_b32_e32 v2, v7
	v_add_u32_e32 v3, v9, v3
	s_waitcnt vmcnt(0)
	v_add_co_u32_e32 v4, vcc, v4, v10
	v_addc_co_u32_e32 v5, vcc, v5, v3, vcc
	global_store_dwordx2 v[4:5], v[7:8], off
	v_mov_b32_e32 v3, v8
	s_waitcnt vmcnt(0)
	global_atomic_cmpswap_x2 v[2:3], v6, v[0:3], s[6:7] offset:24 glc
	s_waitcnt vmcnt(0)
	v_cmp_ne_u64_e32 vcc, v[2:3], v[7:8]
	s_and_b64 exec, exec, vcc
	s_cbranch_execz .LBB6_426
.LBB6_425:                              ; =>This Inner Loop Header: Depth=1
	s_sleep 1
	global_store_dwordx2 v[4:5], v[2:3], off
	s_waitcnt vmcnt(0)
	global_atomic_cmpswap_x2 v[7:8], v6, v[0:3], s[6:7] offset:24 glc
	s_waitcnt vmcnt(0)
	v_cmp_eq_u64_e32 vcc, v[7:8], v[2:3]
	v_mov_b32_e32 v2, v7
	s_or_b64 s[4:5], vcc, s[4:5]
	v_mov_b32_e32 v3, v8
	s_andn2_b64 exec, exec, s[4:5]
	s_cbranch_execnz .LBB6_425
.LBB6_426:
	s_or_b64 exec, exec, s[20:21]
	v_readfirstlane_b32 s4, v32
	v_mov_b32_e32 v5, 0
	v_mov_b32_e32 v6, 0
	v_cmp_eq_u32_e64 s[4:5], s4, v32
	s_and_saveexec_b64 s[18:19], s[4:5]
	s_cbranch_execz .LBB6_432
; %bb.427:
	v_mov_b32_e32 v0, 0
	global_load_dwordx2 v[3:4], v0, s[6:7] offset:24 glc
	s_waitcnt vmcnt(0)
	buffer_wbinvl1_vol
	global_load_dwordx2 v[1:2], v0, s[6:7] offset:40
	global_load_dwordx2 v[5:6], v0, s[6:7]
	s_waitcnt vmcnt(1)
	v_and_b32_e32 v1, v1, v3
	v_and_b32_e32 v2, v2, v4
	v_mul_lo_u32 v2, v2, 24
	v_mul_hi_u32 v7, v1, 24
	v_mul_lo_u32 v1, v1, 24
	v_add_u32_e32 v2, v7, v2
	s_waitcnt vmcnt(0)
	v_add_co_u32_e32 v1, vcc, v5, v1
	v_addc_co_u32_e32 v2, vcc, v6, v2, vcc
	global_load_dwordx2 v[1:2], v[1:2], off glc
	s_waitcnt vmcnt(0)
	global_atomic_cmpswap_x2 v[5:6], v0, v[1:4], s[6:7] offset:24 glc
	s_waitcnt vmcnt(0)
	buffer_wbinvl1_vol
	v_cmp_ne_u64_e32 vcc, v[5:6], v[3:4]
	s_and_saveexec_b64 s[20:21], vcc
	s_cbranch_execz .LBB6_431
; %bb.428:
	s_mov_b64 s[22:23], 0
.LBB6_429:                              ; =>This Inner Loop Header: Depth=1
	s_sleep 1
	global_load_dwordx2 v[1:2], v0, s[6:7] offset:40
	global_load_dwordx2 v[7:8], v0, s[6:7]
	v_mov_b32_e32 v3, v5
	v_mov_b32_e32 v4, v6
	s_waitcnt vmcnt(1)
	v_and_b32_e32 v1, v1, v3
	s_waitcnt vmcnt(0)
	v_mad_u64_u32 v[5:6], s[24:25], v1, 24, v[7:8]
	v_and_b32_e32 v2, v2, v4
	v_mov_b32_e32 v1, v6
	v_mad_u64_u32 v[1:2], s[24:25], v2, 24, v[1:2]
	v_mov_b32_e32 v6, v1
	global_load_dwordx2 v[1:2], v[5:6], off glc
	s_waitcnt vmcnt(0)
	global_atomic_cmpswap_x2 v[5:6], v0, v[1:4], s[6:7] offset:24 glc
	s_waitcnt vmcnt(0)
	buffer_wbinvl1_vol
	v_cmp_eq_u64_e32 vcc, v[5:6], v[3:4]
	s_or_b64 s[22:23], vcc, s[22:23]
	s_andn2_b64 exec, exec, s[22:23]
	s_cbranch_execnz .LBB6_429
; %bb.430:
	s_or_b64 exec, exec, s[22:23]
.LBB6_431:
	s_or_b64 exec, exec, s[20:21]
.LBB6_432:
	s_or_b64 exec, exec, s[18:19]
	v_mov_b32_e32 v4, 0
	global_load_dwordx2 v[7:8], v4, s[6:7] offset:40
	global_load_dwordx4 v[0:3], v4, s[6:7]
	v_readfirstlane_b32 s18, v5
	v_readfirstlane_b32 s19, v6
	s_mov_b64 s[20:21], exec
	s_waitcnt vmcnt(1)
	v_readfirstlane_b32 s22, v7
	v_readfirstlane_b32 s23, v8
	s_and_b64 s[22:23], s[18:19], s[22:23]
	s_mul_i32 s15, s23, 24
	s_mul_hi_u32 s24, s22, 24
	s_mul_i32 s25, s22, 24
	s_add_i32 s15, s24, s15
	v_mov_b32_e32 v5, s15
	s_waitcnt vmcnt(0)
	v_add_co_u32_e32 v7, vcc, s25, v0
	v_addc_co_u32_e32 v8, vcc, v1, v5, vcc
	s_and_saveexec_b64 s[24:25], s[4:5]
	s_cbranch_execz .LBB6_434
; %bb.433:
	v_mov_b32_e32 v9, s20
	v_mov_b32_e32 v10, s21
	;; [unrolled: 1-line block ×4, first 2 shown]
	global_store_dwordx4 v[7:8], v[9:12], off offset:8
.LBB6_434:
	s_or_b64 exec, exec, s[24:25]
	s_lshl_b64 s[20:21], s[22:23], 12
	v_mov_b32_e32 v5, s21
	v_add_co_u32_e32 v2, vcc, s20, v2
	v_addc_co_u32_e32 v11, vcc, v3, v5, vcc
	s_mov_b32 s20, 0
	v_mov_b32_e32 v3, 33
	v_mov_b32_e32 v5, v4
	;; [unrolled: 1-line block ×3, first 2 shown]
	v_readfirstlane_b32 s24, v2
	v_readfirstlane_b32 s25, v11
	v_add_co_u32_e32 v9, vcc, v2, v31
	s_mov_b32 s21, s20
	s_mov_b32 s22, s20
	;; [unrolled: 1-line block ×3, first 2 shown]
	s_nop 0
	global_store_dwordx4 v31, v[3:6], s[24:25]
	v_mov_b32_e32 v2, s20
	v_addc_co_u32_e32 v10, vcc, 0, v11, vcc
	v_mov_b32_e32 v3, s21
	v_mov_b32_e32 v4, s22
	;; [unrolled: 1-line block ×3, first 2 shown]
	global_store_dwordx4 v31, v[2:5], s[24:25] offset:16
	global_store_dwordx4 v31, v[2:5], s[24:25] offset:32
	;; [unrolled: 1-line block ×3, first 2 shown]
	s_and_saveexec_b64 s[20:21], s[4:5]
	s_cbranch_execz .LBB6_442
; %bb.435:
	v_mov_b32_e32 v6, 0
	global_load_dwordx2 v[13:14], v6, s[6:7] offset:32 glc
	global_load_dwordx2 v[2:3], v6, s[6:7] offset:40
	v_mov_b32_e32 v11, s18
	v_mov_b32_e32 v12, s19
	s_waitcnt vmcnt(0)
	v_readfirstlane_b32 s22, v2
	v_readfirstlane_b32 s23, v3
	s_and_b64 s[22:23], s[22:23], s[18:19]
	s_mul_i32 s15, s23, 24
	s_mul_hi_u32 s23, s22, 24
	s_mul_i32 s22, s22, 24
	s_add_i32 s15, s23, s15
	v_mov_b32_e32 v2, s15
	v_add_co_u32_e32 v4, vcc, s22, v0
	v_addc_co_u32_e32 v5, vcc, v1, v2, vcc
	global_store_dwordx2 v[4:5], v[13:14], off
	s_waitcnt vmcnt(0)
	global_atomic_cmpswap_x2 v[2:3], v6, v[11:14], s[6:7] offset:32 glc
	s_waitcnt vmcnt(0)
	v_cmp_ne_u64_e32 vcc, v[2:3], v[13:14]
	s_and_saveexec_b64 s[22:23], vcc
	s_cbranch_execz .LBB6_438
; %bb.436:
	s_mov_b64 s[24:25], 0
.LBB6_437:                              ; =>This Inner Loop Header: Depth=1
	s_sleep 1
	global_store_dwordx2 v[4:5], v[2:3], off
	v_mov_b32_e32 v0, s18
	v_mov_b32_e32 v1, s19
	s_waitcnt vmcnt(0)
	global_atomic_cmpswap_x2 v[0:1], v6, v[0:3], s[6:7] offset:32 glc
	s_waitcnt vmcnt(0)
	v_cmp_eq_u64_e32 vcc, v[0:1], v[2:3]
	v_mov_b32_e32 v3, v1
	s_or_b64 s[24:25], vcc, s[24:25]
	v_mov_b32_e32 v2, v0
	s_andn2_b64 exec, exec, s[24:25]
	s_cbranch_execnz .LBB6_437
.LBB6_438:
	s_or_b64 exec, exec, s[22:23]
	v_mov_b32_e32 v3, 0
	global_load_dwordx2 v[0:1], v3, s[6:7] offset:16
	s_mov_b64 s[22:23], exec
	v_mbcnt_lo_u32_b32 v2, s22, 0
	v_mbcnt_hi_u32_b32 v2, s23, v2
	v_cmp_eq_u32_e32 vcc, 0, v2
	s_and_saveexec_b64 s[24:25], vcc
	s_cbranch_execz .LBB6_440
; %bb.439:
	s_bcnt1_i32_b64 s15, s[22:23]
	v_mov_b32_e32 v2, s15
	s_waitcnt vmcnt(0)
	global_atomic_add_x2 v[0:1], v[2:3], off offset:8
.LBB6_440:
	s_or_b64 exec, exec, s[24:25]
	s_waitcnt vmcnt(0)
	global_load_dwordx2 v[2:3], v[0:1], off offset:16
	s_waitcnt vmcnt(0)
	v_cmp_eq_u64_e32 vcc, 0, v[2:3]
	s_cbranch_vccnz .LBB6_442
; %bb.441:
	global_load_dword v0, v[0:1], off offset:24
	v_mov_b32_e32 v1, 0
	s_waitcnt vmcnt(0)
	global_store_dwordx2 v[2:3], v[0:1], off
	v_and_b32_e32 v0, 0xffffff, v0
	v_readfirstlane_b32 m0, v0
	s_sendmsg sendmsg(MSG_INTERRUPT)
.LBB6_442:
	s_or_b64 exec, exec, s[20:21]
	s_branch .LBB6_446
.LBB6_443:                              ;   in Loop: Header=BB6_446 Depth=1
	s_or_b64 exec, exec, s[20:21]
	v_readfirstlane_b32 s15, v0
	s_cmp_eq_u32 s15, 0
	s_cbranch_scc1 .LBB6_445
; %bb.444:                              ;   in Loop: Header=BB6_446 Depth=1
	s_sleep 1
	s_cbranch_execnz .LBB6_446
	s_branch .LBB6_448
.LBB6_445:
	s_branch .LBB6_448
.LBB6_446:                              ; =>This Inner Loop Header: Depth=1
	v_mov_b32_e32 v0, 1
	s_and_saveexec_b64 s[20:21], s[4:5]
	s_cbranch_execz .LBB6_443
; %bb.447:                              ;   in Loop: Header=BB6_446 Depth=1
	global_load_dword v0, v[7:8], off offset:20 glc
	s_waitcnt vmcnt(0)
	buffer_wbinvl1_vol
	v_and_b32_e32 v0, 1, v0
	s_branch .LBB6_443
.LBB6_448:
	global_load_dwordx2 v[4:5], v[9:10], off
	s_and_saveexec_b64 s[20:21], s[4:5]
	s_cbranch_execz .LBB6_451
; %bb.449:
	v_mov_b32_e32 v8, 0
	global_load_dwordx2 v[2:3], v8, s[6:7] offset:40
	global_load_dwordx2 v[9:10], v8, s[6:7] offset:24 glc
	global_load_dwordx2 v[6:7], v8, s[6:7]
	v_mov_b32_e32 v1, s19
	s_mov_b64 s[4:5], 0
	s_waitcnt vmcnt(2)
	v_add_co_u32_e32 v11, vcc, 1, v2
	v_addc_co_u32_e32 v12, vcc, 0, v3, vcc
	v_add_co_u32_e32 v0, vcc, s18, v11
	v_addc_co_u32_e32 v1, vcc, v12, v1, vcc
	v_cmp_eq_u64_e32 vcc, 0, v[0:1]
	v_cndmask_b32_e32 v1, v1, v12, vcc
	v_cndmask_b32_e32 v0, v0, v11, vcc
	v_and_b32_e32 v3, v1, v3
	v_and_b32_e32 v2, v0, v2
	v_mul_lo_u32 v3, v3, 24
	v_mul_hi_u32 v11, v2, 24
	v_mul_lo_u32 v12, v2, 24
	s_waitcnt vmcnt(1)
	v_mov_b32_e32 v2, v9
	v_add_u32_e32 v3, v11, v3
	s_waitcnt vmcnt(0)
	v_add_co_u32_e32 v6, vcc, v6, v12
	v_addc_co_u32_e32 v7, vcc, v7, v3, vcc
	global_store_dwordx2 v[6:7], v[9:10], off
	v_mov_b32_e32 v3, v10
	s_waitcnt vmcnt(0)
	global_atomic_cmpswap_x2 v[2:3], v8, v[0:3], s[6:7] offset:24 glc
	s_waitcnt vmcnt(0)
	v_cmp_ne_u64_e32 vcc, v[2:3], v[9:10]
	s_and_b64 exec, exec, vcc
	s_cbranch_execz .LBB6_451
.LBB6_450:                              ; =>This Inner Loop Header: Depth=1
	s_sleep 1
	global_store_dwordx2 v[6:7], v[2:3], off
	s_waitcnt vmcnt(0)
	global_atomic_cmpswap_x2 v[9:10], v8, v[0:3], s[6:7] offset:24 glc
	s_waitcnt vmcnt(0)
	v_cmp_eq_u64_e32 vcc, v[9:10], v[2:3]
	v_mov_b32_e32 v2, v9
	s_or_b64 s[4:5], vcc, s[4:5]
	v_mov_b32_e32 v3, v10
	s_andn2_b64 exec, exec, s[4:5]
	s_cbranch_execnz .LBB6_450
.LBB6_451:
	s_or_b64 exec, exec, s[20:21]
	s_and_b64 vcc, exec, s[10:11]
	s_cbranch_vccz .LBB6_536
; %bb.452:
	s_waitcnt vmcnt(0)
	v_and_b32_e32 v29, 2, v4
	v_mov_b32_e32 v26, 0
	v_and_b32_e32 v0, -3, v4
	v_mov_b32_e32 v1, v5
	s_mov_b64 s[20:21], 3
	v_mov_b32_e32 v8, 2
	v_mov_b32_e32 v9, 1
	s_getpc_b64 s[18:19]
	s_add_u32 s18, s18, .str.5@rel32@lo+4
	s_addc_u32 s19, s19, .str.5@rel32@hi+12
	s_branch .LBB6_454
.LBB6_453:                              ;   in Loop: Header=BB6_454 Depth=1
	s_or_b64 exec, exec, s[26:27]
	s_sub_u32 s20, s20, s22
	s_subb_u32 s21, s21, s23
	s_add_u32 s18, s18, s22
	s_addc_u32 s19, s19, s23
	s_cmp_lg_u64 s[20:21], 0
	s_cbranch_scc0 .LBB6_535
.LBB6_454:                              ; =>This Loop Header: Depth=1
                                        ;     Child Loop BB6_457 Depth 2
                                        ;     Child Loop BB6_464 Depth 2
	;; [unrolled: 1-line block ×11, first 2 shown]
	v_cmp_lt_u64_e64 s[4:5], s[20:21], 56
	v_cmp_gt_u64_e64 s[24:25], s[20:21], 7
	s_and_b64 s[4:5], s[4:5], exec
	s_cselect_b32 s23, s21, 0
	s_cselect_b32 s22, s20, 56
	s_and_b64 vcc, exec, s[24:25]
	s_cbranch_vccnz .LBB6_459
; %bb.455:                              ;   in Loop: Header=BB6_454 Depth=1
	s_waitcnt vmcnt(0)
	v_mov_b32_e32 v2, 0
	s_cmp_eq_u64 s[20:21], 0
	v_mov_b32_e32 v3, 0
	s_mov_b64 s[4:5], 0
	s_cbranch_scc1 .LBB6_458
; %bb.456:                              ;   in Loop: Header=BB6_454 Depth=1
	v_mov_b32_e32 v2, 0
	s_lshl_b64 s[24:25], s[22:23], 3
	s_mov_b64 s[26:27], 0
	v_mov_b32_e32 v3, 0
	s_mov_b64 s[28:29], s[18:19]
.LBB6_457:                              ;   Parent Loop BB6_454 Depth=1
                                        ; =>  This Inner Loop Header: Depth=2
	global_load_ubyte v6, v26, s[28:29]
	s_waitcnt vmcnt(0)
	v_and_b32_e32 v25, 0xffff, v6
	v_lshlrev_b64 v[6:7], s26, v[25:26]
	s_add_u32 s26, s26, 8
	s_addc_u32 s27, s27, 0
	s_add_u32 s28, s28, 1
	s_addc_u32 s29, s29, 0
	v_or_b32_e32 v2, v6, v2
	s_cmp_lg_u32 s24, s26
	v_or_b32_e32 v3, v7, v3
	s_cbranch_scc1 .LBB6_457
.LBB6_458:                              ;   in Loop: Header=BB6_454 Depth=1
	s_mov_b32 s15, 0
	s_andn2_b64 vcc, exec, s[4:5]
	s_mov_b64 s[4:5], s[18:19]
	s_cbranch_vccz .LBB6_460
	s_branch .LBB6_461
.LBB6_459:                              ;   in Loop: Header=BB6_454 Depth=1
                                        ; implicit-def: $vgpr2_vgpr3
                                        ; implicit-def: $sgpr15
	s_mov_b64 s[4:5], s[18:19]
.LBB6_460:                              ;   in Loop: Header=BB6_454 Depth=1
	global_load_dwordx2 v[2:3], v26, s[18:19]
	s_add_i32 s15, s22, -8
	s_add_u32 s4, s18, 8
	s_addc_u32 s5, s19, 0
.LBB6_461:                              ;   in Loop: Header=BB6_454 Depth=1
	s_cmp_gt_u32 s15, 7
	s_cbranch_scc1 .LBB6_465
; %bb.462:                              ;   in Loop: Header=BB6_454 Depth=1
	s_cmp_eq_u32 s15, 0
	s_cbranch_scc1 .LBB6_466
; %bb.463:                              ;   in Loop: Header=BB6_454 Depth=1
	v_mov_b32_e32 v10, 0
	s_mov_b64 s[24:25], 0
	v_mov_b32_e32 v11, 0
	s_mov_b64 s[26:27], 0
.LBB6_464:                              ;   Parent Loop BB6_454 Depth=1
                                        ; =>  This Inner Loop Header: Depth=2
	s_add_u32 s28, s4, s26
	s_addc_u32 s29, s5, s27
	global_load_ubyte v6, v26, s[28:29]
	s_add_u32 s26, s26, 1
	s_addc_u32 s27, s27, 0
	s_waitcnt vmcnt(0)
	v_and_b32_e32 v25, 0xffff, v6
	v_lshlrev_b64 v[6:7], s24, v[25:26]
	s_add_u32 s24, s24, 8
	s_addc_u32 s25, s25, 0
	v_or_b32_e32 v10, v6, v10
	s_cmp_lg_u32 s15, s26
	v_or_b32_e32 v11, v7, v11
	s_cbranch_scc1 .LBB6_464
	s_branch .LBB6_467
.LBB6_465:                              ;   in Loop: Header=BB6_454 Depth=1
                                        ; implicit-def: $vgpr10_vgpr11
                                        ; implicit-def: $sgpr28
	s_branch .LBB6_468
.LBB6_466:                              ;   in Loop: Header=BB6_454 Depth=1
	v_mov_b32_e32 v10, 0
	v_mov_b32_e32 v11, 0
.LBB6_467:                              ;   in Loop: Header=BB6_454 Depth=1
	s_mov_b32 s28, 0
	s_cbranch_execnz .LBB6_469
.LBB6_468:                              ;   in Loop: Header=BB6_454 Depth=1
	global_load_dwordx2 v[10:11], v26, s[4:5]
	s_add_i32 s28, s15, -8
	s_add_u32 s4, s4, 8
	s_addc_u32 s5, s5, 0
.LBB6_469:                              ;   in Loop: Header=BB6_454 Depth=1
	s_cmp_gt_u32 s28, 7
	s_cbranch_scc1 .LBB6_473
; %bb.470:                              ;   in Loop: Header=BB6_454 Depth=1
	s_cmp_eq_u32 s28, 0
	s_cbranch_scc1 .LBB6_474
; %bb.471:                              ;   in Loop: Header=BB6_454 Depth=1
	v_mov_b32_e32 v12, 0
	s_mov_b64 s[24:25], 0
	v_mov_b32_e32 v13, 0
	s_mov_b64 s[26:27], 0
.LBB6_472:                              ;   Parent Loop BB6_454 Depth=1
                                        ; =>  This Inner Loop Header: Depth=2
	s_add_u32 vcc_lo, s4, s26
	s_addc_u32 vcc_hi, s5, s27
	global_load_ubyte v6, v26, vcc
	s_add_u32 s26, s26, 1
	s_addc_u32 s27, s27, 0
	s_waitcnt vmcnt(0)
	v_and_b32_e32 v25, 0xffff, v6
	v_lshlrev_b64 v[6:7], s24, v[25:26]
	s_add_u32 s24, s24, 8
	s_addc_u32 s25, s25, 0
	v_or_b32_e32 v12, v6, v12
	s_cmp_lg_u32 s28, s26
	v_or_b32_e32 v13, v7, v13
	s_cbranch_scc1 .LBB6_472
	s_branch .LBB6_475
.LBB6_473:                              ;   in Loop: Header=BB6_454 Depth=1
                                        ; implicit-def: $sgpr15
	s_branch .LBB6_476
.LBB6_474:                              ;   in Loop: Header=BB6_454 Depth=1
	v_mov_b32_e32 v12, 0
	v_mov_b32_e32 v13, 0
.LBB6_475:                              ;   in Loop: Header=BB6_454 Depth=1
	s_mov_b32 s15, 0
	s_cbranch_execnz .LBB6_477
.LBB6_476:                              ;   in Loop: Header=BB6_454 Depth=1
	global_load_dwordx2 v[12:13], v26, s[4:5]
	s_add_i32 s15, s28, -8
	s_add_u32 s4, s4, 8
	s_addc_u32 s5, s5, 0
.LBB6_477:                              ;   in Loop: Header=BB6_454 Depth=1
	s_cmp_gt_u32 s15, 7
	s_cbranch_scc1 .LBB6_481
; %bb.478:                              ;   in Loop: Header=BB6_454 Depth=1
	s_cmp_eq_u32 s15, 0
	s_cbranch_scc1 .LBB6_482
; %bb.479:                              ;   in Loop: Header=BB6_454 Depth=1
	v_mov_b32_e32 v14, 0
	s_mov_b64 s[24:25], 0
	v_mov_b32_e32 v15, 0
	s_mov_b64 s[26:27], 0
.LBB6_480:                              ;   Parent Loop BB6_454 Depth=1
                                        ; =>  This Inner Loop Header: Depth=2
	s_add_u32 s28, s4, s26
	s_addc_u32 s29, s5, s27
	global_load_ubyte v6, v26, s[28:29]
	s_add_u32 s26, s26, 1
	s_addc_u32 s27, s27, 0
	s_waitcnt vmcnt(0)
	v_and_b32_e32 v25, 0xffff, v6
	v_lshlrev_b64 v[6:7], s24, v[25:26]
	s_add_u32 s24, s24, 8
	s_addc_u32 s25, s25, 0
	v_or_b32_e32 v14, v6, v14
	s_cmp_lg_u32 s15, s26
	v_or_b32_e32 v15, v7, v15
	s_cbranch_scc1 .LBB6_480
	s_branch .LBB6_483
.LBB6_481:                              ;   in Loop: Header=BB6_454 Depth=1
                                        ; implicit-def: $vgpr14_vgpr15
                                        ; implicit-def: $sgpr28
	s_branch .LBB6_484
.LBB6_482:                              ;   in Loop: Header=BB6_454 Depth=1
	v_mov_b32_e32 v14, 0
	v_mov_b32_e32 v15, 0
.LBB6_483:                              ;   in Loop: Header=BB6_454 Depth=1
	s_mov_b32 s28, 0
	s_cbranch_execnz .LBB6_485
.LBB6_484:                              ;   in Loop: Header=BB6_454 Depth=1
	global_load_dwordx2 v[14:15], v26, s[4:5]
	s_add_i32 s28, s15, -8
	s_add_u32 s4, s4, 8
	s_addc_u32 s5, s5, 0
.LBB6_485:                              ;   in Loop: Header=BB6_454 Depth=1
	s_cmp_gt_u32 s28, 7
	s_cbranch_scc1 .LBB6_489
; %bb.486:                              ;   in Loop: Header=BB6_454 Depth=1
	s_cmp_eq_u32 s28, 0
	s_cbranch_scc1 .LBB6_490
; %bb.487:                              ;   in Loop: Header=BB6_454 Depth=1
	v_mov_b32_e32 v16, 0
	s_mov_b64 s[24:25], 0
	v_mov_b32_e32 v17, 0
	s_mov_b64 s[26:27], 0
.LBB6_488:                              ;   Parent Loop BB6_454 Depth=1
                                        ; =>  This Inner Loop Header: Depth=2
	s_add_u32 vcc_lo, s4, s26
	s_addc_u32 vcc_hi, s5, s27
	global_load_ubyte v6, v26, vcc
	s_add_u32 s26, s26, 1
	s_addc_u32 s27, s27, 0
	s_waitcnt vmcnt(0)
	v_and_b32_e32 v25, 0xffff, v6
	v_lshlrev_b64 v[6:7], s24, v[25:26]
	s_add_u32 s24, s24, 8
	s_addc_u32 s25, s25, 0
	v_or_b32_e32 v16, v6, v16
	s_cmp_lg_u32 s28, s26
	v_or_b32_e32 v17, v7, v17
	s_cbranch_scc1 .LBB6_488
	s_branch .LBB6_491
.LBB6_489:                              ;   in Loop: Header=BB6_454 Depth=1
                                        ; implicit-def: $sgpr15
	s_branch .LBB6_492
.LBB6_490:                              ;   in Loop: Header=BB6_454 Depth=1
	v_mov_b32_e32 v16, 0
	v_mov_b32_e32 v17, 0
.LBB6_491:                              ;   in Loop: Header=BB6_454 Depth=1
	s_mov_b32 s15, 0
	s_cbranch_execnz .LBB6_493
.LBB6_492:                              ;   in Loop: Header=BB6_454 Depth=1
	global_load_dwordx2 v[16:17], v26, s[4:5]
	s_add_i32 s15, s28, -8
	s_add_u32 s4, s4, 8
	s_addc_u32 s5, s5, 0
.LBB6_493:                              ;   in Loop: Header=BB6_454 Depth=1
	s_cmp_gt_u32 s15, 7
	s_cbranch_scc1 .LBB6_497
; %bb.494:                              ;   in Loop: Header=BB6_454 Depth=1
	s_cmp_eq_u32 s15, 0
	s_cbranch_scc1 .LBB6_498
; %bb.495:                              ;   in Loop: Header=BB6_454 Depth=1
	v_mov_b32_e32 v18, 0
	s_mov_b64 s[24:25], 0
	v_mov_b32_e32 v19, 0
	s_mov_b64 s[26:27], 0
.LBB6_496:                              ;   Parent Loop BB6_454 Depth=1
                                        ; =>  This Inner Loop Header: Depth=2
	s_add_u32 s28, s4, s26
	s_addc_u32 s29, s5, s27
	global_load_ubyte v6, v26, s[28:29]
	s_add_u32 s26, s26, 1
	s_addc_u32 s27, s27, 0
	s_waitcnt vmcnt(0)
	v_and_b32_e32 v25, 0xffff, v6
	v_lshlrev_b64 v[6:7], s24, v[25:26]
	s_add_u32 s24, s24, 8
	s_addc_u32 s25, s25, 0
	v_or_b32_e32 v18, v6, v18
	s_cmp_lg_u32 s15, s26
	v_or_b32_e32 v19, v7, v19
	s_cbranch_scc1 .LBB6_496
	s_branch .LBB6_499
.LBB6_497:                              ;   in Loop: Header=BB6_454 Depth=1
                                        ; implicit-def: $vgpr18_vgpr19
                                        ; implicit-def: $sgpr28
	s_branch .LBB6_500
.LBB6_498:                              ;   in Loop: Header=BB6_454 Depth=1
	v_mov_b32_e32 v18, 0
	v_mov_b32_e32 v19, 0
.LBB6_499:                              ;   in Loop: Header=BB6_454 Depth=1
	s_mov_b32 s28, 0
	s_cbranch_execnz .LBB6_501
.LBB6_500:                              ;   in Loop: Header=BB6_454 Depth=1
	global_load_dwordx2 v[18:19], v26, s[4:5]
	s_add_i32 s28, s15, -8
	s_add_u32 s4, s4, 8
	s_addc_u32 s5, s5, 0
.LBB6_501:                              ;   in Loop: Header=BB6_454 Depth=1
	s_cmp_gt_u32 s28, 7
	s_cbranch_scc1 .LBB6_505
; %bb.502:                              ;   in Loop: Header=BB6_454 Depth=1
	s_cmp_eq_u32 s28, 0
	s_cbranch_scc1 .LBB6_506
; %bb.503:                              ;   in Loop: Header=BB6_454 Depth=1
	v_mov_b32_e32 v20, 0
	s_mov_b64 s[24:25], 0
	v_mov_b32_e32 v21, 0
	s_mov_b64 s[26:27], s[4:5]
.LBB6_504:                              ;   Parent Loop BB6_454 Depth=1
                                        ; =>  This Inner Loop Header: Depth=2
	global_load_ubyte v6, v26, s[26:27]
	s_add_i32 s28, s28, -1
	s_waitcnt vmcnt(0)
	v_and_b32_e32 v25, 0xffff, v6
	v_lshlrev_b64 v[6:7], s24, v[25:26]
	s_add_u32 s24, s24, 8
	s_addc_u32 s25, s25, 0
	s_add_u32 s26, s26, 1
	s_addc_u32 s27, s27, 0
	v_or_b32_e32 v20, v6, v20
	s_cmp_lg_u32 s28, 0
	v_or_b32_e32 v21, v7, v21
	s_cbranch_scc1 .LBB6_504
	s_branch .LBB6_507
.LBB6_505:                              ;   in Loop: Header=BB6_454 Depth=1
	s_branch .LBB6_508
.LBB6_506:                              ;   in Loop: Header=BB6_454 Depth=1
	v_mov_b32_e32 v20, 0
	v_mov_b32_e32 v21, 0
.LBB6_507:                              ;   in Loop: Header=BB6_454 Depth=1
	s_cbranch_execnz .LBB6_509
.LBB6_508:                              ;   in Loop: Header=BB6_454 Depth=1
	global_load_dwordx2 v[20:21], v26, s[4:5]
.LBB6_509:                              ;   in Loop: Header=BB6_454 Depth=1
	v_readfirstlane_b32 s4, v32
	v_mov_b32_e32 v6, 0
	v_mov_b32_e32 v7, 0
	v_cmp_eq_u32_e64 s[4:5], s4, v32
	s_and_saveexec_b64 s[24:25], s[4:5]
	s_cbranch_execz .LBB6_515
; %bb.510:                              ;   in Loop: Header=BB6_454 Depth=1
	global_load_dwordx2 v[24:25], v26, s[6:7] offset:24 glc
	s_waitcnt vmcnt(0)
	buffer_wbinvl1_vol
	global_load_dwordx2 v[6:7], v26, s[6:7] offset:40
	global_load_dwordx2 v[22:23], v26, s[6:7]
	s_waitcnt vmcnt(1)
	v_and_b32_e32 v6, v6, v24
	v_and_b32_e32 v7, v7, v25
	v_mul_lo_u32 v7, v7, 24
	v_mul_hi_u32 v27, v6, 24
	v_mul_lo_u32 v6, v6, 24
	v_add_u32_e32 v7, v27, v7
	s_waitcnt vmcnt(0)
	v_add_co_u32_e32 v6, vcc, v22, v6
	v_addc_co_u32_e32 v7, vcc, v23, v7, vcc
	global_load_dwordx2 v[22:23], v[6:7], off glc
	s_waitcnt vmcnt(0)
	global_atomic_cmpswap_x2 v[6:7], v26, v[22:25], s[6:7] offset:24 glc
	s_waitcnt vmcnt(0)
	buffer_wbinvl1_vol
	v_cmp_ne_u64_e32 vcc, v[6:7], v[24:25]
	s_and_saveexec_b64 s[26:27], vcc
	s_cbranch_execz .LBB6_514
; %bb.511:                              ;   in Loop: Header=BB6_454 Depth=1
	s_mov_b64 s[28:29], 0
.LBB6_512:                              ;   Parent Loop BB6_454 Depth=1
                                        ; =>  This Inner Loop Header: Depth=2
	s_sleep 1
	global_load_dwordx2 v[22:23], v26, s[6:7] offset:40
	global_load_dwordx2 v[27:28], v26, s[6:7]
	v_mov_b32_e32 v25, v7
	v_mov_b32_e32 v24, v6
	s_waitcnt vmcnt(1)
	v_and_b32_e32 v6, v22, v24
	s_waitcnt vmcnt(0)
	v_mad_u64_u32 v[6:7], vcc, v6, 24, v[27:28]
	v_and_b32_e32 v22, v23, v25
	v_mad_u64_u32 v[22:23], vcc, v22, 24, v[7:8]
	v_mov_b32_e32 v7, v22
	global_load_dwordx2 v[22:23], v[6:7], off glc
	s_waitcnt vmcnt(0)
	global_atomic_cmpswap_x2 v[6:7], v26, v[22:25], s[6:7] offset:24 glc
	s_waitcnt vmcnt(0)
	buffer_wbinvl1_vol
	v_cmp_eq_u64_e32 vcc, v[6:7], v[24:25]
	s_or_b64 s[28:29], vcc, s[28:29]
	s_andn2_b64 exec, exec, s[28:29]
	s_cbranch_execnz .LBB6_512
; %bb.513:                              ;   in Loop: Header=BB6_454 Depth=1
	s_or_b64 exec, exec, s[28:29]
.LBB6_514:                              ;   in Loop: Header=BB6_454 Depth=1
	s_or_b64 exec, exec, s[26:27]
.LBB6_515:                              ;   in Loop: Header=BB6_454 Depth=1
	s_or_b64 exec, exec, s[24:25]
	global_load_dwordx2 v[27:28], v26, s[6:7] offset:40
	global_load_dwordx4 v[22:25], v26, s[6:7]
	v_readfirstlane_b32 s24, v6
	v_readfirstlane_b32 s25, v7
	s_mov_b64 s[26:27], exec
	s_waitcnt vmcnt(1)
	v_readfirstlane_b32 s28, v27
	v_readfirstlane_b32 s29, v28
	s_and_b64 s[28:29], s[24:25], s[28:29]
	s_mul_i32 s15, s29, 24
	s_mul_hi_u32 vcc_lo, s28, 24
	s_mul_i32 vcc_hi, s28, 24
	s_add_i32 s15, vcc_lo, s15
	v_mov_b32_e32 v6, s15
	s_waitcnt vmcnt(0)
	v_add_co_u32_e32 v27, vcc, vcc_hi, v22
	v_addc_co_u32_e32 v28, vcc, v23, v6, vcc
	s_and_saveexec_b64 vcc, s[4:5]
	s_cbranch_execz .LBB6_517
; %bb.516:                              ;   in Loop: Header=BB6_454 Depth=1
	v_mov_b32_e32 v6, s26
	v_mov_b32_e32 v7, s27
	global_store_dwordx4 v[27:28], v[6:9], off offset:8
.LBB6_517:                              ;   in Loop: Header=BB6_454 Depth=1
	s_or_b64 exec, exec, vcc
	s_lshl_b64 s[26:27], s[28:29], 12
	v_mov_b32_e32 v6, s27
	v_add_co_u32_e32 v24, vcc, s26, v24
	v_addc_co_u32_e32 v30, vcc, v25, v6, vcc
	v_cmp_gt_u64_e64 vcc, s[20:21], 56
	v_or_b32_e32 v7, v0, v29
	s_lshl_b32 s15, s22, 2
	v_cndmask_b32_e32 v0, v7, v0, vcc
	s_add_i32 s15, s15, 28
	v_or_b32_e32 v6, 0, v1
	s_and_b32 s15, s15, 0x1e0
	v_and_b32_e32 v0, 0xffffff1f, v0
	v_cndmask_b32_e32 v1, v6, v1, vcc
	v_or_b32_e32 v0, s15, v0
	v_readfirstlane_b32 s26, v24
	v_readfirstlane_b32 s27, v30
	s_nop 4
	global_store_dwordx4 v31, v[0:3], s[26:27]
	global_store_dwordx4 v31, v[10:13], s[26:27] offset:16
	global_store_dwordx4 v31, v[14:17], s[26:27] offset:32
	;; [unrolled: 1-line block ×3, first 2 shown]
	s_and_saveexec_b64 s[26:27], s[4:5]
	s_cbranch_execz .LBB6_525
; %bb.518:                              ;   in Loop: Header=BB6_454 Depth=1
	global_load_dwordx2 v[12:13], v26, s[6:7] offset:32 glc
	global_load_dwordx2 v[0:1], v26, s[6:7] offset:40
	v_mov_b32_e32 v10, s24
	v_mov_b32_e32 v11, s25
	s_waitcnt vmcnt(0)
	v_readfirstlane_b32 s28, v0
	v_readfirstlane_b32 s29, v1
	s_and_b64 s[28:29], s[28:29], s[24:25]
	s_mul_i32 s15, s29, 24
	s_mul_hi_u32 s29, s28, 24
	s_mul_i32 s28, s28, 24
	s_add_i32 s15, s29, s15
	v_mov_b32_e32 v0, s15
	v_add_co_u32_e32 v6, vcc, s28, v22
	v_addc_co_u32_e32 v7, vcc, v23, v0, vcc
	global_store_dwordx2 v[6:7], v[12:13], off
	s_waitcnt vmcnt(0)
	global_atomic_cmpswap_x2 v[2:3], v26, v[10:13], s[6:7] offset:32 glc
	s_waitcnt vmcnt(0)
	v_cmp_ne_u64_e32 vcc, v[2:3], v[12:13]
	s_and_saveexec_b64 s[28:29], vcc
	s_cbranch_execz .LBB6_521
; %bb.519:                              ;   in Loop: Header=BB6_454 Depth=1
	s_mov_b64 s[30:31], 0
.LBB6_520:                              ;   Parent Loop BB6_454 Depth=1
                                        ; =>  This Inner Loop Header: Depth=2
	s_sleep 1
	global_store_dwordx2 v[6:7], v[2:3], off
	v_mov_b32_e32 v0, s24
	v_mov_b32_e32 v1, s25
	s_waitcnt vmcnt(0)
	global_atomic_cmpswap_x2 v[0:1], v26, v[0:3], s[6:7] offset:32 glc
	s_waitcnt vmcnt(0)
	v_cmp_eq_u64_e32 vcc, v[0:1], v[2:3]
	v_mov_b32_e32 v3, v1
	s_or_b64 s[30:31], vcc, s[30:31]
	v_mov_b32_e32 v2, v0
	s_andn2_b64 exec, exec, s[30:31]
	s_cbranch_execnz .LBB6_520
.LBB6_521:                              ;   in Loop: Header=BB6_454 Depth=1
	s_or_b64 exec, exec, s[28:29]
	global_load_dwordx2 v[0:1], v26, s[6:7] offset:16
	s_mov_b64 s[30:31], exec
	v_mbcnt_lo_u32_b32 v2, s30, 0
	v_mbcnt_hi_u32_b32 v2, s31, v2
	v_cmp_eq_u32_e32 vcc, 0, v2
	s_and_saveexec_b64 s[28:29], vcc
	s_cbranch_execz .LBB6_523
; %bb.522:                              ;   in Loop: Header=BB6_454 Depth=1
	s_bcnt1_i32_b64 s15, s[30:31]
	v_mov_b32_e32 v25, s15
	s_waitcnt vmcnt(0)
	global_atomic_add_x2 v[0:1], v[25:26], off offset:8
.LBB6_523:                              ;   in Loop: Header=BB6_454 Depth=1
	s_or_b64 exec, exec, s[28:29]
	s_waitcnt vmcnt(0)
	global_load_dwordx2 v[2:3], v[0:1], off offset:16
	s_waitcnt vmcnt(0)
	v_cmp_eq_u64_e32 vcc, 0, v[2:3]
	s_cbranch_vccnz .LBB6_525
; %bb.524:                              ;   in Loop: Header=BB6_454 Depth=1
	global_load_dword v25, v[0:1], off offset:24
	s_waitcnt vmcnt(0)
	v_and_b32_e32 v0, 0xffffff, v25
	v_readfirstlane_b32 m0, v0
	global_store_dwordx2 v[2:3], v[25:26], off
	s_sendmsg sendmsg(MSG_INTERRUPT)
.LBB6_525:                              ;   in Loop: Header=BB6_454 Depth=1
	s_or_b64 exec, exec, s[26:27]
	v_add_co_u32_e32 v0, vcc, v24, v31
	v_addc_co_u32_e32 v1, vcc, 0, v30, vcc
	s_branch .LBB6_529
.LBB6_526:                              ;   in Loop: Header=BB6_529 Depth=2
	s_or_b64 exec, exec, s[26:27]
	v_readfirstlane_b32 s15, v2
	s_cmp_eq_u32 s15, 0
	s_cbranch_scc1 .LBB6_528
; %bb.527:                              ;   in Loop: Header=BB6_529 Depth=2
	s_sleep 1
	s_cbranch_execnz .LBB6_529
	s_branch .LBB6_531
.LBB6_528:                              ;   in Loop: Header=BB6_454 Depth=1
	s_branch .LBB6_531
.LBB6_529:                              ;   Parent Loop BB6_454 Depth=1
                                        ; =>  This Inner Loop Header: Depth=2
	v_mov_b32_e32 v2, 1
	s_and_saveexec_b64 s[26:27], s[4:5]
	s_cbranch_execz .LBB6_526
; %bb.530:                              ;   in Loop: Header=BB6_529 Depth=2
	global_load_dword v2, v[27:28], off offset:20 glc
	s_waitcnt vmcnt(0)
	buffer_wbinvl1_vol
	v_and_b32_e32 v2, 1, v2
	s_branch .LBB6_526
.LBB6_531:                              ;   in Loop: Header=BB6_454 Depth=1
	global_load_dwordx4 v[0:3], v[0:1], off
	s_and_saveexec_b64 s[26:27], s[4:5]
	s_cbranch_execz .LBB6_453
; %bb.532:                              ;   in Loop: Header=BB6_454 Depth=1
	global_load_dwordx2 v[2:3], v26, s[6:7] offset:40
	global_load_dwordx2 v[6:7], v26, s[6:7] offset:24 glc
	global_load_dwordx2 v[13:14], v26, s[6:7]
	v_mov_b32_e32 v11, s25
	s_waitcnt vmcnt(2)
	v_add_co_u32_e32 v12, vcc, 1, v2
	v_addc_co_u32_e32 v15, vcc, 0, v3, vcc
	v_add_co_u32_e32 v10, vcc, s24, v12
	v_addc_co_u32_e32 v11, vcc, v15, v11, vcc
	v_cmp_eq_u64_e32 vcc, 0, v[10:11]
	v_cndmask_b32_e32 v11, v11, v15, vcc
	v_cndmask_b32_e32 v10, v10, v12, vcc
	v_and_b32_e32 v3, v11, v3
	v_and_b32_e32 v2, v10, v2
	v_mul_lo_u32 v3, v3, 24
	v_mul_hi_u32 v15, v2, 24
	v_mul_lo_u32 v2, v2, 24
	s_waitcnt vmcnt(1)
	v_mov_b32_e32 v12, v6
	v_add_u32_e32 v3, v15, v3
	s_waitcnt vmcnt(0)
	v_add_co_u32_e32 v2, vcc, v13, v2
	v_addc_co_u32_e32 v3, vcc, v14, v3, vcc
	global_store_dwordx2 v[2:3], v[6:7], off
	v_mov_b32_e32 v13, v7
	s_waitcnt vmcnt(0)
	global_atomic_cmpswap_x2 v[12:13], v26, v[10:13], s[6:7] offset:24 glc
	s_waitcnt vmcnt(0)
	v_cmp_ne_u64_e32 vcc, v[12:13], v[6:7]
	s_and_b64 exec, exec, vcc
	s_cbranch_execz .LBB6_453
; %bb.533:                              ;   in Loop: Header=BB6_454 Depth=1
	s_mov_b64 s[4:5], 0
.LBB6_534:                              ;   Parent Loop BB6_454 Depth=1
                                        ; =>  This Inner Loop Header: Depth=2
	s_sleep 1
	global_store_dwordx2 v[2:3], v[12:13], off
	s_waitcnt vmcnt(0)
	global_atomic_cmpswap_x2 v[6:7], v26, v[10:13], s[6:7] offset:24 glc
	s_waitcnt vmcnt(0)
	v_cmp_eq_u64_e32 vcc, v[6:7], v[12:13]
	v_mov_b32_e32 v13, v7
	s_or_b64 s[4:5], vcc, s[4:5]
	v_mov_b32_e32 v12, v6
	s_andn2_b64 exec, exec, s[4:5]
	s_cbranch_execnz .LBB6_534
	s_branch .LBB6_453
.LBB6_535:
	s_branch .LBB6_563
.LBB6_536:
                                        ; implicit-def: $vgpr0_vgpr1
	s_cbranch_execz .LBB6_563
; %bb.537:
	v_readfirstlane_b32 s4, v32
	v_mov_b32_e32 v7, 0
	v_mov_b32_e32 v8, 0
	v_cmp_eq_u32_e64 s[4:5], s4, v32
	s_and_saveexec_b64 s[18:19], s[4:5]
	s_cbranch_execz .LBB6_543
; %bb.538:
	s_waitcnt vmcnt(0)
	v_mov_b32_e32 v0, 0
	global_load_dwordx2 v[9:10], v0, s[6:7] offset:24 glc
	s_waitcnt vmcnt(0)
	buffer_wbinvl1_vol
	global_load_dwordx2 v[1:2], v0, s[6:7] offset:40
	global_load_dwordx2 v[6:7], v0, s[6:7]
	s_waitcnt vmcnt(1)
	v_and_b32_e32 v1, v1, v9
	v_and_b32_e32 v2, v2, v10
	v_mul_lo_u32 v2, v2, 24
	v_mul_hi_u32 v3, v1, 24
	v_mul_lo_u32 v1, v1, 24
	v_add_u32_e32 v2, v3, v2
	s_waitcnt vmcnt(0)
	v_add_co_u32_e32 v1, vcc, v6, v1
	v_addc_co_u32_e32 v2, vcc, v7, v2, vcc
	global_load_dwordx2 v[7:8], v[1:2], off glc
	s_waitcnt vmcnt(0)
	global_atomic_cmpswap_x2 v[7:8], v0, v[7:10], s[6:7] offset:24 glc
	s_waitcnt vmcnt(0)
	buffer_wbinvl1_vol
	v_cmp_ne_u64_e32 vcc, v[7:8], v[9:10]
	s_and_saveexec_b64 s[20:21], vcc
	s_cbranch_execz .LBB6_542
; %bb.539:
	s_mov_b64 s[22:23], 0
.LBB6_540:                              ; =>This Inner Loop Header: Depth=1
	s_sleep 1
	global_load_dwordx2 v[1:2], v0, s[6:7] offset:40
	global_load_dwordx2 v[11:12], v0, s[6:7]
	v_mov_b32_e32 v10, v8
	v_mov_b32_e32 v9, v7
	s_waitcnt vmcnt(1)
	v_and_b32_e32 v1, v1, v9
	s_waitcnt vmcnt(0)
	v_mad_u64_u32 v[6:7], s[24:25], v1, 24, v[11:12]
	v_and_b32_e32 v2, v2, v10
	v_mov_b32_e32 v1, v7
	v_mad_u64_u32 v[1:2], s[24:25], v2, 24, v[1:2]
	v_mov_b32_e32 v7, v1
	global_load_dwordx2 v[7:8], v[6:7], off glc
	s_waitcnt vmcnt(0)
	global_atomic_cmpswap_x2 v[7:8], v0, v[7:10], s[6:7] offset:24 glc
	s_waitcnt vmcnt(0)
	buffer_wbinvl1_vol
	v_cmp_eq_u64_e32 vcc, v[7:8], v[9:10]
	s_or_b64 s[22:23], vcc, s[22:23]
	s_andn2_b64 exec, exec, s[22:23]
	s_cbranch_execnz .LBB6_540
; %bb.541:
	s_or_b64 exec, exec, s[22:23]
.LBB6_542:
	s_or_b64 exec, exec, s[20:21]
.LBB6_543:
	s_or_b64 exec, exec, s[18:19]
	v_mov_b32_e32 v6, 0
	global_load_dwordx2 v[9:10], v6, s[6:7] offset:40
	global_load_dwordx4 v[0:3], v6, s[6:7]
	v_readfirstlane_b32 s18, v7
	v_readfirstlane_b32 s19, v8
	s_mov_b64 s[20:21], exec
	s_waitcnt vmcnt(1)
	v_readfirstlane_b32 s22, v9
	v_readfirstlane_b32 s23, v10
	s_and_b64 s[22:23], s[18:19], s[22:23]
	s_mul_i32 s15, s23, 24
	s_mul_hi_u32 s24, s22, 24
	s_mul_i32 s25, s22, 24
	s_add_i32 s15, s24, s15
	v_mov_b32_e32 v7, s15
	s_waitcnt vmcnt(0)
	v_add_co_u32_e32 v8, vcc, s25, v0
	v_addc_co_u32_e32 v9, vcc, v1, v7, vcc
	s_and_saveexec_b64 s[24:25], s[4:5]
	s_cbranch_execz .LBB6_545
; %bb.544:
	v_mov_b32_e32 v10, s20
	v_mov_b32_e32 v11, s21
	;; [unrolled: 1-line block ×4, first 2 shown]
	global_store_dwordx4 v[8:9], v[10:13], off offset:8
.LBB6_545:
	s_or_b64 exec, exec, s[24:25]
	s_lshl_b64 s[20:21], s[22:23], 12
	v_mov_b32_e32 v7, s21
	v_add_co_u32_e32 v2, vcc, s20, v2
	v_addc_co_u32_e32 v3, vcc, v3, v7, vcc
	s_movk_i32 s15, 0xff1f
	v_and_or_b32 v4, v4, s15, 32
	v_add_co_u32_e32 v10, vcc, v2, v31
	s_mov_b32 s20, 0
	v_mov_b32_e32 v7, v6
	v_readfirstlane_b32 s24, v2
	v_readfirstlane_b32 s25, v3
	v_addc_co_u32_e32 v11, vcc, 0, v3, vcc
	s_mov_b32 s21, s20
	s_mov_b32 s22, s20
	;; [unrolled: 1-line block ×3, first 2 shown]
	s_nop 0
	global_store_dwordx4 v31, v[4:7], s[24:25]
	v_mov_b32_e32 v2, s20
	v_mov_b32_e32 v3, s21
	;; [unrolled: 1-line block ×4, first 2 shown]
	global_store_dwordx4 v31, v[2:5], s[24:25] offset:16
	global_store_dwordx4 v31, v[2:5], s[24:25] offset:32
	;; [unrolled: 1-line block ×3, first 2 shown]
	s_and_saveexec_b64 s[20:21], s[4:5]
	s_cbranch_execz .LBB6_553
; %bb.546:
	v_mov_b32_e32 v6, 0
	global_load_dwordx2 v[14:15], v6, s[6:7] offset:32 glc
	global_load_dwordx2 v[2:3], v6, s[6:7] offset:40
	v_mov_b32_e32 v12, s18
	v_mov_b32_e32 v13, s19
	s_waitcnt vmcnt(0)
	v_readfirstlane_b32 s22, v2
	v_readfirstlane_b32 s23, v3
	s_and_b64 s[22:23], s[22:23], s[18:19]
	s_mul_i32 s15, s23, 24
	s_mul_hi_u32 s23, s22, 24
	s_mul_i32 s22, s22, 24
	s_add_i32 s15, s23, s15
	v_mov_b32_e32 v2, s15
	v_add_co_u32_e32 v4, vcc, s22, v0
	v_addc_co_u32_e32 v5, vcc, v1, v2, vcc
	global_store_dwordx2 v[4:5], v[14:15], off
	s_waitcnt vmcnt(0)
	global_atomic_cmpswap_x2 v[2:3], v6, v[12:15], s[6:7] offset:32 glc
	s_waitcnt vmcnt(0)
	v_cmp_ne_u64_e32 vcc, v[2:3], v[14:15]
	s_and_saveexec_b64 s[22:23], vcc
	s_cbranch_execz .LBB6_549
; %bb.547:
	s_mov_b64 s[24:25], 0
.LBB6_548:                              ; =>This Inner Loop Header: Depth=1
	s_sleep 1
	global_store_dwordx2 v[4:5], v[2:3], off
	v_mov_b32_e32 v0, s18
	v_mov_b32_e32 v1, s19
	s_waitcnt vmcnt(0)
	global_atomic_cmpswap_x2 v[0:1], v6, v[0:3], s[6:7] offset:32 glc
	s_waitcnt vmcnt(0)
	v_cmp_eq_u64_e32 vcc, v[0:1], v[2:3]
	v_mov_b32_e32 v3, v1
	s_or_b64 s[24:25], vcc, s[24:25]
	v_mov_b32_e32 v2, v0
	s_andn2_b64 exec, exec, s[24:25]
	s_cbranch_execnz .LBB6_548
.LBB6_549:
	s_or_b64 exec, exec, s[22:23]
	v_mov_b32_e32 v3, 0
	global_load_dwordx2 v[0:1], v3, s[6:7] offset:16
	s_mov_b64 s[22:23], exec
	v_mbcnt_lo_u32_b32 v2, s22, 0
	v_mbcnt_hi_u32_b32 v2, s23, v2
	v_cmp_eq_u32_e32 vcc, 0, v2
	s_and_saveexec_b64 s[24:25], vcc
	s_cbranch_execz .LBB6_551
; %bb.550:
	s_bcnt1_i32_b64 s15, s[22:23]
	v_mov_b32_e32 v2, s15
	s_waitcnt vmcnt(0)
	global_atomic_add_x2 v[0:1], v[2:3], off offset:8
.LBB6_551:
	s_or_b64 exec, exec, s[24:25]
	s_waitcnt vmcnt(0)
	global_load_dwordx2 v[2:3], v[0:1], off offset:16
	s_waitcnt vmcnt(0)
	v_cmp_eq_u64_e32 vcc, 0, v[2:3]
	s_cbranch_vccnz .LBB6_553
; %bb.552:
	global_load_dword v0, v[0:1], off offset:24
	v_mov_b32_e32 v1, 0
	s_waitcnt vmcnt(0)
	global_store_dwordx2 v[2:3], v[0:1], off
	v_and_b32_e32 v0, 0xffffff, v0
	v_readfirstlane_b32 m0, v0
	s_sendmsg sendmsg(MSG_INTERRUPT)
.LBB6_553:
	s_or_b64 exec, exec, s[20:21]
	s_branch .LBB6_557
.LBB6_554:                              ;   in Loop: Header=BB6_557 Depth=1
	s_or_b64 exec, exec, s[20:21]
	v_readfirstlane_b32 s15, v0
	s_cmp_eq_u32 s15, 0
	s_cbranch_scc1 .LBB6_556
; %bb.555:                              ;   in Loop: Header=BB6_557 Depth=1
	s_sleep 1
	s_cbranch_execnz .LBB6_557
	s_branch .LBB6_559
.LBB6_556:
	s_branch .LBB6_559
.LBB6_557:                              ; =>This Inner Loop Header: Depth=1
	v_mov_b32_e32 v0, 1
	s_and_saveexec_b64 s[20:21], s[4:5]
	s_cbranch_execz .LBB6_554
; %bb.558:                              ;   in Loop: Header=BB6_557 Depth=1
	global_load_dword v0, v[8:9], off offset:20 glc
	s_waitcnt vmcnt(0)
	buffer_wbinvl1_vol
	v_and_b32_e32 v0, 1, v0
	s_branch .LBB6_554
.LBB6_559:
	global_load_dwordx2 v[0:1], v[10:11], off
	s_and_saveexec_b64 s[20:21], s[4:5]
	s_cbranch_execz .LBB6_562
; %bb.560:
	v_mov_b32_e32 v8, 0
	global_load_dwordx2 v[4:5], v8, s[6:7] offset:40
	global_load_dwordx2 v[9:10], v8, s[6:7] offset:24 glc
	global_load_dwordx2 v[6:7], v8, s[6:7]
	v_mov_b32_e32 v3, s19
	s_mov_b64 s[4:5], 0
	s_waitcnt vmcnt(2)
	v_add_co_u32_e32 v11, vcc, 1, v4
	v_addc_co_u32_e32 v12, vcc, 0, v5, vcc
	v_add_co_u32_e32 v2, vcc, s18, v11
	v_addc_co_u32_e32 v3, vcc, v12, v3, vcc
	v_cmp_eq_u64_e32 vcc, 0, v[2:3]
	v_cndmask_b32_e32 v3, v3, v12, vcc
	v_cndmask_b32_e32 v2, v2, v11, vcc
	v_and_b32_e32 v5, v3, v5
	v_and_b32_e32 v4, v2, v4
	v_mul_lo_u32 v5, v5, 24
	v_mul_hi_u32 v11, v4, 24
	v_mul_lo_u32 v12, v4, 24
	s_waitcnt vmcnt(1)
	v_mov_b32_e32 v4, v9
	v_add_u32_e32 v5, v11, v5
	s_waitcnt vmcnt(0)
	v_add_co_u32_e32 v6, vcc, v6, v12
	v_addc_co_u32_e32 v7, vcc, v7, v5, vcc
	global_store_dwordx2 v[6:7], v[9:10], off
	v_mov_b32_e32 v5, v10
	s_waitcnt vmcnt(0)
	global_atomic_cmpswap_x2 v[4:5], v8, v[2:5], s[6:7] offset:24 glc
	s_waitcnt vmcnt(0)
	v_cmp_ne_u64_e32 vcc, v[4:5], v[9:10]
	s_and_b64 exec, exec, vcc
	s_cbranch_execz .LBB6_562
.LBB6_561:                              ; =>This Inner Loop Header: Depth=1
	s_sleep 1
	global_store_dwordx2 v[6:7], v[4:5], off
	s_waitcnt vmcnt(0)
	global_atomic_cmpswap_x2 v[9:10], v8, v[2:5], s[6:7] offset:24 glc
	s_waitcnt vmcnt(0)
	v_cmp_eq_u64_e32 vcc, v[9:10], v[4:5]
	v_mov_b32_e32 v4, v9
	s_or_b64 s[4:5], vcc, s[4:5]
	v_mov_b32_e32 v5, v10
	s_andn2_b64 exec, exec, s[4:5]
	s_cbranch_execnz .LBB6_561
.LBB6_562:
	s_or_b64 exec, exec, s[20:21]
.LBB6_563:
	s_getpc_b64 s[18:19]
	s_add_u32 s18, s18, .str.1@rel32@lo+4
	s_addc_u32 s19, s19, .str.1@rel32@hi+12
	s_cmp_lg_u64 s[18:19], 0
	s_cbranch_scc0 .LBB6_648
; %bb.564:
	s_waitcnt vmcnt(0)
	v_and_b32_e32 v6, -3, v0
	v_mov_b32_e32 v7, v1
	s_mov_b64 s[20:21], 0x53
	v_mov_b32_e32 v26, 0
	v_mov_b32_e32 v4, 2
	;; [unrolled: 1-line block ×3, first 2 shown]
	s_branch .LBB6_566
.LBB6_565:                              ;   in Loop: Header=BB6_566 Depth=1
	s_or_b64 exec, exec, s[26:27]
	s_sub_u32 s20, s20, s22
	s_subb_u32 s21, s21, s23
	s_add_u32 s18, s18, s22
	s_addc_u32 s19, s19, s23
	s_cmp_lg_u64 s[20:21], 0
	s_cbranch_scc0 .LBB6_647
.LBB6_566:                              ; =>This Loop Header: Depth=1
                                        ;     Child Loop BB6_569 Depth 2
                                        ;     Child Loop BB6_576 Depth 2
	;; [unrolled: 1-line block ×11, first 2 shown]
	v_cmp_lt_u64_e64 s[4:5], s[20:21], 56
	v_cmp_gt_u64_e64 s[24:25], s[20:21], 7
	s_and_b64 s[4:5], s[4:5], exec
	s_cselect_b32 s23, s21, 0
	s_cselect_b32 s22, s20, 56
	s_and_b64 vcc, exec, s[24:25]
	s_cbranch_vccnz .LBB6_571
; %bb.567:                              ;   in Loop: Header=BB6_566 Depth=1
	s_waitcnt vmcnt(0)
	v_mov_b32_e32 v8, 0
	s_cmp_eq_u64 s[20:21], 0
	v_mov_b32_e32 v9, 0
	s_mov_b64 s[4:5], 0
	s_cbranch_scc1 .LBB6_570
; %bb.568:                              ;   in Loop: Header=BB6_566 Depth=1
	v_mov_b32_e32 v8, 0
	s_lshl_b64 s[24:25], s[22:23], 3
	s_mov_b64 s[26:27], 0
	v_mov_b32_e32 v9, 0
	s_mov_b64 s[28:29], s[18:19]
.LBB6_569:                              ;   Parent Loop BB6_566 Depth=1
                                        ; =>  This Inner Loop Header: Depth=2
	global_load_ubyte v2, v26, s[28:29]
	s_waitcnt vmcnt(0)
	v_and_b32_e32 v25, 0xffff, v2
	v_lshlrev_b64 v[2:3], s26, v[25:26]
	s_add_u32 s26, s26, 8
	s_addc_u32 s27, s27, 0
	s_add_u32 s28, s28, 1
	s_addc_u32 s29, s29, 0
	v_or_b32_e32 v8, v2, v8
	s_cmp_lg_u32 s24, s26
	v_or_b32_e32 v9, v3, v9
	s_cbranch_scc1 .LBB6_569
.LBB6_570:                              ;   in Loop: Header=BB6_566 Depth=1
	s_mov_b32 s15, 0
	s_andn2_b64 vcc, exec, s[4:5]
	s_mov_b64 s[4:5], s[18:19]
	s_cbranch_vccz .LBB6_572
	s_branch .LBB6_573
.LBB6_571:                              ;   in Loop: Header=BB6_566 Depth=1
                                        ; implicit-def: $sgpr15
	s_mov_b64 s[4:5], s[18:19]
.LBB6_572:                              ;   in Loop: Header=BB6_566 Depth=1
	global_load_dwordx2 v[8:9], v26, s[18:19]
	s_add_i32 s15, s22, -8
	s_add_u32 s4, s18, 8
	s_addc_u32 s5, s19, 0
.LBB6_573:                              ;   in Loop: Header=BB6_566 Depth=1
	s_cmp_gt_u32 s15, 7
	s_cbranch_scc1 .LBB6_577
; %bb.574:                              ;   in Loop: Header=BB6_566 Depth=1
	s_cmp_eq_u32 s15, 0
	s_cbranch_scc1 .LBB6_578
; %bb.575:                              ;   in Loop: Header=BB6_566 Depth=1
	v_mov_b32_e32 v10, 0
	s_mov_b64 s[24:25], 0
	v_mov_b32_e32 v11, 0
	s_mov_b64 s[26:27], 0
.LBB6_576:                              ;   Parent Loop BB6_566 Depth=1
                                        ; =>  This Inner Loop Header: Depth=2
	s_add_u32 s28, s4, s26
	s_addc_u32 s29, s5, s27
	global_load_ubyte v2, v26, s[28:29]
	s_add_u32 s26, s26, 1
	s_addc_u32 s27, s27, 0
	s_waitcnt vmcnt(0)
	v_and_b32_e32 v25, 0xffff, v2
	v_lshlrev_b64 v[2:3], s24, v[25:26]
	s_add_u32 s24, s24, 8
	s_addc_u32 s25, s25, 0
	v_or_b32_e32 v10, v2, v10
	s_cmp_lg_u32 s15, s26
	v_or_b32_e32 v11, v3, v11
	s_cbranch_scc1 .LBB6_576
	s_branch .LBB6_579
.LBB6_577:                              ;   in Loop: Header=BB6_566 Depth=1
                                        ; implicit-def: $vgpr10_vgpr11
                                        ; implicit-def: $sgpr28
	s_branch .LBB6_580
.LBB6_578:                              ;   in Loop: Header=BB6_566 Depth=1
	v_mov_b32_e32 v10, 0
	v_mov_b32_e32 v11, 0
.LBB6_579:                              ;   in Loop: Header=BB6_566 Depth=1
	s_mov_b32 s28, 0
	s_cbranch_execnz .LBB6_581
.LBB6_580:                              ;   in Loop: Header=BB6_566 Depth=1
	global_load_dwordx2 v[10:11], v26, s[4:5]
	s_add_i32 s28, s15, -8
	s_add_u32 s4, s4, 8
	s_addc_u32 s5, s5, 0
.LBB6_581:                              ;   in Loop: Header=BB6_566 Depth=1
	s_cmp_gt_u32 s28, 7
	s_cbranch_scc1 .LBB6_585
; %bb.582:                              ;   in Loop: Header=BB6_566 Depth=1
	s_cmp_eq_u32 s28, 0
	s_cbranch_scc1 .LBB6_586
; %bb.583:                              ;   in Loop: Header=BB6_566 Depth=1
	v_mov_b32_e32 v12, 0
	s_mov_b64 s[24:25], 0
	v_mov_b32_e32 v13, 0
	s_mov_b64 s[26:27], 0
.LBB6_584:                              ;   Parent Loop BB6_566 Depth=1
                                        ; =>  This Inner Loop Header: Depth=2
	s_add_u32 vcc_lo, s4, s26
	s_addc_u32 vcc_hi, s5, s27
	global_load_ubyte v2, v26, vcc
	s_add_u32 s26, s26, 1
	s_addc_u32 s27, s27, 0
	s_waitcnt vmcnt(0)
	v_and_b32_e32 v25, 0xffff, v2
	v_lshlrev_b64 v[2:3], s24, v[25:26]
	s_add_u32 s24, s24, 8
	s_addc_u32 s25, s25, 0
	v_or_b32_e32 v12, v2, v12
	s_cmp_lg_u32 s28, s26
	v_or_b32_e32 v13, v3, v13
	s_cbranch_scc1 .LBB6_584
	s_branch .LBB6_587
.LBB6_585:                              ;   in Loop: Header=BB6_566 Depth=1
                                        ; implicit-def: $sgpr15
	s_branch .LBB6_588
.LBB6_586:                              ;   in Loop: Header=BB6_566 Depth=1
	v_mov_b32_e32 v12, 0
	v_mov_b32_e32 v13, 0
.LBB6_587:                              ;   in Loop: Header=BB6_566 Depth=1
	s_mov_b32 s15, 0
	s_cbranch_execnz .LBB6_589
.LBB6_588:                              ;   in Loop: Header=BB6_566 Depth=1
	global_load_dwordx2 v[12:13], v26, s[4:5]
	s_add_i32 s15, s28, -8
	s_add_u32 s4, s4, 8
	s_addc_u32 s5, s5, 0
.LBB6_589:                              ;   in Loop: Header=BB6_566 Depth=1
	s_cmp_gt_u32 s15, 7
	s_cbranch_scc1 .LBB6_593
; %bb.590:                              ;   in Loop: Header=BB6_566 Depth=1
	s_cmp_eq_u32 s15, 0
	s_cbranch_scc1 .LBB6_594
; %bb.591:                              ;   in Loop: Header=BB6_566 Depth=1
	v_mov_b32_e32 v14, 0
	s_mov_b64 s[24:25], 0
	v_mov_b32_e32 v15, 0
	s_mov_b64 s[26:27], 0
.LBB6_592:                              ;   Parent Loop BB6_566 Depth=1
                                        ; =>  This Inner Loop Header: Depth=2
	s_add_u32 s28, s4, s26
	s_addc_u32 s29, s5, s27
	global_load_ubyte v2, v26, s[28:29]
	s_add_u32 s26, s26, 1
	s_addc_u32 s27, s27, 0
	s_waitcnt vmcnt(0)
	v_and_b32_e32 v25, 0xffff, v2
	v_lshlrev_b64 v[2:3], s24, v[25:26]
	s_add_u32 s24, s24, 8
	s_addc_u32 s25, s25, 0
	v_or_b32_e32 v14, v2, v14
	s_cmp_lg_u32 s15, s26
	v_or_b32_e32 v15, v3, v15
	s_cbranch_scc1 .LBB6_592
	s_branch .LBB6_595
.LBB6_593:                              ;   in Loop: Header=BB6_566 Depth=1
                                        ; implicit-def: $vgpr14_vgpr15
                                        ; implicit-def: $sgpr28
	s_branch .LBB6_596
.LBB6_594:                              ;   in Loop: Header=BB6_566 Depth=1
	v_mov_b32_e32 v14, 0
	v_mov_b32_e32 v15, 0
.LBB6_595:                              ;   in Loop: Header=BB6_566 Depth=1
	s_mov_b32 s28, 0
	s_cbranch_execnz .LBB6_597
.LBB6_596:                              ;   in Loop: Header=BB6_566 Depth=1
	global_load_dwordx2 v[14:15], v26, s[4:5]
	s_add_i32 s28, s15, -8
	s_add_u32 s4, s4, 8
	s_addc_u32 s5, s5, 0
.LBB6_597:                              ;   in Loop: Header=BB6_566 Depth=1
	s_cmp_gt_u32 s28, 7
	s_cbranch_scc1 .LBB6_601
; %bb.598:                              ;   in Loop: Header=BB6_566 Depth=1
	s_cmp_eq_u32 s28, 0
	s_cbranch_scc1 .LBB6_602
; %bb.599:                              ;   in Loop: Header=BB6_566 Depth=1
	v_mov_b32_e32 v16, 0
	s_mov_b64 s[24:25], 0
	v_mov_b32_e32 v17, 0
	s_mov_b64 s[26:27], 0
.LBB6_600:                              ;   Parent Loop BB6_566 Depth=1
                                        ; =>  This Inner Loop Header: Depth=2
	s_add_u32 vcc_lo, s4, s26
	s_addc_u32 vcc_hi, s5, s27
	global_load_ubyte v2, v26, vcc
	s_add_u32 s26, s26, 1
	s_addc_u32 s27, s27, 0
	s_waitcnt vmcnt(0)
	v_and_b32_e32 v25, 0xffff, v2
	v_lshlrev_b64 v[2:3], s24, v[25:26]
	s_add_u32 s24, s24, 8
	s_addc_u32 s25, s25, 0
	v_or_b32_e32 v16, v2, v16
	s_cmp_lg_u32 s28, s26
	v_or_b32_e32 v17, v3, v17
	s_cbranch_scc1 .LBB6_600
	s_branch .LBB6_603
.LBB6_601:                              ;   in Loop: Header=BB6_566 Depth=1
                                        ; implicit-def: $sgpr15
	s_branch .LBB6_604
.LBB6_602:                              ;   in Loop: Header=BB6_566 Depth=1
	v_mov_b32_e32 v16, 0
	v_mov_b32_e32 v17, 0
.LBB6_603:                              ;   in Loop: Header=BB6_566 Depth=1
	s_mov_b32 s15, 0
	s_cbranch_execnz .LBB6_605
.LBB6_604:                              ;   in Loop: Header=BB6_566 Depth=1
	global_load_dwordx2 v[16:17], v26, s[4:5]
	s_add_i32 s15, s28, -8
	s_add_u32 s4, s4, 8
	s_addc_u32 s5, s5, 0
.LBB6_605:                              ;   in Loop: Header=BB6_566 Depth=1
	s_cmp_gt_u32 s15, 7
	s_cbranch_scc1 .LBB6_609
; %bb.606:                              ;   in Loop: Header=BB6_566 Depth=1
	s_cmp_eq_u32 s15, 0
	s_cbranch_scc1 .LBB6_610
; %bb.607:                              ;   in Loop: Header=BB6_566 Depth=1
	v_mov_b32_e32 v18, 0
	s_mov_b64 s[24:25], 0
	v_mov_b32_e32 v19, 0
	s_mov_b64 s[26:27], 0
.LBB6_608:                              ;   Parent Loop BB6_566 Depth=1
                                        ; =>  This Inner Loop Header: Depth=2
	s_add_u32 s28, s4, s26
	s_addc_u32 s29, s5, s27
	global_load_ubyte v2, v26, s[28:29]
	s_add_u32 s26, s26, 1
	s_addc_u32 s27, s27, 0
	s_waitcnt vmcnt(0)
	v_and_b32_e32 v25, 0xffff, v2
	v_lshlrev_b64 v[2:3], s24, v[25:26]
	s_add_u32 s24, s24, 8
	s_addc_u32 s25, s25, 0
	v_or_b32_e32 v18, v2, v18
	s_cmp_lg_u32 s15, s26
	v_or_b32_e32 v19, v3, v19
	s_cbranch_scc1 .LBB6_608
	s_branch .LBB6_611
.LBB6_609:                              ;   in Loop: Header=BB6_566 Depth=1
                                        ; implicit-def: $vgpr18_vgpr19
                                        ; implicit-def: $sgpr28
	s_branch .LBB6_612
.LBB6_610:                              ;   in Loop: Header=BB6_566 Depth=1
	v_mov_b32_e32 v18, 0
	v_mov_b32_e32 v19, 0
.LBB6_611:                              ;   in Loop: Header=BB6_566 Depth=1
	s_mov_b32 s28, 0
	s_cbranch_execnz .LBB6_613
.LBB6_612:                              ;   in Loop: Header=BB6_566 Depth=1
	global_load_dwordx2 v[18:19], v26, s[4:5]
	s_add_i32 s28, s15, -8
	s_add_u32 s4, s4, 8
	s_addc_u32 s5, s5, 0
.LBB6_613:                              ;   in Loop: Header=BB6_566 Depth=1
	s_cmp_gt_u32 s28, 7
	s_cbranch_scc1 .LBB6_617
; %bb.614:                              ;   in Loop: Header=BB6_566 Depth=1
	s_cmp_eq_u32 s28, 0
	s_cbranch_scc1 .LBB6_618
; %bb.615:                              ;   in Loop: Header=BB6_566 Depth=1
	v_mov_b32_e32 v20, 0
	s_mov_b64 s[24:25], 0
	v_mov_b32_e32 v21, 0
	s_mov_b64 s[26:27], s[4:5]
.LBB6_616:                              ;   Parent Loop BB6_566 Depth=1
                                        ; =>  This Inner Loop Header: Depth=2
	global_load_ubyte v2, v26, s[26:27]
	s_add_i32 s28, s28, -1
	s_waitcnt vmcnt(0)
	v_and_b32_e32 v25, 0xffff, v2
	v_lshlrev_b64 v[2:3], s24, v[25:26]
	s_add_u32 s24, s24, 8
	s_addc_u32 s25, s25, 0
	s_add_u32 s26, s26, 1
	s_addc_u32 s27, s27, 0
	v_or_b32_e32 v20, v2, v20
	s_cmp_lg_u32 s28, 0
	v_or_b32_e32 v21, v3, v21
	s_cbranch_scc1 .LBB6_616
	s_branch .LBB6_619
.LBB6_617:                              ;   in Loop: Header=BB6_566 Depth=1
	s_branch .LBB6_620
.LBB6_618:                              ;   in Loop: Header=BB6_566 Depth=1
	v_mov_b32_e32 v20, 0
	v_mov_b32_e32 v21, 0
.LBB6_619:                              ;   in Loop: Header=BB6_566 Depth=1
	s_cbranch_execnz .LBB6_621
.LBB6_620:                              ;   in Loop: Header=BB6_566 Depth=1
	global_load_dwordx2 v[20:21], v26, s[4:5]
.LBB6_621:                              ;   in Loop: Header=BB6_566 Depth=1
	v_readfirstlane_b32 s4, v32
	v_mov_b32_e32 v2, 0
	v_mov_b32_e32 v3, 0
	v_cmp_eq_u32_e64 s[4:5], s4, v32
	s_and_saveexec_b64 s[24:25], s[4:5]
	s_cbranch_execz .LBB6_627
; %bb.622:                              ;   in Loop: Header=BB6_566 Depth=1
	global_load_dwordx2 v[24:25], v26, s[6:7] offset:24 glc
	s_waitcnt vmcnt(0)
	buffer_wbinvl1_vol
	global_load_dwordx2 v[2:3], v26, s[6:7] offset:40
	global_load_dwordx2 v[22:23], v26, s[6:7]
	s_waitcnt vmcnt(1)
	v_and_b32_e32 v2, v2, v24
	v_and_b32_e32 v3, v3, v25
	v_mul_lo_u32 v3, v3, 24
	v_mul_hi_u32 v27, v2, 24
	v_mul_lo_u32 v2, v2, 24
	v_add_u32_e32 v3, v27, v3
	s_waitcnt vmcnt(0)
	v_add_co_u32_e32 v2, vcc, v22, v2
	v_addc_co_u32_e32 v3, vcc, v23, v3, vcc
	global_load_dwordx2 v[22:23], v[2:3], off glc
	s_waitcnt vmcnt(0)
	global_atomic_cmpswap_x2 v[2:3], v26, v[22:25], s[6:7] offset:24 glc
	s_waitcnt vmcnt(0)
	buffer_wbinvl1_vol
	v_cmp_ne_u64_e32 vcc, v[2:3], v[24:25]
	s_and_saveexec_b64 s[26:27], vcc
	s_cbranch_execz .LBB6_626
; %bb.623:                              ;   in Loop: Header=BB6_566 Depth=1
	s_mov_b64 s[28:29], 0
.LBB6_624:                              ;   Parent Loop BB6_566 Depth=1
                                        ; =>  This Inner Loop Header: Depth=2
	s_sleep 1
	global_load_dwordx2 v[22:23], v26, s[6:7] offset:40
	global_load_dwordx2 v[27:28], v26, s[6:7]
	v_mov_b32_e32 v25, v3
	v_mov_b32_e32 v24, v2
	s_waitcnt vmcnt(1)
	v_and_b32_e32 v2, v22, v24
	s_waitcnt vmcnt(0)
	v_mad_u64_u32 v[2:3], vcc, v2, 24, v[27:28]
	v_and_b32_e32 v22, v23, v25
	v_mad_u64_u32 v[22:23], vcc, v22, 24, v[3:4]
	v_mov_b32_e32 v3, v22
	global_load_dwordx2 v[22:23], v[2:3], off glc
	s_waitcnt vmcnt(0)
	global_atomic_cmpswap_x2 v[2:3], v26, v[22:25], s[6:7] offset:24 glc
	s_waitcnt vmcnt(0)
	buffer_wbinvl1_vol
	v_cmp_eq_u64_e32 vcc, v[2:3], v[24:25]
	s_or_b64 s[28:29], vcc, s[28:29]
	s_andn2_b64 exec, exec, s[28:29]
	s_cbranch_execnz .LBB6_624
; %bb.625:                              ;   in Loop: Header=BB6_566 Depth=1
	s_or_b64 exec, exec, s[28:29]
.LBB6_626:                              ;   in Loop: Header=BB6_566 Depth=1
	s_or_b64 exec, exec, s[26:27]
.LBB6_627:                              ;   in Loop: Header=BB6_566 Depth=1
	s_or_b64 exec, exec, s[24:25]
	global_load_dwordx2 v[27:28], v26, s[6:7] offset:40
	global_load_dwordx4 v[22:25], v26, s[6:7]
	v_readfirstlane_b32 s24, v2
	v_readfirstlane_b32 s25, v3
	s_mov_b64 s[26:27], exec
	s_waitcnt vmcnt(1)
	v_readfirstlane_b32 s28, v27
	v_readfirstlane_b32 s29, v28
	s_and_b64 s[28:29], s[24:25], s[28:29]
	s_mul_i32 s15, s29, 24
	s_mul_hi_u32 vcc_lo, s28, 24
	s_mul_i32 vcc_hi, s28, 24
	s_add_i32 s15, vcc_lo, s15
	v_mov_b32_e32 v2, s15
	s_waitcnt vmcnt(0)
	v_add_co_u32_e32 v27, vcc, vcc_hi, v22
	v_addc_co_u32_e32 v28, vcc, v23, v2, vcc
	s_and_saveexec_b64 vcc, s[4:5]
	s_cbranch_execz .LBB6_629
; %bb.628:                              ;   in Loop: Header=BB6_566 Depth=1
	v_mov_b32_e32 v2, s26
	v_mov_b32_e32 v3, s27
	global_store_dwordx4 v[27:28], v[2:5], off offset:8
.LBB6_629:                              ;   in Loop: Header=BB6_566 Depth=1
	s_or_b64 exec, exec, vcc
	s_lshl_b64 s[26:27], s[28:29], 12
	v_mov_b32_e32 v2, s27
	v_add_co_u32_e32 v24, vcc, s26, v24
	v_addc_co_u32_e32 v29, vcc, v25, v2, vcc
	v_cmp_gt_u64_e64 vcc, s[20:21], 56
	v_or_b32_e32 v2, 2, v6
	s_lshl_b32 s15, s22, 2
	v_cndmask_b32_e32 v2, v2, v6, vcc
	s_add_i32 s15, s15, 28
	s_and_b32 s15, s15, 0x1e0
	v_and_b32_e32 v2, 0xffffff1f, v2
	v_or_b32_e32 v6, s15, v2
	v_readfirstlane_b32 s26, v24
	v_readfirstlane_b32 s27, v29
	s_nop 4
	global_store_dwordx4 v31, v[6:9], s[26:27]
	global_store_dwordx4 v31, v[10:13], s[26:27] offset:16
	global_store_dwordx4 v31, v[14:17], s[26:27] offset:32
	;; [unrolled: 1-line block ×3, first 2 shown]
	s_and_saveexec_b64 s[26:27], s[4:5]
	s_cbranch_execz .LBB6_637
; %bb.630:                              ;   in Loop: Header=BB6_566 Depth=1
	global_load_dwordx2 v[10:11], v26, s[6:7] offset:32 glc
	global_load_dwordx2 v[2:3], v26, s[6:7] offset:40
	v_mov_b32_e32 v8, s24
	v_mov_b32_e32 v9, s25
	s_waitcnt vmcnt(0)
	v_readfirstlane_b32 s28, v2
	v_readfirstlane_b32 s29, v3
	s_and_b64 s[28:29], s[28:29], s[24:25]
	s_mul_i32 s15, s29, 24
	s_mul_hi_u32 s29, s28, 24
	s_mul_i32 s28, s28, 24
	s_add_i32 s15, s29, s15
	v_mov_b32_e32 v3, s15
	v_add_co_u32_e32 v2, vcc, s28, v22
	v_addc_co_u32_e32 v3, vcc, v23, v3, vcc
	global_store_dwordx2 v[2:3], v[10:11], off
	s_waitcnt vmcnt(0)
	global_atomic_cmpswap_x2 v[8:9], v26, v[8:11], s[6:7] offset:32 glc
	s_waitcnt vmcnt(0)
	v_cmp_ne_u64_e32 vcc, v[8:9], v[10:11]
	s_and_saveexec_b64 s[28:29], vcc
	s_cbranch_execz .LBB6_633
; %bb.631:                              ;   in Loop: Header=BB6_566 Depth=1
	s_mov_b64 s[30:31], 0
.LBB6_632:                              ;   Parent Loop BB6_566 Depth=1
                                        ; =>  This Inner Loop Header: Depth=2
	s_sleep 1
	global_store_dwordx2 v[2:3], v[8:9], off
	v_mov_b32_e32 v6, s24
	v_mov_b32_e32 v7, s25
	s_waitcnt vmcnt(0)
	global_atomic_cmpswap_x2 v[6:7], v26, v[6:9], s[6:7] offset:32 glc
	s_waitcnt vmcnt(0)
	v_cmp_eq_u64_e32 vcc, v[6:7], v[8:9]
	v_mov_b32_e32 v9, v7
	s_or_b64 s[30:31], vcc, s[30:31]
	v_mov_b32_e32 v8, v6
	s_andn2_b64 exec, exec, s[30:31]
	s_cbranch_execnz .LBB6_632
.LBB6_633:                              ;   in Loop: Header=BB6_566 Depth=1
	s_or_b64 exec, exec, s[28:29]
	global_load_dwordx2 v[2:3], v26, s[6:7] offset:16
	s_mov_b64 s[30:31], exec
	v_mbcnt_lo_u32_b32 v6, s30, 0
	v_mbcnt_hi_u32_b32 v6, s31, v6
	v_cmp_eq_u32_e32 vcc, 0, v6
	s_and_saveexec_b64 s[28:29], vcc
	s_cbranch_execz .LBB6_635
; %bb.634:                              ;   in Loop: Header=BB6_566 Depth=1
	s_bcnt1_i32_b64 s15, s[30:31]
	v_mov_b32_e32 v25, s15
	s_waitcnt vmcnt(0)
	global_atomic_add_x2 v[2:3], v[25:26], off offset:8
.LBB6_635:                              ;   in Loop: Header=BB6_566 Depth=1
	s_or_b64 exec, exec, s[28:29]
	s_waitcnt vmcnt(0)
	global_load_dwordx2 v[6:7], v[2:3], off offset:16
	s_waitcnt vmcnt(0)
	v_cmp_eq_u64_e32 vcc, 0, v[6:7]
	s_cbranch_vccnz .LBB6_637
; %bb.636:                              ;   in Loop: Header=BB6_566 Depth=1
	global_load_dword v25, v[2:3], off offset:24
	s_waitcnt vmcnt(0)
	v_and_b32_e32 v2, 0xffffff, v25
	v_readfirstlane_b32 m0, v2
	global_store_dwordx2 v[6:7], v[25:26], off
	s_sendmsg sendmsg(MSG_INTERRUPT)
.LBB6_637:                              ;   in Loop: Header=BB6_566 Depth=1
	s_or_b64 exec, exec, s[26:27]
	v_add_co_u32_e32 v2, vcc, v24, v31
	v_addc_co_u32_e32 v3, vcc, 0, v29, vcc
	s_branch .LBB6_641
.LBB6_638:                              ;   in Loop: Header=BB6_641 Depth=2
	s_or_b64 exec, exec, s[26:27]
	v_readfirstlane_b32 s15, v6
	s_cmp_eq_u32 s15, 0
	s_cbranch_scc1 .LBB6_640
; %bb.639:                              ;   in Loop: Header=BB6_641 Depth=2
	s_sleep 1
	s_cbranch_execnz .LBB6_641
	s_branch .LBB6_643
.LBB6_640:                              ;   in Loop: Header=BB6_566 Depth=1
	s_branch .LBB6_643
.LBB6_641:                              ;   Parent Loop BB6_566 Depth=1
                                        ; =>  This Inner Loop Header: Depth=2
	v_mov_b32_e32 v6, 1
	s_and_saveexec_b64 s[26:27], s[4:5]
	s_cbranch_execz .LBB6_638
; %bb.642:                              ;   in Loop: Header=BB6_641 Depth=2
	global_load_dword v6, v[27:28], off offset:20 glc
	s_waitcnt vmcnt(0)
	buffer_wbinvl1_vol
	v_and_b32_e32 v6, 1, v6
	s_branch .LBB6_638
.LBB6_643:                              ;   in Loop: Header=BB6_566 Depth=1
	global_load_dwordx4 v[6:9], v[2:3], off
	s_and_saveexec_b64 s[26:27], s[4:5]
	s_cbranch_execz .LBB6_565
; %bb.644:                              ;   in Loop: Header=BB6_566 Depth=1
	global_load_dwordx2 v[2:3], v26, s[6:7] offset:40
	global_load_dwordx2 v[12:13], v26, s[6:7] offset:24 glc
	global_load_dwordx2 v[14:15], v26, s[6:7]
	s_waitcnt vmcnt(3)
	v_mov_b32_e32 v9, s25
	s_waitcnt vmcnt(2)
	v_add_co_u32_e32 v10, vcc, 1, v2
	v_addc_co_u32_e32 v11, vcc, 0, v3, vcc
	v_add_co_u32_e32 v8, vcc, s24, v10
	v_addc_co_u32_e32 v9, vcc, v11, v9, vcc
	v_cmp_eq_u64_e32 vcc, 0, v[8:9]
	v_cndmask_b32_e32 v9, v9, v11, vcc
	v_cndmask_b32_e32 v8, v8, v10, vcc
	v_and_b32_e32 v3, v9, v3
	v_and_b32_e32 v2, v8, v2
	v_mul_lo_u32 v3, v3, 24
	v_mul_hi_u32 v11, v2, 24
	v_mul_lo_u32 v2, v2, 24
	s_waitcnt vmcnt(1)
	v_mov_b32_e32 v10, v12
	v_add_u32_e32 v3, v11, v3
	s_waitcnt vmcnt(0)
	v_add_co_u32_e32 v2, vcc, v14, v2
	v_addc_co_u32_e32 v3, vcc, v15, v3, vcc
	global_store_dwordx2 v[2:3], v[12:13], off
	v_mov_b32_e32 v11, v13
	s_waitcnt vmcnt(0)
	global_atomic_cmpswap_x2 v[10:11], v26, v[8:11], s[6:7] offset:24 glc
	s_waitcnt vmcnt(0)
	v_cmp_ne_u64_e32 vcc, v[10:11], v[12:13]
	s_and_b64 exec, exec, vcc
	s_cbranch_execz .LBB6_565
; %bb.645:                              ;   in Loop: Header=BB6_566 Depth=1
	s_mov_b64 s[4:5], 0
.LBB6_646:                              ;   Parent Loop BB6_566 Depth=1
                                        ; =>  This Inner Loop Header: Depth=2
	s_sleep 1
	global_store_dwordx2 v[2:3], v[10:11], off
	s_waitcnt vmcnt(0)
	global_atomic_cmpswap_x2 v[12:13], v26, v[8:11], s[6:7] offset:24 glc
	s_waitcnt vmcnt(0)
	v_cmp_eq_u64_e32 vcc, v[12:13], v[10:11]
	v_mov_b32_e32 v10, v12
	s_or_b64 s[4:5], vcc, s[4:5]
	v_mov_b32_e32 v11, v13
	s_andn2_b64 exec, exec, s[4:5]
	s_cbranch_execnz .LBB6_646
	s_branch .LBB6_565
.LBB6_647:
	s_branch .LBB6_675
.LBB6_648:
	s_cbranch_execz .LBB6_675
; %bb.649:
	v_readfirstlane_b32 s4, v32
	s_waitcnt vmcnt(0)
	v_mov_b32_e32 v8, 0
	v_mov_b32_e32 v9, 0
	v_cmp_eq_u32_e64 s[4:5], s4, v32
	s_and_saveexec_b64 s[18:19], s[4:5]
	s_cbranch_execz .LBB6_655
; %bb.650:
	v_mov_b32_e32 v2, 0
	global_load_dwordx2 v[5:6], v2, s[6:7] offset:24 glc
	s_waitcnt vmcnt(0)
	buffer_wbinvl1_vol
	global_load_dwordx2 v[3:4], v2, s[6:7] offset:40
	global_load_dwordx2 v[7:8], v2, s[6:7]
	s_waitcnt vmcnt(1)
	v_and_b32_e32 v3, v3, v5
	v_and_b32_e32 v4, v4, v6
	v_mul_lo_u32 v4, v4, 24
	v_mul_hi_u32 v9, v3, 24
	v_mul_lo_u32 v3, v3, 24
	v_add_u32_e32 v4, v9, v4
	s_waitcnt vmcnt(0)
	v_add_co_u32_e32 v3, vcc, v7, v3
	v_addc_co_u32_e32 v4, vcc, v8, v4, vcc
	global_load_dwordx2 v[3:4], v[3:4], off glc
	s_waitcnt vmcnt(0)
	global_atomic_cmpswap_x2 v[8:9], v2, v[3:6], s[6:7] offset:24 glc
	s_waitcnt vmcnt(0)
	buffer_wbinvl1_vol
	v_cmp_ne_u64_e32 vcc, v[8:9], v[5:6]
	s_and_saveexec_b64 s[20:21], vcc
	s_cbranch_execz .LBB6_654
; %bb.651:
	s_mov_b64 s[22:23], 0
.LBB6_652:                              ; =>This Inner Loop Header: Depth=1
	s_sleep 1
	global_load_dwordx2 v[3:4], v2, s[6:7] offset:40
	global_load_dwordx2 v[10:11], v2, s[6:7]
	v_mov_b32_e32 v5, v8
	v_mov_b32_e32 v6, v9
	s_waitcnt vmcnt(1)
	v_and_b32_e32 v3, v3, v5
	s_waitcnt vmcnt(0)
	v_mad_u64_u32 v[7:8], s[24:25], v3, 24, v[10:11]
	v_and_b32_e32 v4, v4, v6
	v_mov_b32_e32 v3, v8
	v_mad_u64_u32 v[3:4], s[24:25], v4, 24, v[3:4]
	v_mov_b32_e32 v8, v3
	global_load_dwordx2 v[3:4], v[7:8], off glc
	s_waitcnt vmcnt(0)
	global_atomic_cmpswap_x2 v[8:9], v2, v[3:6], s[6:7] offset:24 glc
	s_waitcnt vmcnt(0)
	buffer_wbinvl1_vol
	v_cmp_eq_u64_e32 vcc, v[8:9], v[5:6]
	s_or_b64 s[22:23], vcc, s[22:23]
	s_andn2_b64 exec, exec, s[22:23]
	s_cbranch_execnz .LBB6_652
; %bb.653:
	s_or_b64 exec, exec, s[22:23]
.LBB6_654:
	s_or_b64 exec, exec, s[20:21]
.LBB6_655:
	s_or_b64 exec, exec, s[18:19]
	v_mov_b32_e32 v2, 0
	global_load_dwordx2 v[10:11], v2, s[6:7] offset:40
	global_load_dwordx4 v[4:7], v2, s[6:7]
	v_readfirstlane_b32 s18, v8
	v_readfirstlane_b32 s19, v9
	s_mov_b64 s[20:21], exec
	s_waitcnt vmcnt(1)
	v_readfirstlane_b32 s22, v10
	v_readfirstlane_b32 s23, v11
	s_and_b64 s[22:23], s[18:19], s[22:23]
	s_mul_i32 s15, s23, 24
	s_mul_hi_u32 s24, s22, 24
	s_mul_i32 s25, s22, 24
	s_add_i32 s15, s24, s15
	v_mov_b32_e32 v3, s15
	s_waitcnt vmcnt(0)
	v_add_co_u32_e32 v8, vcc, s25, v4
	v_addc_co_u32_e32 v9, vcc, v5, v3, vcc
	s_and_saveexec_b64 s[24:25], s[4:5]
	s_cbranch_execz .LBB6_657
; %bb.656:
	v_mov_b32_e32 v10, s20
	v_mov_b32_e32 v11, s21
	;; [unrolled: 1-line block ×4, first 2 shown]
	global_store_dwordx4 v[8:9], v[10:13], off offset:8
.LBB6_657:
	s_or_b64 exec, exec, s[24:25]
	s_lshl_b64 s[20:21], s[22:23], 12
	v_mov_b32_e32 v3, s21
	v_add_co_u32_e32 v6, vcc, s20, v6
	v_addc_co_u32_e32 v7, vcc, v7, v3, vcc
	s_movk_i32 s15, 0xff1d
	v_and_or_b32 v0, v0, s15, 34
	s_mov_b32 s20, 0
	v_mov_b32_e32 v3, v2
	v_readfirstlane_b32 s24, v6
	v_readfirstlane_b32 s25, v7
	s_mov_b32 s21, s20
	s_mov_b32 s22, s20
	;; [unrolled: 1-line block ×3, first 2 shown]
	s_nop 1
	global_store_dwordx4 v31, v[0:3], s[24:25]
	s_nop 0
	v_mov_b32_e32 v0, s20
	v_mov_b32_e32 v1, s21
	v_mov_b32_e32 v2, s22
	v_mov_b32_e32 v3, s23
	global_store_dwordx4 v31, v[0:3], s[24:25] offset:16
	global_store_dwordx4 v31, v[0:3], s[24:25] offset:32
	global_store_dwordx4 v31, v[0:3], s[24:25] offset:48
	s_and_saveexec_b64 s[20:21], s[4:5]
	s_cbranch_execz .LBB6_665
; %bb.658:
	v_mov_b32_e32 v6, 0
	global_load_dwordx2 v[12:13], v6, s[6:7] offset:32 glc
	global_load_dwordx2 v[0:1], v6, s[6:7] offset:40
	v_mov_b32_e32 v10, s18
	v_mov_b32_e32 v11, s19
	s_waitcnt vmcnt(0)
	v_readfirstlane_b32 s22, v0
	v_readfirstlane_b32 s23, v1
	s_and_b64 s[22:23], s[22:23], s[18:19]
	s_mul_i32 s15, s23, 24
	s_mul_hi_u32 s23, s22, 24
	s_mul_i32 s22, s22, 24
	s_add_i32 s15, s23, s15
	v_mov_b32_e32 v0, s15
	v_add_co_u32_e32 v4, vcc, s22, v4
	v_addc_co_u32_e32 v5, vcc, v5, v0, vcc
	global_store_dwordx2 v[4:5], v[12:13], off
	s_waitcnt vmcnt(0)
	global_atomic_cmpswap_x2 v[2:3], v6, v[10:13], s[6:7] offset:32 glc
	s_waitcnt vmcnt(0)
	v_cmp_ne_u64_e32 vcc, v[2:3], v[12:13]
	s_and_saveexec_b64 s[22:23], vcc
	s_cbranch_execz .LBB6_661
; %bb.659:
	s_mov_b64 s[24:25], 0
.LBB6_660:                              ; =>This Inner Loop Header: Depth=1
	s_sleep 1
	global_store_dwordx2 v[4:5], v[2:3], off
	v_mov_b32_e32 v0, s18
	v_mov_b32_e32 v1, s19
	s_waitcnt vmcnt(0)
	global_atomic_cmpswap_x2 v[0:1], v6, v[0:3], s[6:7] offset:32 glc
	s_waitcnt vmcnt(0)
	v_cmp_eq_u64_e32 vcc, v[0:1], v[2:3]
	v_mov_b32_e32 v3, v1
	s_or_b64 s[24:25], vcc, s[24:25]
	v_mov_b32_e32 v2, v0
	s_andn2_b64 exec, exec, s[24:25]
	s_cbranch_execnz .LBB6_660
.LBB6_661:
	s_or_b64 exec, exec, s[22:23]
	v_mov_b32_e32 v3, 0
	global_load_dwordx2 v[0:1], v3, s[6:7] offset:16
	s_mov_b64 s[22:23], exec
	v_mbcnt_lo_u32_b32 v2, s22, 0
	v_mbcnt_hi_u32_b32 v2, s23, v2
	v_cmp_eq_u32_e32 vcc, 0, v2
	s_and_saveexec_b64 s[24:25], vcc
	s_cbranch_execz .LBB6_663
; %bb.662:
	s_bcnt1_i32_b64 s15, s[22:23]
	v_mov_b32_e32 v2, s15
	s_waitcnt vmcnt(0)
	global_atomic_add_x2 v[0:1], v[2:3], off offset:8
.LBB6_663:
	s_or_b64 exec, exec, s[24:25]
	s_waitcnt vmcnt(0)
	global_load_dwordx2 v[2:3], v[0:1], off offset:16
	s_waitcnt vmcnt(0)
	v_cmp_eq_u64_e32 vcc, 0, v[2:3]
	s_cbranch_vccnz .LBB6_665
; %bb.664:
	global_load_dword v0, v[0:1], off offset:24
	v_mov_b32_e32 v1, 0
	s_waitcnt vmcnt(0)
	global_store_dwordx2 v[2:3], v[0:1], off
	v_and_b32_e32 v0, 0xffffff, v0
	v_readfirstlane_b32 m0, v0
	s_sendmsg sendmsg(MSG_INTERRUPT)
.LBB6_665:
	s_or_b64 exec, exec, s[20:21]
	s_branch .LBB6_669
.LBB6_666:                              ;   in Loop: Header=BB6_669 Depth=1
	s_or_b64 exec, exec, s[20:21]
	v_readfirstlane_b32 s15, v0
	s_cmp_eq_u32 s15, 0
	s_cbranch_scc1 .LBB6_668
; %bb.667:                              ;   in Loop: Header=BB6_669 Depth=1
	s_sleep 1
	s_cbranch_execnz .LBB6_669
	s_branch .LBB6_671
.LBB6_668:
	s_branch .LBB6_671
.LBB6_669:                              ; =>This Inner Loop Header: Depth=1
	v_mov_b32_e32 v0, 1
	s_and_saveexec_b64 s[20:21], s[4:5]
	s_cbranch_execz .LBB6_666
; %bb.670:                              ;   in Loop: Header=BB6_669 Depth=1
	global_load_dword v0, v[8:9], off offset:20 glc
	s_waitcnt vmcnt(0)
	buffer_wbinvl1_vol
	v_and_b32_e32 v0, 1, v0
	s_branch .LBB6_666
.LBB6_671:
	s_and_saveexec_b64 s[20:21], s[4:5]
	s_cbranch_execz .LBB6_674
; %bb.672:
	v_mov_b32_e32 v6, 0
	global_load_dwordx2 v[2:3], v6, s[6:7] offset:40
	global_load_dwordx2 v[7:8], v6, s[6:7] offset:24 glc
	global_load_dwordx2 v[4:5], v6, s[6:7]
	v_mov_b32_e32 v1, s19
	s_mov_b64 s[4:5], 0
	s_waitcnt vmcnt(2)
	v_add_co_u32_e32 v9, vcc, 1, v2
	v_addc_co_u32_e32 v10, vcc, 0, v3, vcc
	v_add_co_u32_e32 v0, vcc, s18, v9
	v_addc_co_u32_e32 v1, vcc, v10, v1, vcc
	v_cmp_eq_u64_e32 vcc, 0, v[0:1]
	v_cndmask_b32_e32 v1, v1, v10, vcc
	v_cndmask_b32_e32 v0, v0, v9, vcc
	v_and_b32_e32 v3, v1, v3
	v_and_b32_e32 v2, v0, v2
	v_mul_lo_u32 v3, v3, 24
	v_mul_hi_u32 v9, v2, 24
	v_mul_lo_u32 v10, v2, 24
	s_waitcnt vmcnt(1)
	v_mov_b32_e32 v2, v7
	v_add_u32_e32 v3, v9, v3
	s_waitcnt vmcnt(0)
	v_add_co_u32_e32 v4, vcc, v4, v10
	v_addc_co_u32_e32 v5, vcc, v5, v3, vcc
	global_store_dwordx2 v[4:5], v[7:8], off
	v_mov_b32_e32 v3, v8
	s_waitcnt vmcnt(0)
	global_atomic_cmpswap_x2 v[2:3], v6, v[0:3], s[6:7] offset:24 glc
	s_waitcnt vmcnt(0)
	v_cmp_ne_u64_e32 vcc, v[2:3], v[7:8]
	s_and_b64 exec, exec, vcc
	s_cbranch_execz .LBB6_674
.LBB6_673:                              ; =>This Inner Loop Header: Depth=1
	s_sleep 1
	global_store_dwordx2 v[4:5], v[2:3], off
	s_waitcnt vmcnt(0)
	global_atomic_cmpswap_x2 v[7:8], v6, v[0:3], s[6:7] offset:24 glc
	s_waitcnt vmcnt(0)
	v_cmp_eq_u64_e32 vcc, v[7:8], v[2:3]
	v_mov_b32_e32 v2, v7
	s_or_b64 s[4:5], vcc, s[4:5]
	v_mov_b32_e32 v3, v8
	s_andn2_b64 exec, exec, s[4:5]
	s_cbranch_execnz .LBB6_673
.LBB6_674:
	s_or_b64 exec, exec, s[20:21]
.LBB6_675:
	v_readfirstlane_b32 s4, v32
	s_waitcnt vmcnt(0)
	v_mov_b32_e32 v5, 0
	v_mov_b32_e32 v6, 0
	v_cmp_eq_u32_e64 s[4:5], s4, v32
	s_and_saveexec_b64 s[18:19], s[4:5]
	s_cbranch_execz .LBB6_681
; %bb.676:
	v_mov_b32_e32 v0, 0
	global_load_dwordx2 v[3:4], v0, s[6:7] offset:24 glc
	s_waitcnt vmcnt(0)
	buffer_wbinvl1_vol
	global_load_dwordx2 v[1:2], v0, s[6:7] offset:40
	global_load_dwordx2 v[5:6], v0, s[6:7]
	s_waitcnt vmcnt(1)
	v_and_b32_e32 v1, v1, v3
	v_and_b32_e32 v2, v2, v4
	v_mul_lo_u32 v2, v2, 24
	v_mul_hi_u32 v7, v1, 24
	v_mul_lo_u32 v1, v1, 24
	v_add_u32_e32 v2, v7, v2
	s_waitcnt vmcnt(0)
	v_add_co_u32_e32 v1, vcc, v5, v1
	v_addc_co_u32_e32 v2, vcc, v6, v2, vcc
	global_load_dwordx2 v[1:2], v[1:2], off glc
	s_waitcnt vmcnt(0)
	global_atomic_cmpswap_x2 v[5:6], v0, v[1:4], s[6:7] offset:24 glc
	s_waitcnt vmcnt(0)
	buffer_wbinvl1_vol
	v_cmp_ne_u64_e32 vcc, v[5:6], v[3:4]
	s_and_saveexec_b64 s[20:21], vcc
	s_cbranch_execz .LBB6_680
; %bb.677:
	s_mov_b64 s[22:23], 0
.LBB6_678:                              ; =>This Inner Loop Header: Depth=1
	s_sleep 1
	global_load_dwordx2 v[1:2], v0, s[6:7] offset:40
	global_load_dwordx2 v[7:8], v0, s[6:7]
	v_mov_b32_e32 v3, v5
	v_mov_b32_e32 v4, v6
	s_waitcnt vmcnt(1)
	v_and_b32_e32 v1, v1, v3
	s_waitcnt vmcnt(0)
	v_mad_u64_u32 v[5:6], s[24:25], v1, 24, v[7:8]
	v_and_b32_e32 v2, v2, v4
	v_mov_b32_e32 v1, v6
	v_mad_u64_u32 v[1:2], s[24:25], v2, 24, v[1:2]
	v_mov_b32_e32 v6, v1
	global_load_dwordx2 v[1:2], v[5:6], off glc
	s_waitcnt vmcnt(0)
	global_atomic_cmpswap_x2 v[5:6], v0, v[1:4], s[6:7] offset:24 glc
	s_waitcnt vmcnt(0)
	buffer_wbinvl1_vol
	v_cmp_eq_u64_e32 vcc, v[5:6], v[3:4]
	s_or_b64 s[22:23], vcc, s[22:23]
	s_andn2_b64 exec, exec, s[22:23]
	s_cbranch_execnz .LBB6_678
; %bb.679:
	s_or_b64 exec, exec, s[22:23]
.LBB6_680:
	s_or_b64 exec, exec, s[20:21]
.LBB6_681:
	s_or_b64 exec, exec, s[18:19]
	v_mov_b32_e32 v4, 0
	global_load_dwordx2 v[7:8], v4, s[6:7] offset:40
	global_load_dwordx4 v[0:3], v4, s[6:7]
	v_readfirstlane_b32 s18, v5
	v_readfirstlane_b32 s19, v6
	s_mov_b64 s[20:21], exec
	s_waitcnt vmcnt(1)
	v_readfirstlane_b32 s22, v7
	v_readfirstlane_b32 s23, v8
	s_and_b64 s[22:23], s[18:19], s[22:23]
	s_mul_i32 s15, s23, 24
	s_mul_hi_u32 s24, s22, 24
	s_mul_i32 s25, s22, 24
	s_add_i32 s15, s24, s15
	v_mov_b32_e32 v5, s15
	s_waitcnt vmcnt(0)
	v_add_co_u32_e32 v7, vcc, s25, v0
	v_addc_co_u32_e32 v8, vcc, v1, v5, vcc
	s_and_saveexec_b64 s[24:25], s[4:5]
	s_cbranch_execz .LBB6_683
; %bb.682:
	v_mov_b32_e32 v9, s20
	v_mov_b32_e32 v10, s21
	;; [unrolled: 1-line block ×4, first 2 shown]
	global_store_dwordx4 v[7:8], v[9:12], off offset:8
.LBB6_683:
	s_or_b64 exec, exec, s[24:25]
	s_lshl_b64 s[20:21], s[22:23], 12
	v_mov_b32_e32 v5, s21
	v_add_co_u32_e32 v2, vcc, s20, v2
	v_addc_co_u32_e32 v11, vcc, v3, v5, vcc
	s_mov_b32 s20, 0
	v_mov_b32_e32 v3, 33
	v_mov_b32_e32 v5, v4
	;; [unrolled: 1-line block ×3, first 2 shown]
	v_readfirstlane_b32 s24, v2
	v_readfirstlane_b32 s25, v11
	v_add_co_u32_e32 v9, vcc, v2, v31
	s_mov_b32 s21, s20
	s_mov_b32 s22, s20
	;; [unrolled: 1-line block ×3, first 2 shown]
	s_nop 0
	global_store_dwordx4 v31, v[3:6], s[24:25]
	v_mov_b32_e32 v2, s20
	v_addc_co_u32_e32 v10, vcc, 0, v11, vcc
	v_mov_b32_e32 v3, s21
	v_mov_b32_e32 v4, s22
	;; [unrolled: 1-line block ×3, first 2 shown]
	global_store_dwordx4 v31, v[2:5], s[24:25] offset:16
	global_store_dwordx4 v31, v[2:5], s[24:25] offset:32
	;; [unrolled: 1-line block ×3, first 2 shown]
	s_and_saveexec_b64 s[20:21], s[4:5]
	s_cbranch_execz .LBB6_691
; %bb.684:
	v_mov_b32_e32 v6, 0
	global_load_dwordx2 v[13:14], v6, s[6:7] offset:32 glc
	global_load_dwordx2 v[2:3], v6, s[6:7] offset:40
	v_mov_b32_e32 v11, s18
	v_mov_b32_e32 v12, s19
	s_waitcnt vmcnt(0)
	v_readfirstlane_b32 s22, v2
	v_readfirstlane_b32 s23, v3
	s_and_b64 s[22:23], s[22:23], s[18:19]
	s_mul_i32 s15, s23, 24
	s_mul_hi_u32 s23, s22, 24
	s_mul_i32 s22, s22, 24
	s_add_i32 s15, s23, s15
	v_mov_b32_e32 v2, s15
	v_add_co_u32_e32 v4, vcc, s22, v0
	v_addc_co_u32_e32 v5, vcc, v1, v2, vcc
	global_store_dwordx2 v[4:5], v[13:14], off
	s_waitcnt vmcnt(0)
	global_atomic_cmpswap_x2 v[2:3], v6, v[11:14], s[6:7] offset:32 glc
	s_waitcnt vmcnt(0)
	v_cmp_ne_u64_e32 vcc, v[2:3], v[13:14]
	s_and_saveexec_b64 s[22:23], vcc
	s_cbranch_execz .LBB6_687
; %bb.685:
	s_mov_b64 s[24:25], 0
.LBB6_686:                              ; =>This Inner Loop Header: Depth=1
	s_sleep 1
	global_store_dwordx2 v[4:5], v[2:3], off
	v_mov_b32_e32 v0, s18
	v_mov_b32_e32 v1, s19
	s_waitcnt vmcnt(0)
	global_atomic_cmpswap_x2 v[0:1], v6, v[0:3], s[6:7] offset:32 glc
	s_waitcnt vmcnt(0)
	v_cmp_eq_u64_e32 vcc, v[0:1], v[2:3]
	v_mov_b32_e32 v3, v1
	s_or_b64 s[24:25], vcc, s[24:25]
	v_mov_b32_e32 v2, v0
	s_andn2_b64 exec, exec, s[24:25]
	s_cbranch_execnz .LBB6_686
.LBB6_687:
	s_or_b64 exec, exec, s[22:23]
	v_mov_b32_e32 v3, 0
	global_load_dwordx2 v[0:1], v3, s[6:7] offset:16
	s_mov_b64 s[22:23], exec
	v_mbcnt_lo_u32_b32 v2, s22, 0
	v_mbcnt_hi_u32_b32 v2, s23, v2
	v_cmp_eq_u32_e32 vcc, 0, v2
	s_and_saveexec_b64 s[24:25], vcc
	s_cbranch_execz .LBB6_689
; %bb.688:
	s_bcnt1_i32_b64 s15, s[22:23]
	v_mov_b32_e32 v2, s15
	s_waitcnt vmcnt(0)
	global_atomic_add_x2 v[0:1], v[2:3], off offset:8
.LBB6_689:
	s_or_b64 exec, exec, s[24:25]
	s_waitcnt vmcnt(0)
	global_load_dwordx2 v[2:3], v[0:1], off offset:16
	s_waitcnt vmcnt(0)
	v_cmp_eq_u64_e32 vcc, 0, v[2:3]
	s_cbranch_vccnz .LBB6_691
; %bb.690:
	global_load_dword v0, v[0:1], off offset:24
	v_mov_b32_e32 v1, 0
	s_waitcnt vmcnt(0)
	global_store_dwordx2 v[2:3], v[0:1], off
	v_and_b32_e32 v0, 0xffffff, v0
	v_readfirstlane_b32 m0, v0
	s_sendmsg sendmsg(MSG_INTERRUPT)
.LBB6_691:
	s_or_b64 exec, exec, s[20:21]
	s_branch .LBB6_695
.LBB6_692:                              ;   in Loop: Header=BB6_695 Depth=1
	s_or_b64 exec, exec, s[20:21]
	v_readfirstlane_b32 s15, v0
	s_cmp_eq_u32 s15, 0
	s_cbranch_scc1 .LBB6_694
; %bb.693:                              ;   in Loop: Header=BB6_695 Depth=1
	s_sleep 1
	s_cbranch_execnz .LBB6_695
	s_branch .LBB6_697
.LBB6_694:
	s_branch .LBB6_697
.LBB6_695:                              ; =>This Inner Loop Header: Depth=1
	v_mov_b32_e32 v0, 1
	s_and_saveexec_b64 s[20:21], s[4:5]
	s_cbranch_execz .LBB6_692
; %bb.696:                              ;   in Loop: Header=BB6_695 Depth=1
	global_load_dword v0, v[7:8], off offset:20 glc
	s_waitcnt vmcnt(0)
	buffer_wbinvl1_vol
	v_and_b32_e32 v0, 1, v0
	s_branch .LBB6_692
.LBB6_697:
	global_load_dwordx2 v[0:1], v[9:10], off
	s_and_saveexec_b64 s[20:21], s[4:5]
	s_cbranch_execz .LBB6_700
; %bb.698:
	v_mov_b32_e32 v8, 0
	global_load_dwordx2 v[4:5], v8, s[6:7] offset:40
	global_load_dwordx2 v[9:10], v8, s[6:7] offset:24 glc
	global_load_dwordx2 v[6:7], v8, s[6:7]
	v_mov_b32_e32 v3, s19
	s_mov_b64 s[4:5], 0
	s_waitcnt vmcnt(2)
	v_add_co_u32_e32 v11, vcc, 1, v4
	v_addc_co_u32_e32 v12, vcc, 0, v5, vcc
	v_add_co_u32_e32 v2, vcc, s18, v11
	v_addc_co_u32_e32 v3, vcc, v12, v3, vcc
	v_cmp_eq_u64_e32 vcc, 0, v[2:3]
	v_cndmask_b32_e32 v3, v3, v12, vcc
	v_cndmask_b32_e32 v2, v2, v11, vcc
	v_and_b32_e32 v5, v3, v5
	v_and_b32_e32 v4, v2, v4
	v_mul_lo_u32 v5, v5, 24
	v_mul_hi_u32 v11, v4, 24
	v_mul_lo_u32 v12, v4, 24
	s_waitcnt vmcnt(1)
	v_mov_b32_e32 v4, v9
	v_add_u32_e32 v5, v11, v5
	s_waitcnt vmcnt(0)
	v_add_co_u32_e32 v6, vcc, v6, v12
	v_addc_co_u32_e32 v7, vcc, v7, v5, vcc
	global_store_dwordx2 v[6:7], v[9:10], off
	v_mov_b32_e32 v5, v10
	s_waitcnt vmcnt(0)
	global_atomic_cmpswap_x2 v[4:5], v8, v[2:5], s[6:7] offset:24 glc
	s_waitcnt vmcnt(0)
	v_cmp_ne_u64_e32 vcc, v[4:5], v[9:10]
	s_and_b64 exec, exec, vcc
	s_cbranch_execz .LBB6_700
.LBB6_699:                              ; =>This Inner Loop Header: Depth=1
	s_sleep 1
	global_store_dwordx2 v[6:7], v[4:5], off
	s_waitcnt vmcnt(0)
	global_atomic_cmpswap_x2 v[9:10], v8, v[2:5], s[6:7] offset:24 glc
	s_waitcnt vmcnt(0)
	v_cmp_eq_u64_e32 vcc, v[9:10], v[4:5]
	v_mov_b32_e32 v4, v9
	s_or_b64 s[4:5], vcc, s[4:5]
	v_mov_b32_e32 v5, v10
	s_andn2_b64 exec, exec, s[4:5]
	s_cbranch_execnz .LBB6_699
.LBB6_700:
	s_or_b64 exec, exec, s[20:21]
	s_and_b64 vcc, exec, s[16:17]
	s_cbranch_vccz .LBB6_785
; %bb.701:
	s_waitcnt vmcnt(0)
	v_and_b32_e32 v33, 2, v0
	v_mov_b32_e32 v28, 0
	v_and_b32_e32 v2, -3, v0
	v_mov_b32_e32 v3, v1
	s_mov_b64 s[20:21], 3
	v_mov_b32_e32 v6, 2
	v_mov_b32_e32 v7, 1
	s_getpc_b64 s[18:19]
	s_add_u32 s18, s18, .str.6@rel32@lo+4
	s_addc_u32 s19, s19, .str.6@rel32@hi+12
	s_branch .LBB6_703
.LBB6_702:                              ;   in Loop: Header=BB6_703 Depth=1
	s_or_b64 exec, exec, s[26:27]
	s_sub_u32 s20, s20, s22
	s_subb_u32 s21, s21, s23
	s_add_u32 s18, s18, s22
	s_addc_u32 s19, s19, s23
	s_cmp_lg_u64 s[20:21], 0
	s_cbranch_scc0 .LBB6_784
.LBB6_703:                              ; =>This Loop Header: Depth=1
                                        ;     Child Loop BB6_706 Depth 2
                                        ;     Child Loop BB6_713 Depth 2
	;; [unrolled: 1-line block ×11, first 2 shown]
	v_cmp_lt_u64_e64 s[4:5], s[20:21], 56
	v_cmp_gt_u64_e64 s[24:25], s[20:21], 7
	s_and_b64 s[4:5], s[4:5], exec
	s_cselect_b32 s23, s21, 0
	s_cselect_b32 s22, s20, 56
	s_and_b64 vcc, exec, s[24:25]
	s_cbranch_vccnz .LBB6_708
; %bb.704:                              ;   in Loop: Header=BB6_703 Depth=1
	v_mov_b32_e32 v10, 0
	s_cmp_eq_u64 s[20:21], 0
	v_mov_b32_e32 v11, 0
	s_mov_b64 s[4:5], 0
	s_cbranch_scc1 .LBB6_707
; %bb.705:                              ;   in Loop: Header=BB6_703 Depth=1
	v_mov_b32_e32 v10, 0
	s_lshl_b64 s[24:25], s[22:23], 3
	s_mov_b64 s[26:27], 0
	v_mov_b32_e32 v11, 0
	s_mov_b64 s[28:29], s[18:19]
.LBB6_706:                              ;   Parent Loop BB6_703 Depth=1
                                        ; =>  This Inner Loop Header: Depth=2
	global_load_ubyte v4, v28, s[28:29]
	s_waitcnt vmcnt(0)
	v_and_b32_e32 v27, 0xffff, v4
	v_lshlrev_b64 v[4:5], s26, v[27:28]
	s_add_u32 s26, s26, 8
	s_addc_u32 s27, s27, 0
	s_add_u32 s28, s28, 1
	s_addc_u32 s29, s29, 0
	v_or_b32_e32 v10, v4, v10
	s_cmp_lg_u32 s24, s26
	v_or_b32_e32 v11, v5, v11
	s_cbranch_scc1 .LBB6_706
.LBB6_707:                              ;   in Loop: Header=BB6_703 Depth=1
	s_mov_b32 s15, 0
	s_andn2_b64 vcc, exec, s[4:5]
	s_mov_b64 s[4:5], s[18:19]
	s_cbranch_vccz .LBB6_709
	s_branch .LBB6_710
.LBB6_708:                              ;   in Loop: Header=BB6_703 Depth=1
                                        ; implicit-def: $vgpr10_vgpr11
                                        ; implicit-def: $sgpr15
	s_mov_b64 s[4:5], s[18:19]
.LBB6_709:                              ;   in Loop: Header=BB6_703 Depth=1
	global_load_dwordx2 v[10:11], v28, s[18:19]
	s_add_i32 s15, s22, -8
	s_add_u32 s4, s18, 8
	s_addc_u32 s5, s19, 0
.LBB6_710:                              ;   in Loop: Header=BB6_703 Depth=1
	s_cmp_gt_u32 s15, 7
	s_cbranch_scc1 .LBB6_714
; %bb.711:                              ;   in Loop: Header=BB6_703 Depth=1
	s_cmp_eq_u32 s15, 0
	s_cbranch_scc1 .LBB6_715
; %bb.712:                              ;   in Loop: Header=BB6_703 Depth=1
	v_mov_b32_e32 v12, 0
	s_mov_b64 s[24:25], 0
	v_mov_b32_e32 v13, 0
	s_mov_b64 s[26:27], 0
.LBB6_713:                              ;   Parent Loop BB6_703 Depth=1
                                        ; =>  This Inner Loop Header: Depth=2
	s_add_u32 s28, s4, s26
	s_addc_u32 s29, s5, s27
	global_load_ubyte v4, v28, s[28:29]
	s_add_u32 s26, s26, 1
	s_addc_u32 s27, s27, 0
	s_waitcnt vmcnt(0)
	v_and_b32_e32 v27, 0xffff, v4
	v_lshlrev_b64 v[4:5], s24, v[27:28]
	s_add_u32 s24, s24, 8
	s_addc_u32 s25, s25, 0
	v_or_b32_e32 v12, v4, v12
	s_cmp_lg_u32 s15, s26
	v_or_b32_e32 v13, v5, v13
	s_cbranch_scc1 .LBB6_713
	s_branch .LBB6_716
.LBB6_714:                              ;   in Loop: Header=BB6_703 Depth=1
                                        ; implicit-def: $vgpr12_vgpr13
                                        ; implicit-def: $sgpr28
	s_branch .LBB6_717
.LBB6_715:                              ;   in Loop: Header=BB6_703 Depth=1
	v_mov_b32_e32 v12, 0
	v_mov_b32_e32 v13, 0
.LBB6_716:                              ;   in Loop: Header=BB6_703 Depth=1
	s_mov_b32 s28, 0
	s_cbranch_execnz .LBB6_718
.LBB6_717:                              ;   in Loop: Header=BB6_703 Depth=1
	global_load_dwordx2 v[12:13], v28, s[4:5]
	s_add_i32 s28, s15, -8
	s_add_u32 s4, s4, 8
	s_addc_u32 s5, s5, 0
.LBB6_718:                              ;   in Loop: Header=BB6_703 Depth=1
	s_cmp_gt_u32 s28, 7
	s_cbranch_scc1 .LBB6_722
; %bb.719:                              ;   in Loop: Header=BB6_703 Depth=1
	s_cmp_eq_u32 s28, 0
	s_cbranch_scc1 .LBB6_723
; %bb.720:                              ;   in Loop: Header=BB6_703 Depth=1
	v_mov_b32_e32 v14, 0
	s_mov_b64 s[24:25], 0
	v_mov_b32_e32 v15, 0
	s_mov_b64 s[26:27], 0
.LBB6_721:                              ;   Parent Loop BB6_703 Depth=1
                                        ; =>  This Inner Loop Header: Depth=2
	s_add_u32 vcc_lo, s4, s26
	s_addc_u32 vcc_hi, s5, s27
	global_load_ubyte v4, v28, vcc
	s_add_u32 s26, s26, 1
	s_addc_u32 s27, s27, 0
	s_waitcnt vmcnt(0)
	v_and_b32_e32 v27, 0xffff, v4
	v_lshlrev_b64 v[4:5], s24, v[27:28]
	s_add_u32 s24, s24, 8
	s_addc_u32 s25, s25, 0
	v_or_b32_e32 v14, v4, v14
	s_cmp_lg_u32 s28, s26
	v_or_b32_e32 v15, v5, v15
	s_cbranch_scc1 .LBB6_721
	s_branch .LBB6_724
.LBB6_722:                              ;   in Loop: Header=BB6_703 Depth=1
                                        ; implicit-def: $sgpr15
	s_branch .LBB6_725
.LBB6_723:                              ;   in Loop: Header=BB6_703 Depth=1
	v_mov_b32_e32 v14, 0
	v_mov_b32_e32 v15, 0
.LBB6_724:                              ;   in Loop: Header=BB6_703 Depth=1
	s_mov_b32 s15, 0
	s_cbranch_execnz .LBB6_726
.LBB6_725:                              ;   in Loop: Header=BB6_703 Depth=1
	global_load_dwordx2 v[14:15], v28, s[4:5]
	s_add_i32 s15, s28, -8
	s_add_u32 s4, s4, 8
	s_addc_u32 s5, s5, 0
.LBB6_726:                              ;   in Loop: Header=BB6_703 Depth=1
	s_cmp_gt_u32 s15, 7
	s_cbranch_scc1 .LBB6_730
; %bb.727:                              ;   in Loop: Header=BB6_703 Depth=1
	s_cmp_eq_u32 s15, 0
	s_cbranch_scc1 .LBB6_731
; %bb.728:                              ;   in Loop: Header=BB6_703 Depth=1
	v_mov_b32_e32 v16, 0
	s_mov_b64 s[24:25], 0
	v_mov_b32_e32 v17, 0
	s_mov_b64 s[26:27], 0
.LBB6_729:                              ;   Parent Loop BB6_703 Depth=1
                                        ; =>  This Inner Loop Header: Depth=2
	s_add_u32 s28, s4, s26
	s_addc_u32 s29, s5, s27
	global_load_ubyte v4, v28, s[28:29]
	s_add_u32 s26, s26, 1
	s_addc_u32 s27, s27, 0
	s_waitcnt vmcnt(0)
	v_and_b32_e32 v27, 0xffff, v4
	v_lshlrev_b64 v[4:5], s24, v[27:28]
	s_add_u32 s24, s24, 8
	s_addc_u32 s25, s25, 0
	v_or_b32_e32 v16, v4, v16
	s_cmp_lg_u32 s15, s26
	v_or_b32_e32 v17, v5, v17
	s_cbranch_scc1 .LBB6_729
	s_branch .LBB6_732
.LBB6_730:                              ;   in Loop: Header=BB6_703 Depth=1
                                        ; implicit-def: $vgpr16_vgpr17
                                        ; implicit-def: $sgpr28
	s_branch .LBB6_733
.LBB6_731:                              ;   in Loop: Header=BB6_703 Depth=1
	v_mov_b32_e32 v16, 0
	v_mov_b32_e32 v17, 0
.LBB6_732:                              ;   in Loop: Header=BB6_703 Depth=1
	s_mov_b32 s28, 0
	s_cbranch_execnz .LBB6_734
.LBB6_733:                              ;   in Loop: Header=BB6_703 Depth=1
	global_load_dwordx2 v[16:17], v28, s[4:5]
	s_add_i32 s28, s15, -8
	s_add_u32 s4, s4, 8
	s_addc_u32 s5, s5, 0
.LBB6_734:                              ;   in Loop: Header=BB6_703 Depth=1
	s_cmp_gt_u32 s28, 7
	s_cbranch_scc1 .LBB6_738
; %bb.735:                              ;   in Loop: Header=BB6_703 Depth=1
	s_cmp_eq_u32 s28, 0
	s_cbranch_scc1 .LBB6_739
; %bb.736:                              ;   in Loop: Header=BB6_703 Depth=1
	v_mov_b32_e32 v18, 0
	s_mov_b64 s[24:25], 0
	v_mov_b32_e32 v19, 0
	s_mov_b64 s[26:27], 0
.LBB6_737:                              ;   Parent Loop BB6_703 Depth=1
                                        ; =>  This Inner Loop Header: Depth=2
	s_add_u32 vcc_lo, s4, s26
	s_addc_u32 vcc_hi, s5, s27
	global_load_ubyte v4, v28, vcc
	s_add_u32 s26, s26, 1
	s_addc_u32 s27, s27, 0
	s_waitcnt vmcnt(0)
	v_and_b32_e32 v27, 0xffff, v4
	v_lshlrev_b64 v[4:5], s24, v[27:28]
	s_add_u32 s24, s24, 8
	s_addc_u32 s25, s25, 0
	v_or_b32_e32 v18, v4, v18
	s_cmp_lg_u32 s28, s26
	v_or_b32_e32 v19, v5, v19
	s_cbranch_scc1 .LBB6_737
	s_branch .LBB6_740
.LBB6_738:                              ;   in Loop: Header=BB6_703 Depth=1
                                        ; implicit-def: $sgpr15
	s_branch .LBB6_741
.LBB6_739:                              ;   in Loop: Header=BB6_703 Depth=1
	v_mov_b32_e32 v18, 0
	v_mov_b32_e32 v19, 0
.LBB6_740:                              ;   in Loop: Header=BB6_703 Depth=1
	s_mov_b32 s15, 0
	s_cbranch_execnz .LBB6_742
.LBB6_741:                              ;   in Loop: Header=BB6_703 Depth=1
	global_load_dwordx2 v[18:19], v28, s[4:5]
	s_add_i32 s15, s28, -8
	s_add_u32 s4, s4, 8
	s_addc_u32 s5, s5, 0
.LBB6_742:                              ;   in Loop: Header=BB6_703 Depth=1
	s_cmp_gt_u32 s15, 7
	s_cbranch_scc1 .LBB6_746
; %bb.743:                              ;   in Loop: Header=BB6_703 Depth=1
	s_cmp_eq_u32 s15, 0
	s_cbranch_scc1 .LBB6_747
; %bb.744:                              ;   in Loop: Header=BB6_703 Depth=1
	v_mov_b32_e32 v20, 0
	s_mov_b64 s[24:25], 0
	v_mov_b32_e32 v21, 0
	s_mov_b64 s[26:27], 0
.LBB6_745:                              ;   Parent Loop BB6_703 Depth=1
                                        ; =>  This Inner Loop Header: Depth=2
	s_add_u32 s28, s4, s26
	s_addc_u32 s29, s5, s27
	global_load_ubyte v4, v28, s[28:29]
	s_add_u32 s26, s26, 1
	s_addc_u32 s27, s27, 0
	s_waitcnt vmcnt(0)
	v_and_b32_e32 v27, 0xffff, v4
	v_lshlrev_b64 v[4:5], s24, v[27:28]
	s_add_u32 s24, s24, 8
	s_addc_u32 s25, s25, 0
	v_or_b32_e32 v20, v4, v20
	s_cmp_lg_u32 s15, s26
	v_or_b32_e32 v21, v5, v21
	s_cbranch_scc1 .LBB6_745
	s_branch .LBB6_748
.LBB6_746:                              ;   in Loop: Header=BB6_703 Depth=1
                                        ; implicit-def: $vgpr20_vgpr21
                                        ; implicit-def: $sgpr28
	s_branch .LBB6_749
.LBB6_747:                              ;   in Loop: Header=BB6_703 Depth=1
	v_mov_b32_e32 v20, 0
	v_mov_b32_e32 v21, 0
.LBB6_748:                              ;   in Loop: Header=BB6_703 Depth=1
	s_mov_b32 s28, 0
	s_cbranch_execnz .LBB6_750
.LBB6_749:                              ;   in Loop: Header=BB6_703 Depth=1
	global_load_dwordx2 v[20:21], v28, s[4:5]
	s_add_i32 s28, s15, -8
	s_add_u32 s4, s4, 8
	s_addc_u32 s5, s5, 0
.LBB6_750:                              ;   in Loop: Header=BB6_703 Depth=1
	s_cmp_gt_u32 s28, 7
	s_cbranch_scc1 .LBB6_754
; %bb.751:                              ;   in Loop: Header=BB6_703 Depth=1
	s_cmp_eq_u32 s28, 0
	s_cbranch_scc1 .LBB6_755
; %bb.752:                              ;   in Loop: Header=BB6_703 Depth=1
	v_mov_b32_e32 v22, 0
	s_mov_b64 s[24:25], 0
	v_mov_b32_e32 v23, 0
	s_mov_b64 s[26:27], s[4:5]
.LBB6_753:                              ;   Parent Loop BB6_703 Depth=1
                                        ; =>  This Inner Loop Header: Depth=2
	global_load_ubyte v4, v28, s[26:27]
	s_add_i32 s28, s28, -1
	s_waitcnt vmcnt(0)
	v_and_b32_e32 v27, 0xffff, v4
	v_lshlrev_b64 v[4:5], s24, v[27:28]
	s_add_u32 s24, s24, 8
	s_addc_u32 s25, s25, 0
	s_add_u32 s26, s26, 1
	s_addc_u32 s27, s27, 0
	v_or_b32_e32 v22, v4, v22
	s_cmp_lg_u32 s28, 0
	v_or_b32_e32 v23, v5, v23
	s_cbranch_scc1 .LBB6_753
	s_branch .LBB6_756
.LBB6_754:                              ;   in Loop: Header=BB6_703 Depth=1
	s_branch .LBB6_757
.LBB6_755:                              ;   in Loop: Header=BB6_703 Depth=1
	v_mov_b32_e32 v22, 0
	v_mov_b32_e32 v23, 0
.LBB6_756:                              ;   in Loop: Header=BB6_703 Depth=1
	s_cbranch_execnz .LBB6_758
.LBB6_757:                              ;   in Loop: Header=BB6_703 Depth=1
	global_load_dwordx2 v[22:23], v28, s[4:5]
.LBB6_758:                              ;   in Loop: Header=BB6_703 Depth=1
	v_readfirstlane_b32 s4, v32
	s_waitcnt vmcnt(0)
	v_mov_b32_e32 v4, 0
	v_mov_b32_e32 v5, 0
	v_cmp_eq_u32_e64 s[4:5], s4, v32
	s_and_saveexec_b64 s[24:25], s[4:5]
	s_cbranch_execz .LBB6_764
; %bb.759:                              ;   in Loop: Header=BB6_703 Depth=1
	global_load_dwordx2 v[26:27], v28, s[6:7] offset:24 glc
	s_waitcnt vmcnt(0)
	buffer_wbinvl1_vol
	global_load_dwordx2 v[4:5], v28, s[6:7] offset:40
	global_load_dwordx2 v[8:9], v28, s[6:7]
	s_waitcnt vmcnt(1)
	v_and_b32_e32 v4, v4, v26
	v_and_b32_e32 v5, v5, v27
	v_mul_lo_u32 v5, v5, 24
	v_mul_hi_u32 v24, v4, 24
	v_mul_lo_u32 v4, v4, 24
	v_add_u32_e32 v5, v24, v5
	s_waitcnt vmcnt(0)
	v_add_co_u32_e32 v4, vcc, v8, v4
	v_addc_co_u32_e32 v5, vcc, v9, v5, vcc
	global_load_dwordx2 v[24:25], v[4:5], off glc
	s_waitcnt vmcnt(0)
	global_atomic_cmpswap_x2 v[4:5], v28, v[24:27], s[6:7] offset:24 glc
	s_waitcnt vmcnt(0)
	buffer_wbinvl1_vol
	v_cmp_ne_u64_e32 vcc, v[4:5], v[26:27]
	s_and_saveexec_b64 s[26:27], vcc
	s_cbranch_execz .LBB6_763
; %bb.760:                              ;   in Loop: Header=BB6_703 Depth=1
	s_mov_b64 s[28:29], 0
.LBB6_761:                              ;   Parent Loop BB6_703 Depth=1
                                        ; =>  This Inner Loop Header: Depth=2
	s_sleep 1
	global_load_dwordx2 v[8:9], v28, s[6:7] offset:40
	global_load_dwordx2 v[24:25], v28, s[6:7]
	v_mov_b32_e32 v27, v5
	v_mov_b32_e32 v26, v4
	s_waitcnt vmcnt(1)
	v_and_b32_e32 v4, v8, v26
	s_waitcnt vmcnt(0)
	v_mad_u64_u32 v[4:5], vcc, v4, 24, v[24:25]
	v_and_b32_e32 v8, v9, v27
	v_mad_u64_u32 v[8:9], vcc, v8, 24, v[5:6]
	v_mov_b32_e32 v5, v8
	global_load_dwordx2 v[24:25], v[4:5], off glc
	s_waitcnt vmcnt(0)
	global_atomic_cmpswap_x2 v[4:5], v28, v[24:27], s[6:7] offset:24 glc
	s_waitcnt vmcnt(0)
	buffer_wbinvl1_vol
	v_cmp_eq_u64_e32 vcc, v[4:5], v[26:27]
	s_or_b64 s[28:29], vcc, s[28:29]
	s_andn2_b64 exec, exec, s[28:29]
	s_cbranch_execnz .LBB6_761
; %bb.762:                              ;   in Loop: Header=BB6_703 Depth=1
	s_or_b64 exec, exec, s[28:29]
.LBB6_763:                              ;   in Loop: Header=BB6_703 Depth=1
	s_or_b64 exec, exec, s[26:27]
.LBB6_764:                              ;   in Loop: Header=BB6_703 Depth=1
	s_or_b64 exec, exec, s[24:25]
	global_load_dwordx2 v[8:9], v28, s[6:7] offset:40
	global_load_dwordx4 v[24:27], v28, s[6:7]
	v_readfirstlane_b32 s24, v4
	v_readfirstlane_b32 s25, v5
	s_mov_b64 s[26:27], exec
	s_waitcnt vmcnt(1)
	v_readfirstlane_b32 s28, v8
	v_readfirstlane_b32 s29, v9
	s_and_b64 s[28:29], s[24:25], s[28:29]
	s_mul_i32 s15, s29, 24
	s_mul_hi_u32 vcc_lo, s28, 24
	s_mul_i32 vcc_hi, s28, 24
	s_add_i32 s15, vcc_lo, s15
	v_mov_b32_e32 v4, s15
	s_waitcnt vmcnt(0)
	v_add_co_u32_e32 v29, vcc, vcc_hi, v24
	v_addc_co_u32_e32 v30, vcc, v25, v4, vcc
	s_and_saveexec_b64 vcc, s[4:5]
	s_cbranch_execz .LBB6_766
; %bb.765:                              ;   in Loop: Header=BB6_703 Depth=1
	v_mov_b32_e32 v4, s26
	v_mov_b32_e32 v5, s27
	global_store_dwordx4 v[29:30], v[4:7], off offset:8
.LBB6_766:                              ;   in Loop: Header=BB6_703 Depth=1
	s_or_b64 exec, exec, vcc
	s_lshl_b64 s[26:27], s[28:29], 12
	v_mov_b32_e32 v4, s27
	v_add_co_u32_e32 v26, vcc, s26, v26
	v_addc_co_u32_e32 v34, vcc, v27, v4, vcc
	v_cmp_gt_u64_e64 vcc, s[20:21], 56
	v_or_b32_e32 v5, v2, v33
	s_lshl_b32 s15, s22, 2
	v_cndmask_b32_e32 v2, v5, v2, vcc
	s_add_i32 s15, s15, 28
	v_or_b32_e32 v4, 0, v3
	s_and_b32 s15, s15, 0x1e0
	v_and_b32_e32 v2, 0xffffff1f, v2
	v_cndmask_b32_e32 v9, v4, v3, vcc
	v_or_b32_e32 v8, s15, v2
	v_readfirstlane_b32 s26, v26
	v_readfirstlane_b32 s27, v34
	s_nop 4
	global_store_dwordx4 v31, v[8:11], s[26:27]
	global_store_dwordx4 v31, v[12:15], s[26:27] offset:16
	global_store_dwordx4 v31, v[16:19], s[26:27] offset:32
	;; [unrolled: 1-line block ×3, first 2 shown]
	s_and_saveexec_b64 s[26:27], s[4:5]
	s_cbranch_execz .LBB6_774
; %bb.767:                              ;   in Loop: Header=BB6_703 Depth=1
	global_load_dwordx2 v[12:13], v28, s[6:7] offset:32 glc
	global_load_dwordx2 v[2:3], v28, s[6:7] offset:40
	v_mov_b32_e32 v10, s24
	v_mov_b32_e32 v11, s25
	s_waitcnt vmcnt(0)
	v_readfirstlane_b32 s28, v2
	v_readfirstlane_b32 s29, v3
	s_and_b64 s[28:29], s[28:29], s[24:25]
	s_mul_i32 s15, s29, 24
	s_mul_hi_u32 s29, s28, 24
	s_mul_i32 s28, s28, 24
	s_add_i32 s15, s29, s15
	v_mov_b32_e32 v2, s15
	v_add_co_u32_e32 v8, vcc, s28, v24
	v_addc_co_u32_e32 v9, vcc, v25, v2, vcc
	global_store_dwordx2 v[8:9], v[12:13], off
	s_waitcnt vmcnt(0)
	global_atomic_cmpswap_x2 v[4:5], v28, v[10:13], s[6:7] offset:32 glc
	s_waitcnt vmcnt(0)
	v_cmp_ne_u64_e32 vcc, v[4:5], v[12:13]
	s_and_saveexec_b64 s[28:29], vcc
	s_cbranch_execz .LBB6_770
; %bb.768:                              ;   in Loop: Header=BB6_703 Depth=1
	s_mov_b64 s[30:31], 0
.LBB6_769:                              ;   Parent Loop BB6_703 Depth=1
                                        ; =>  This Inner Loop Header: Depth=2
	s_sleep 1
	global_store_dwordx2 v[8:9], v[4:5], off
	v_mov_b32_e32 v2, s24
	v_mov_b32_e32 v3, s25
	s_waitcnt vmcnt(0)
	global_atomic_cmpswap_x2 v[2:3], v28, v[2:5], s[6:7] offset:32 glc
	s_waitcnt vmcnt(0)
	v_cmp_eq_u64_e32 vcc, v[2:3], v[4:5]
	v_mov_b32_e32 v5, v3
	s_or_b64 s[30:31], vcc, s[30:31]
	v_mov_b32_e32 v4, v2
	s_andn2_b64 exec, exec, s[30:31]
	s_cbranch_execnz .LBB6_769
.LBB6_770:                              ;   in Loop: Header=BB6_703 Depth=1
	s_or_b64 exec, exec, s[28:29]
	global_load_dwordx2 v[2:3], v28, s[6:7] offset:16
	s_mov_b64 s[30:31], exec
	v_mbcnt_lo_u32_b32 v4, s30, 0
	v_mbcnt_hi_u32_b32 v4, s31, v4
	v_cmp_eq_u32_e32 vcc, 0, v4
	s_and_saveexec_b64 s[28:29], vcc
	s_cbranch_execz .LBB6_772
; %bb.771:                              ;   in Loop: Header=BB6_703 Depth=1
	s_bcnt1_i32_b64 s15, s[30:31]
	v_mov_b32_e32 v27, s15
	s_waitcnt vmcnt(0)
	global_atomic_add_x2 v[2:3], v[27:28], off offset:8
.LBB6_772:                              ;   in Loop: Header=BB6_703 Depth=1
	s_or_b64 exec, exec, s[28:29]
	s_waitcnt vmcnt(0)
	global_load_dwordx2 v[4:5], v[2:3], off offset:16
	s_waitcnt vmcnt(0)
	v_cmp_eq_u64_e32 vcc, 0, v[4:5]
	s_cbranch_vccnz .LBB6_774
; %bb.773:                              ;   in Loop: Header=BB6_703 Depth=1
	global_load_dword v27, v[2:3], off offset:24
	s_waitcnt vmcnt(0)
	v_and_b32_e32 v2, 0xffffff, v27
	v_readfirstlane_b32 m0, v2
	global_store_dwordx2 v[4:5], v[27:28], off
	s_sendmsg sendmsg(MSG_INTERRUPT)
.LBB6_774:                              ;   in Loop: Header=BB6_703 Depth=1
	s_or_b64 exec, exec, s[26:27]
	v_add_co_u32_e32 v2, vcc, v26, v31
	v_addc_co_u32_e32 v3, vcc, 0, v34, vcc
	s_branch .LBB6_778
.LBB6_775:                              ;   in Loop: Header=BB6_778 Depth=2
	s_or_b64 exec, exec, s[26:27]
	v_readfirstlane_b32 s15, v4
	s_cmp_eq_u32 s15, 0
	s_cbranch_scc1 .LBB6_777
; %bb.776:                              ;   in Loop: Header=BB6_778 Depth=2
	s_sleep 1
	s_cbranch_execnz .LBB6_778
	s_branch .LBB6_780
.LBB6_777:                              ;   in Loop: Header=BB6_703 Depth=1
	s_branch .LBB6_780
.LBB6_778:                              ;   Parent Loop BB6_703 Depth=1
                                        ; =>  This Inner Loop Header: Depth=2
	v_mov_b32_e32 v4, 1
	s_and_saveexec_b64 s[26:27], s[4:5]
	s_cbranch_execz .LBB6_775
; %bb.779:                              ;   in Loop: Header=BB6_778 Depth=2
	global_load_dword v4, v[29:30], off offset:20 glc
	s_waitcnt vmcnt(0)
	buffer_wbinvl1_vol
	v_and_b32_e32 v4, 1, v4
	s_branch .LBB6_775
.LBB6_780:                              ;   in Loop: Header=BB6_703 Depth=1
	global_load_dwordx4 v[2:5], v[2:3], off
	s_and_saveexec_b64 s[26:27], s[4:5]
	s_cbranch_execz .LBB6_702
; %bb.781:                              ;   in Loop: Header=BB6_703 Depth=1
	global_load_dwordx2 v[4:5], v28, s[6:7] offset:40
	global_load_dwordx2 v[12:13], v28, s[6:7] offset:24 glc
	global_load_dwordx2 v[14:15], v28, s[6:7]
	v_mov_b32_e32 v9, s25
	s_waitcnt vmcnt(2)
	v_add_co_u32_e32 v10, vcc, 1, v4
	v_addc_co_u32_e32 v11, vcc, 0, v5, vcc
	v_add_co_u32_e32 v8, vcc, s24, v10
	v_addc_co_u32_e32 v9, vcc, v11, v9, vcc
	v_cmp_eq_u64_e32 vcc, 0, v[8:9]
	v_cndmask_b32_e32 v9, v9, v11, vcc
	v_cndmask_b32_e32 v8, v8, v10, vcc
	v_and_b32_e32 v5, v9, v5
	v_and_b32_e32 v4, v8, v4
	v_mul_lo_u32 v5, v5, 24
	v_mul_hi_u32 v11, v4, 24
	v_mul_lo_u32 v4, v4, 24
	s_waitcnt vmcnt(1)
	v_mov_b32_e32 v10, v12
	v_add_u32_e32 v5, v11, v5
	s_waitcnt vmcnt(0)
	v_add_co_u32_e32 v4, vcc, v14, v4
	v_addc_co_u32_e32 v5, vcc, v15, v5, vcc
	global_store_dwordx2 v[4:5], v[12:13], off
	v_mov_b32_e32 v11, v13
	s_waitcnt vmcnt(0)
	global_atomic_cmpswap_x2 v[10:11], v28, v[8:11], s[6:7] offset:24 glc
	s_waitcnt vmcnt(0)
	v_cmp_ne_u64_e32 vcc, v[10:11], v[12:13]
	s_and_b64 exec, exec, vcc
	s_cbranch_execz .LBB6_702
; %bb.782:                              ;   in Loop: Header=BB6_703 Depth=1
	s_mov_b64 s[4:5], 0
.LBB6_783:                              ;   Parent Loop BB6_703 Depth=1
                                        ; =>  This Inner Loop Header: Depth=2
	s_sleep 1
	global_store_dwordx2 v[4:5], v[10:11], off
	s_waitcnt vmcnt(0)
	global_atomic_cmpswap_x2 v[12:13], v28, v[8:11], s[6:7] offset:24 glc
	s_waitcnt vmcnt(0)
	v_cmp_eq_u64_e32 vcc, v[12:13], v[10:11]
	v_mov_b32_e32 v10, v12
	s_or_b64 s[4:5], vcc, s[4:5]
	v_mov_b32_e32 v11, v13
	s_andn2_b64 exec, exec, s[4:5]
	s_cbranch_execnz .LBB6_783
	s_branch .LBB6_702
.LBB6_784:
	s_branch .LBB6_812
.LBB6_785:
                                        ; implicit-def: $vgpr2_vgpr3
	s_cbranch_execz .LBB6_812
; %bb.786:
	v_readfirstlane_b32 s4, v32
	v_mov_b32_e32 v8, 0
	v_mov_b32_e32 v9, 0
	v_cmp_eq_u32_e64 s[4:5], s4, v32
	s_and_saveexec_b64 s[18:19], s[4:5]
	s_cbranch_execz .LBB6_792
; %bb.787:
	s_waitcnt vmcnt(0)
	v_mov_b32_e32 v2, 0
	global_load_dwordx2 v[5:6], v2, s[6:7] offset:24 glc
	s_waitcnt vmcnt(0)
	buffer_wbinvl1_vol
	global_load_dwordx2 v[3:4], v2, s[6:7] offset:40
	global_load_dwordx2 v[7:8], v2, s[6:7]
	s_waitcnt vmcnt(1)
	v_and_b32_e32 v3, v3, v5
	v_and_b32_e32 v4, v4, v6
	v_mul_lo_u32 v4, v4, 24
	v_mul_hi_u32 v9, v3, 24
	v_mul_lo_u32 v3, v3, 24
	v_add_u32_e32 v4, v9, v4
	s_waitcnt vmcnt(0)
	v_add_co_u32_e32 v3, vcc, v7, v3
	v_addc_co_u32_e32 v4, vcc, v8, v4, vcc
	global_load_dwordx2 v[3:4], v[3:4], off glc
	s_waitcnt vmcnt(0)
	global_atomic_cmpswap_x2 v[8:9], v2, v[3:6], s[6:7] offset:24 glc
	s_waitcnt vmcnt(0)
	buffer_wbinvl1_vol
	v_cmp_ne_u64_e32 vcc, v[8:9], v[5:6]
	s_and_saveexec_b64 s[20:21], vcc
	s_cbranch_execz .LBB6_791
; %bb.788:
	s_mov_b64 s[22:23], 0
.LBB6_789:                              ; =>This Inner Loop Header: Depth=1
	s_sleep 1
	global_load_dwordx2 v[3:4], v2, s[6:7] offset:40
	global_load_dwordx2 v[10:11], v2, s[6:7]
	v_mov_b32_e32 v5, v8
	v_mov_b32_e32 v6, v9
	s_waitcnt vmcnt(1)
	v_and_b32_e32 v3, v3, v5
	s_waitcnt vmcnt(0)
	v_mad_u64_u32 v[7:8], s[24:25], v3, 24, v[10:11]
	v_and_b32_e32 v4, v4, v6
	v_mov_b32_e32 v3, v8
	v_mad_u64_u32 v[3:4], s[24:25], v4, 24, v[3:4]
	v_mov_b32_e32 v8, v3
	global_load_dwordx2 v[3:4], v[7:8], off glc
	s_waitcnt vmcnt(0)
	global_atomic_cmpswap_x2 v[8:9], v2, v[3:6], s[6:7] offset:24 glc
	s_waitcnt vmcnt(0)
	buffer_wbinvl1_vol
	v_cmp_eq_u64_e32 vcc, v[8:9], v[5:6]
	s_or_b64 s[22:23], vcc, s[22:23]
	s_andn2_b64 exec, exec, s[22:23]
	s_cbranch_execnz .LBB6_789
; %bb.790:
	s_or_b64 exec, exec, s[22:23]
.LBB6_791:
	s_or_b64 exec, exec, s[20:21]
.LBB6_792:
	s_or_b64 exec, exec, s[18:19]
	s_waitcnt vmcnt(0)
	v_mov_b32_e32 v2, 0
	global_load_dwordx2 v[10:11], v2, s[6:7] offset:40
	global_load_dwordx4 v[4:7], v2, s[6:7]
	v_readfirstlane_b32 s18, v8
	v_readfirstlane_b32 s19, v9
	s_mov_b64 s[20:21], exec
	s_waitcnt vmcnt(1)
	v_readfirstlane_b32 s22, v10
	v_readfirstlane_b32 s23, v11
	s_and_b64 s[22:23], s[18:19], s[22:23]
	s_mul_i32 s15, s23, 24
	s_mul_hi_u32 s24, s22, 24
	s_mul_i32 s25, s22, 24
	s_add_i32 s15, s24, s15
	v_mov_b32_e32 v3, s15
	s_waitcnt vmcnt(0)
	v_add_co_u32_e32 v8, vcc, s25, v4
	v_addc_co_u32_e32 v9, vcc, v5, v3, vcc
	s_and_saveexec_b64 s[24:25], s[4:5]
	s_cbranch_execz .LBB6_794
; %bb.793:
	v_mov_b32_e32 v10, s20
	v_mov_b32_e32 v11, s21
	;; [unrolled: 1-line block ×4, first 2 shown]
	global_store_dwordx4 v[8:9], v[10:13], off offset:8
.LBB6_794:
	s_or_b64 exec, exec, s[24:25]
	s_lshl_b64 s[20:21], s[22:23], 12
	v_mov_b32_e32 v3, s21
	v_add_co_u32_e32 v10, vcc, s20, v6
	v_addc_co_u32_e32 v11, vcc, v7, v3, vcc
	s_movk_i32 s15, 0xff1f
	v_and_or_b32 v0, v0, s15, 32
	s_mov_b32 s20, 0
	v_mov_b32_e32 v3, v2
	v_readfirstlane_b32 s24, v10
	v_readfirstlane_b32 s25, v11
	v_add_co_u32_e32 v6, vcc, v10, v31
	s_mov_b32 s21, s20
	s_mov_b32 s22, s20
	;; [unrolled: 1-line block ×3, first 2 shown]
	s_nop 0
	global_store_dwordx4 v31, v[0:3], s[24:25]
	v_addc_co_u32_e32 v7, vcc, 0, v11, vcc
	v_mov_b32_e32 v0, s20
	v_mov_b32_e32 v1, s21
	;; [unrolled: 1-line block ×4, first 2 shown]
	global_store_dwordx4 v31, v[0:3], s[24:25] offset:16
	global_store_dwordx4 v31, v[0:3], s[24:25] offset:32
	;; [unrolled: 1-line block ×3, first 2 shown]
	s_and_saveexec_b64 s[20:21], s[4:5]
	s_cbranch_execz .LBB6_802
; %bb.795:
	v_mov_b32_e32 v10, 0
	global_load_dwordx2 v[13:14], v10, s[6:7] offset:32 glc
	global_load_dwordx2 v[0:1], v10, s[6:7] offset:40
	v_mov_b32_e32 v11, s18
	v_mov_b32_e32 v12, s19
	s_waitcnt vmcnt(0)
	v_readfirstlane_b32 s22, v0
	v_readfirstlane_b32 s23, v1
	s_and_b64 s[22:23], s[22:23], s[18:19]
	s_mul_i32 s15, s23, 24
	s_mul_hi_u32 s23, s22, 24
	s_mul_i32 s22, s22, 24
	s_add_i32 s15, s23, s15
	v_mov_b32_e32 v0, s15
	v_add_co_u32_e32 v4, vcc, s22, v4
	v_addc_co_u32_e32 v5, vcc, v5, v0, vcc
	global_store_dwordx2 v[4:5], v[13:14], off
	s_waitcnt vmcnt(0)
	global_atomic_cmpswap_x2 v[2:3], v10, v[11:14], s[6:7] offset:32 glc
	s_waitcnt vmcnt(0)
	v_cmp_ne_u64_e32 vcc, v[2:3], v[13:14]
	s_and_saveexec_b64 s[22:23], vcc
	s_cbranch_execz .LBB6_798
; %bb.796:
	s_mov_b64 s[24:25], 0
.LBB6_797:                              ; =>This Inner Loop Header: Depth=1
	s_sleep 1
	global_store_dwordx2 v[4:5], v[2:3], off
	v_mov_b32_e32 v0, s18
	v_mov_b32_e32 v1, s19
	s_waitcnt vmcnt(0)
	global_atomic_cmpswap_x2 v[0:1], v10, v[0:3], s[6:7] offset:32 glc
	s_waitcnt vmcnt(0)
	v_cmp_eq_u64_e32 vcc, v[0:1], v[2:3]
	v_mov_b32_e32 v3, v1
	s_or_b64 s[24:25], vcc, s[24:25]
	v_mov_b32_e32 v2, v0
	s_andn2_b64 exec, exec, s[24:25]
	s_cbranch_execnz .LBB6_797
.LBB6_798:
	s_or_b64 exec, exec, s[22:23]
	v_mov_b32_e32 v3, 0
	global_load_dwordx2 v[0:1], v3, s[6:7] offset:16
	s_mov_b64 s[22:23], exec
	v_mbcnt_lo_u32_b32 v2, s22, 0
	v_mbcnt_hi_u32_b32 v2, s23, v2
	v_cmp_eq_u32_e32 vcc, 0, v2
	s_and_saveexec_b64 s[24:25], vcc
	s_cbranch_execz .LBB6_800
; %bb.799:
	s_bcnt1_i32_b64 s15, s[22:23]
	v_mov_b32_e32 v2, s15
	s_waitcnt vmcnt(0)
	global_atomic_add_x2 v[0:1], v[2:3], off offset:8
.LBB6_800:
	s_or_b64 exec, exec, s[24:25]
	s_waitcnt vmcnt(0)
	global_load_dwordx2 v[2:3], v[0:1], off offset:16
	s_waitcnt vmcnt(0)
	v_cmp_eq_u64_e32 vcc, 0, v[2:3]
	s_cbranch_vccnz .LBB6_802
; %bb.801:
	global_load_dword v0, v[0:1], off offset:24
	v_mov_b32_e32 v1, 0
	s_waitcnt vmcnt(0)
	global_store_dwordx2 v[2:3], v[0:1], off
	v_and_b32_e32 v0, 0xffffff, v0
	v_readfirstlane_b32 m0, v0
	s_sendmsg sendmsg(MSG_INTERRUPT)
.LBB6_802:
	s_or_b64 exec, exec, s[20:21]
	s_branch .LBB6_806
.LBB6_803:                              ;   in Loop: Header=BB6_806 Depth=1
	s_or_b64 exec, exec, s[20:21]
	v_readfirstlane_b32 s15, v0
	s_cmp_eq_u32 s15, 0
	s_cbranch_scc1 .LBB6_805
; %bb.804:                              ;   in Loop: Header=BB6_806 Depth=1
	s_sleep 1
	s_cbranch_execnz .LBB6_806
	s_branch .LBB6_808
.LBB6_805:
	s_branch .LBB6_808
.LBB6_806:                              ; =>This Inner Loop Header: Depth=1
	v_mov_b32_e32 v0, 1
	s_and_saveexec_b64 s[20:21], s[4:5]
	s_cbranch_execz .LBB6_803
; %bb.807:                              ;   in Loop: Header=BB6_806 Depth=1
	global_load_dword v0, v[8:9], off offset:20 glc
	s_waitcnt vmcnt(0)
	buffer_wbinvl1_vol
	v_and_b32_e32 v0, 1, v0
	s_branch .LBB6_803
.LBB6_808:
	global_load_dwordx2 v[2:3], v[6:7], off
	s_and_saveexec_b64 s[20:21], s[4:5]
	s_cbranch_execz .LBB6_811
; %bb.809:
	v_mov_b32_e32 v8, 0
	global_load_dwordx2 v[0:1], v8, s[6:7] offset:40
	global_load_dwordx2 v[9:10], v8, s[6:7] offset:24 glc
	global_load_dwordx2 v[11:12], v8, s[6:7]
	v_mov_b32_e32 v5, s19
	s_mov_b64 s[4:5], 0
	s_waitcnt vmcnt(2)
	v_add_co_u32_e32 v6, vcc, 1, v0
	v_addc_co_u32_e32 v7, vcc, 0, v1, vcc
	v_add_co_u32_e32 v4, vcc, s18, v6
	v_addc_co_u32_e32 v5, vcc, v7, v5, vcc
	v_cmp_eq_u64_e32 vcc, 0, v[4:5]
	v_cndmask_b32_e32 v5, v5, v7, vcc
	v_cndmask_b32_e32 v4, v4, v6, vcc
	v_and_b32_e32 v1, v5, v1
	v_and_b32_e32 v0, v4, v0
	v_mul_lo_u32 v1, v1, 24
	v_mul_hi_u32 v7, v0, 24
	v_mul_lo_u32 v0, v0, 24
	s_waitcnt vmcnt(1)
	v_mov_b32_e32 v6, v9
	v_add_u32_e32 v1, v7, v1
	s_waitcnt vmcnt(0)
	v_add_co_u32_e32 v0, vcc, v11, v0
	v_addc_co_u32_e32 v1, vcc, v12, v1, vcc
	global_store_dwordx2 v[0:1], v[9:10], off
	v_mov_b32_e32 v7, v10
	s_waitcnt vmcnt(0)
	global_atomic_cmpswap_x2 v[6:7], v8, v[4:7], s[6:7] offset:24 glc
	s_waitcnt vmcnt(0)
	v_cmp_ne_u64_e32 vcc, v[6:7], v[9:10]
	s_and_b64 exec, exec, vcc
	s_cbranch_execz .LBB6_811
.LBB6_810:                              ; =>This Inner Loop Header: Depth=1
	s_sleep 1
	global_store_dwordx2 v[0:1], v[6:7], off
	s_waitcnt vmcnt(0)
	global_atomic_cmpswap_x2 v[9:10], v8, v[4:7], s[6:7] offset:24 glc
	s_waitcnt vmcnt(0)
	v_cmp_eq_u64_e32 vcc, v[9:10], v[6:7]
	v_mov_b32_e32 v6, v9
	s_or_b64 s[4:5], vcc, s[4:5]
	v_mov_b32_e32 v7, v10
	s_andn2_b64 exec, exec, s[4:5]
	s_cbranch_execnz .LBB6_810
.LBB6_811:
	s_or_b64 exec, exec, s[20:21]
.LBB6_812:
	v_readfirstlane_b32 s4, v32
	s_waitcnt vmcnt(0)
	v_mov_b32_e32 v0, 0
	v_mov_b32_e32 v1, 0
	v_cmp_eq_u32_e64 s[4:5], s4, v32
	s_and_saveexec_b64 s[18:19], s[4:5]
	s_cbranch_execz .LBB6_818
; %bb.813:
	v_mov_b32_e32 v4, 0
	global_load_dwordx2 v[7:8], v4, s[6:7] offset:24 glc
	s_waitcnt vmcnt(0)
	buffer_wbinvl1_vol
	global_load_dwordx2 v[0:1], v4, s[6:7] offset:40
	global_load_dwordx2 v[5:6], v4, s[6:7]
	s_waitcnt vmcnt(1)
	v_and_b32_e32 v0, v0, v7
	v_and_b32_e32 v1, v1, v8
	v_mul_lo_u32 v1, v1, 24
	v_mul_hi_u32 v9, v0, 24
	v_mul_lo_u32 v0, v0, 24
	v_add_u32_e32 v1, v9, v1
	s_waitcnt vmcnt(0)
	v_add_co_u32_e32 v0, vcc, v5, v0
	v_addc_co_u32_e32 v1, vcc, v6, v1, vcc
	global_load_dwordx2 v[5:6], v[0:1], off glc
	s_waitcnt vmcnt(0)
	global_atomic_cmpswap_x2 v[0:1], v4, v[5:8], s[6:7] offset:24 glc
	s_waitcnt vmcnt(0)
	buffer_wbinvl1_vol
	v_cmp_ne_u64_e32 vcc, v[0:1], v[7:8]
	s_and_saveexec_b64 s[20:21], vcc
	s_cbranch_execz .LBB6_817
; %bb.814:
	s_mov_b64 s[22:23], 0
.LBB6_815:                              ; =>This Inner Loop Header: Depth=1
	s_sleep 1
	global_load_dwordx2 v[5:6], v4, s[6:7] offset:40
	global_load_dwordx2 v[9:10], v4, s[6:7]
	v_mov_b32_e32 v8, v1
	v_mov_b32_e32 v7, v0
	s_waitcnt vmcnt(1)
	v_and_b32_e32 v0, v5, v7
	s_waitcnt vmcnt(0)
	v_mad_u64_u32 v[0:1], s[24:25], v0, 24, v[9:10]
	v_and_b32_e32 v5, v6, v8
	v_mad_u64_u32 v[5:6], s[24:25], v5, 24, v[1:2]
	v_mov_b32_e32 v1, v5
	global_load_dwordx2 v[5:6], v[0:1], off glc
	s_waitcnt vmcnt(0)
	global_atomic_cmpswap_x2 v[0:1], v4, v[5:8], s[6:7] offset:24 glc
	s_waitcnt vmcnt(0)
	buffer_wbinvl1_vol
	v_cmp_eq_u64_e32 vcc, v[0:1], v[7:8]
	s_or_b64 s[22:23], vcc, s[22:23]
	s_andn2_b64 exec, exec, s[22:23]
	s_cbranch_execnz .LBB6_815
; %bb.816:
	s_or_b64 exec, exec, s[22:23]
.LBB6_817:
	s_or_b64 exec, exec, s[20:21]
.LBB6_818:
	s_or_b64 exec, exec, s[18:19]
	v_mov_b32_e32 v5, 0
	global_load_dwordx2 v[10:11], v5, s[6:7] offset:40
	global_load_dwordx4 v[6:9], v5, s[6:7]
	v_readfirstlane_b32 s18, v0
	v_readfirstlane_b32 s19, v1
	s_mov_b64 s[20:21], exec
	s_waitcnt vmcnt(1)
	v_readfirstlane_b32 s22, v10
	v_readfirstlane_b32 s23, v11
	s_and_b64 s[22:23], s[18:19], s[22:23]
	s_mul_i32 s15, s23, 24
	s_mul_hi_u32 s24, s22, 24
	s_mul_i32 s25, s22, 24
	s_add_i32 s15, s24, s15
	v_mov_b32_e32 v0, s15
	s_waitcnt vmcnt(0)
	v_add_co_u32_e32 v10, vcc, s25, v6
	v_addc_co_u32_e32 v11, vcc, v7, v0, vcc
	s_and_saveexec_b64 s[24:25], s[4:5]
	s_cbranch_execz .LBB6_820
; %bb.819:
	v_mov_b32_e32 v12, s20
	v_mov_b32_e32 v13, s21
	;; [unrolled: 1-line block ×4, first 2 shown]
	global_store_dwordx4 v[10:11], v[12:15], off offset:8
.LBB6_820:
	s_or_b64 exec, exec, s[24:25]
	s_lshl_b64 s[20:21], s[22:23], 12
	v_mov_b32_e32 v0, s21
	v_add_co_u32_e32 v1, vcc, s20, v8
	v_addc_co_u32_e32 v0, vcc, v9, v0, vcc
	s_movk_i32 s15, 0xff1d
	v_and_or_b32 v2, v2, s15, 34
	s_mov_b32 s20, 0
	v_mov_b32_e32 v4, 58
	v_readfirstlane_b32 s24, v1
	v_readfirstlane_b32 s25, v0
	s_mov_b32 s21, s20
	s_mov_b32 s22, s20
	;; [unrolled: 1-line block ×3, first 2 shown]
	s_nop 1
	global_store_dwordx4 v31, v[2:5], s[24:25]
	v_mov_b32_e32 v0, s20
	v_mov_b32_e32 v1, s21
	;; [unrolled: 1-line block ×4, first 2 shown]
	global_store_dwordx4 v31, v[0:3], s[24:25] offset:16
	global_store_dwordx4 v31, v[0:3], s[24:25] offset:32
	;; [unrolled: 1-line block ×3, first 2 shown]
	s_and_saveexec_b64 s[20:21], s[4:5]
	s_cbranch_execz .LBB6_828
; %bb.821:
	v_mov_b32_e32 v8, 0
	global_load_dwordx2 v[14:15], v8, s[6:7] offset:32 glc
	global_load_dwordx2 v[0:1], v8, s[6:7] offset:40
	v_mov_b32_e32 v12, s18
	v_mov_b32_e32 v13, s19
	s_waitcnt vmcnt(0)
	v_readfirstlane_b32 s22, v0
	v_readfirstlane_b32 s23, v1
	s_and_b64 s[22:23], s[22:23], s[18:19]
	s_mul_i32 s15, s23, 24
	s_mul_hi_u32 s23, s22, 24
	s_mul_i32 s22, s22, 24
	s_add_i32 s15, s23, s15
	v_mov_b32_e32 v0, s15
	v_add_co_u32_e32 v4, vcc, s22, v6
	v_addc_co_u32_e32 v5, vcc, v7, v0, vcc
	global_store_dwordx2 v[4:5], v[14:15], off
	s_waitcnt vmcnt(0)
	global_atomic_cmpswap_x2 v[2:3], v8, v[12:15], s[6:7] offset:32 glc
	s_waitcnt vmcnt(0)
	v_cmp_ne_u64_e32 vcc, v[2:3], v[14:15]
	s_and_saveexec_b64 s[22:23], vcc
	s_cbranch_execz .LBB6_824
; %bb.822:
	s_mov_b64 s[24:25], 0
.LBB6_823:                              ; =>This Inner Loop Header: Depth=1
	s_sleep 1
	global_store_dwordx2 v[4:5], v[2:3], off
	v_mov_b32_e32 v0, s18
	v_mov_b32_e32 v1, s19
	s_waitcnt vmcnt(0)
	global_atomic_cmpswap_x2 v[0:1], v8, v[0:3], s[6:7] offset:32 glc
	s_waitcnt vmcnt(0)
	v_cmp_eq_u64_e32 vcc, v[0:1], v[2:3]
	v_mov_b32_e32 v3, v1
	s_or_b64 s[24:25], vcc, s[24:25]
	v_mov_b32_e32 v2, v0
	s_andn2_b64 exec, exec, s[24:25]
	s_cbranch_execnz .LBB6_823
.LBB6_824:
	s_or_b64 exec, exec, s[22:23]
	v_mov_b32_e32 v3, 0
	global_load_dwordx2 v[0:1], v3, s[6:7] offset:16
	s_mov_b64 s[22:23], exec
	v_mbcnt_lo_u32_b32 v2, s22, 0
	v_mbcnt_hi_u32_b32 v2, s23, v2
	v_cmp_eq_u32_e32 vcc, 0, v2
	s_and_saveexec_b64 s[24:25], vcc
	s_cbranch_execz .LBB6_826
; %bb.825:
	s_bcnt1_i32_b64 s15, s[22:23]
	v_mov_b32_e32 v2, s15
	s_waitcnt vmcnt(0)
	global_atomic_add_x2 v[0:1], v[2:3], off offset:8
.LBB6_826:
	s_or_b64 exec, exec, s[24:25]
	s_waitcnt vmcnt(0)
	global_load_dwordx2 v[2:3], v[0:1], off offset:16
	s_waitcnt vmcnt(0)
	v_cmp_eq_u64_e32 vcc, 0, v[2:3]
	s_cbranch_vccnz .LBB6_828
; %bb.827:
	global_load_dword v0, v[0:1], off offset:24
	v_mov_b32_e32 v1, 0
	s_waitcnt vmcnt(0)
	global_store_dwordx2 v[2:3], v[0:1], off
	v_and_b32_e32 v0, 0xffffff, v0
	v_readfirstlane_b32 m0, v0
	s_sendmsg sendmsg(MSG_INTERRUPT)
.LBB6_828:
	s_or_b64 exec, exec, s[20:21]
	s_branch .LBB6_832
.LBB6_829:                              ;   in Loop: Header=BB6_832 Depth=1
	s_or_b64 exec, exec, s[20:21]
	v_readfirstlane_b32 s15, v0
	s_cmp_eq_u32 s15, 0
	s_cbranch_scc1 .LBB6_831
; %bb.830:                              ;   in Loop: Header=BB6_832 Depth=1
	s_sleep 1
	s_cbranch_execnz .LBB6_832
	s_branch .LBB6_834
.LBB6_831:
	s_branch .LBB6_834
.LBB6_832:                              ; =>This Inner Loop Header: Depth=1
	v_mov_b32_e32 v0, 1
	s_and_saveexec_b64 s[20:21], s[4:5]
	s_cbranch_execz .LBB6_829
; %bb.833:                              ;   in Loop: Header=BB6_832 Depth=1
	global_load_dword v0, v[10:11], off offset:20 glc
	s_waitcnt vmcnt(0)
	buffer_wbinvl1_vol
	v_and_b32_e32 v0, 1, v0
	s_branch .LBB6_829
.LBB6_834:
	s_and_saveexec_b64 s[20:21], s[4:5]
	s_cbranch_execz .LBB6_837
; %bb.835:
	v_mov_b32_e32 v6, 0
	global_load_dwordx2 v[2:3], v6, s[6:7] offset:40
	global_load_dwordx2 v[7:8], v6, s[6:7] offset:24 glc
	global_load_dwordx2 v[4:5], v6, s[6:7]
	v_mov_b32_e32 v1, s19
	s_mov_b64 s[4:5], 0
	s_waitcnt vmcnt(2)
	v_add_co_u32_e32 v9, vcc, 1, v2
	v_addc_co_u32_e32 v10, vcc, 0, v3, vcc
	v_add_co_u32_e32 v0, vcc, s18, v9
	v_addc_co_u32_e32 v1, vcc, v10, v1, vcc
	v_cmp_eq_u64_e32 vcc, 0, v[0:1]
	v_cndmask_b32_e32 v1, v1, v10, vcc
	v_cndmask_b32_e32 v0, v0, v9, vcc
	v_and_b32_e32 v3, v1, v3
	v_and_b32_e32 v2, v0, v2
	v_mul_lo_u32 v3, v3, 24
	v_mul_hi_u32 v9, v2, 24
	v_mul_lo_u32 v10, v2, 24
	s_waitcnt vmcnt(1)
	v_mov_b32_e32 v2, v7
	v_add_u32_e32 v3, v9, v3
	s_waitcnt vmcnt(0)
	v_add_co_u32_e32 v4, vcc, v4, v10
	v_addc_co_u32_e32 v5, vcc, v5, v3, vcc
	global_store_dwordx2 v[4:5], v[7:8], off
	v_mov_b32_e32 v3, v8
	s_waitcnt vmcnt(0)
	global_atomic_cmpswap_x2 v[2:3], v6, v[0:3], s[6:7] offset:24 glc
	s_waitcnt vmcnt(0)
	v_cmp_ne_u64_e32 vcc, v[2:3], v[7:8]
	s_and_b64 exec, exec, vcc
	s_cbranch_execz .LBB6_837
.LBB6_836:                              ; =>This Inner Loop Header: Depth=1
	s_sleep 1
	global_store_dwordx2 v[4:5], v[2:3], off
	s_waitcnt vmcnt(0)
	global_atomic_cmpswap_x2 v[7:8], v6, v[0:3], s[6:7] offset:24 glc
	s_waitcnt vmcnt(0)
	v_cmp_eq_u64_e32 vcc, v[7:8], v[2:3]
	v_mov_b32_e32 v2, v7
	s_or_b64 s[4:5], vcc, s[4:5]
	v_mov_b32_e32 v3, v8
	s_andn2_b64 exec, exec, s[4:5]
	s_cbranch_execnz .LBB6_836
.LBB6_837:
	s_or_b64 exec, exec, s[20:21]
	v_readfirstlane_b32 s4, v32
	v_mov_b32_e32 v5, 0
	v_mov_b32_e32 v6, 0
	v_cmp_eq_u32_e64 s[4:5], s4, v32
	s_and_saveexec_b64 s[18:19], s[4:5]
	s_cbranch_execz .LBB6_843
; %bb.838:
	v_mov_b32_e32 v0, 0
	global_load_dwordx2 v[3:4], v0, s[6:7] offset:24 glc
	s_waitcnt vmcnt(0)
	buffer_wbinvl1_vol
	global_load_dwordx2 v[1:2], v0, s[6:7] offset:40
	global_load_dwordx2 v[5:6], v0, s[6:7]
	s_waitcnt vmcnt(1)
	v_and_b32_e32 v1, v1, v3
	v_and_b32_e32 v2, v2, v4
	v_mul_lo_u32 v2, v2, 24
	v_mul_hi_u32 v7, v1, 24
	v_mul_lo_u32 v1, v1, 24
	v_add_u32_e32 v2, v7, v2
	s_waitcnt vmcnt(0)
	v_add_co_u32_e32 v1, vcc, v5, v1
	v_addc_co_u32_e32 v2, vcc, v6, v2, vcc
	global_load_dwordx2 v[1:2], v[1:2], off glc
	s_waitcnt vmcnt(0)
	global_atomic_cmpswap_x2 v[5:6], v0, v[1:4], s[6:7] offset:24 glc
	s_waitcnt vmcnt(0)
	buffer_wbinvl1_vol
	v_cmp_ne_u64_e32 vcc, v[5:6], v[3:4]
	s_and_saveexec_b64 s[20:21], vcc
	s_cbranch_execz .LBB6_842
; %bb.839:
	s_mov_b64 s[22:23], 0
.LBB6_840:                              ; =>This Inner Loop Header: Depth=1
	s_sleep 1
	global_load_dwordx2 v[1:2], v0, s[6:7] offset:40
	global_load_dwordx2 v[7:8], v0, s[6:7]
	v_mov_b32_e32 v3, v5
	v_mov_b32_e32 v4, v6
	s_waitcnt vmcnt(1)
	v_and_b32_e32 v1, v1, v3
	s_waitcnt vmcnt(0)
	v_mad_u64_u32 v[5:6], s[24:25], v1, 24, v[7:8]
	v_and_b32_e32 v2, v2, v4
	v_mov_b32_e32 v1, v6
	v_mad_u64_u32 v[1:2], s[24:25], v2, 24, v[1:2]
	v_mov_b32_e32 v6, v1
	global_load_dwordx2 v[1:2], v[5:6], off glc
	s_waitcnt vmcnt(0)
	global_atomic_cmpswap_x2 v[5:6], v0, v[1:4], s[6:7] offset:24 glc
	s_waitcnt vmcnt(0)
	buffer_wbinvl1_vol
	v_cmp_eq_u64_e32 vcc, v[5:6], v[3:4]
	s_or_b64 s[22:23], vcc, s[22:23]
	s_andn2_b64 exec, exec, s[22:23]
	s_cbranch_execnz .LBB6_840
; %bb.841:
	s_or_b64 exec, exec, s[22:23]
.LBB6_842:
	s_or_b64 exec, exec, s[20:21]
.LBB6_843:
	s_or_b64 exec, exec, s[18:19]
	v_mov_b32_e32 v4, 0
	global_load_dwordx2 v[7:8], v4, s[6:7] offset:40
	global_load_dwordx4 v[0:3], v4, s[6:7]
	v_readfirstlane_b32 s18, v5
	v_readfirstlane_b32 s19, v6
	s_mov_b64 s[20:21], exec
	s_waitcnt vmcnt(1)
	v_readfirstlane_b32 s22, v7
	v_readfirstlane_b32 s23, v8
	s_and_b64 s[22:23], s[18:19], s[22:23]
	s_mul_i32 s15, s23, 24
	s_mul_hi_u32 s24, s22, 24
	s_mul_i32 s25, s22, 24
	s_add_i32 s15, s24, s15
	v_mov_b32_e32 v5, s15
	s_waitcnt vmcnt(0)
	v_add_co_u32_e32 v7, vcc, s25, v0
	v_addc_co_u32_e32 v8, vcc, v1, v5, vcc
	s_and_saveexec_b64 s[24:25], s[4:5]
	s_cbranch_execz .LBB6_845
; %bb.844:
	v_mov_b32_e32 v9, s20
	v_mov_b32_e32 v10, s21
	;; [unrolled: 1-line block ×4, first 2 shown]
	global_store_dwordx4 v[7:8], v[9:12], off offset:8
.LBB6_845:
	s_or_b64 exec, exec, s[24:25]
	s_lshl_b64 s[20:21], s[22:23], 12
	v_mov_b32_e32 v5, s21
	v_add_co_u32_e32 v2, vcc, s20, v2
	v_addc_co_u32_e32 v11, vcc, v3, v5, vcc
	s_mov_b32 s20, 0
	v_mov_b32_e32 v3, 33
	v_mov_b32_e32 v5, v4
	;; [unrolled: 1-line block ×3, first 2 shown]
	v_readfirstlane_b32 s24, v2
	v_readfirstlane_b32 s25, v11
	v_add_co_u32_e32 v9, vcc, v2, v31
	s_mov_b32 s21, s20
	s_mov_b32 s22, s20
	;; [unrolled: 1-line block ×3, first 2 shown]
	s_nop 0
	global_store_dwordx4 v31, v[3:6], s[24:25]
	v_mov_b32_e32 v2, s20
	v_addc_co_u32_e32 v10, vcc, 0, v11, vcc
	v_mov_b32_e32 v3, s21
	v_mov_b32_e32 v4, s22
	;; [unrolled: 1-line block ×3, first 2 shown]
	global_store_dwordx4 v31, v[2:5], s[24:25] offset:16
	global_store_dwordx4 v31, v[2:5], s[24:25] offset:32
	;; [unrolled: 1-line block ×3, first 2 shown]
	s_and_saveexec_b64 s[20:21], s[4:5]
	s_cbranch_execz .LBB6_853
; %bb.846:
	v_mov_b32_e32 v6, 0
	global_load_dwordx2 v[13:14], v6, s[6:7] offset:32 glc
	global_load_dwordx2 v[2:3], v6, s[6:7] offset:40
	v_mov_b32_e32 v11, s18
	v_mov_b32_e32 v12, s19
	s_waitcnt vmcnt(0)
	v_readfirstlane_b32 s22, v2
	v_readfirstlane_b32 s23, v3
	s_and_b64 s[22:23], s[22:23], s[18:19]
	s_mul_i32 s15, s23, 24
	s_mul_hi_u32 s23, s22, 24
	s_mul_i32 s22, s22, 24
	s_add_i32 s15, s23, s15
	v_mov_b32_e32 v2, s15
	v_add_co_u32_e32 v4, vcc, s22, v0
	v_addc_co_u32_e32 v5, vcc, v1, v2, vcc
	global_store_dwordx2 v[4:5], v[13:14], off
	s_waitcnt vmcnt(0)
	global_atomic_cmpswap_x2 v[2:3], v6, v[11:14], s[6:7] offset:32 glc
	s_waitcnt vmcnt(0)
	v_cmp_ne_u64_e32 vcc, v[2:3], v[13:14]
	s_and_saveexec_b64 s[22:23], vcc
	s_cbranch_execz .LBB6_849
; %bb.847:
	s_mov_b64 s[24:25], 0
.LBB6_848:                              ; =>This Inner Loop Header: Depth=1
	s_sleep 1
	global_store_dwordx2 v[4:5], v[2:3], off
	v_mov_b32_e32 v0, s18
	v_mov_b32_e32 v1, s19
	s_waitcnt vmcnt(0)
	global_atomic_cmpswap_x2 v[0:1], v6, v[0:3], s[6:7] offset:32 glc
	s_waitcnt vmcnt(0)
	v_cmp_eq_u64_e32 vcc, v[0:1], v[2:3]
	v_mov_b32_e32 v3, v1
	s_or_b64 s[24:25], vcc, s[24:25]
	v_mov_b32_e32 v2, v0
	s_andn2_b64 exec, exec, s[24:25]
	s_cbranch_execnz .LBB6_848
.LBB6_849:
	s_or_b64 exec, exec, s[22:23]
	v_mov_b32_e32 v3, 0
	global_load_dwordx2 v[0:1], v3, s[6:7] offset:16
	s_mov_b64 s[22:23], exec
	v_mbcnt_lo_u32_b32 v2, s22, 0
	v_mbcnt_hi_u32_b32 v2, s23, v2
	v_cmp_eq_u32_e32 vcc, 0, v2
	s_and_saveexec_b64 s[24:25], vcc
	s_cbranch_execz .LBB6_851
; %bb.850:
	s_bcnt1_i32_b64 s15, s[22:23]
	v_mov_b32_e32 v2, s15
	s_waitcnt vmcnt(0)
	global_atomic_add_x2 v[0:1], v[2:3], off offset:8
.LBB6_851:
	s_or_b64 exec, exec, s[24:25]
	s_waitcnt vmcnt(0)
	global_load_dwordx2 v[2:3], v[0:1], off offset:16
	s_waitcnt vmcnt(0)
	v_cmp_eq_u64_e32 vcc, 0, v[2:3]
	s_cbranch_vccnz .LBB6_853
; %bb.852:
	global_load_dword v0, v[0:1], off offset:24
	v_mov_b32_e32 v1, 0
	s_waitcnt vmcnt(0)
	global_store_dwordx2 v[2:3], v[0:1], off
	v_and_b32_e32 v0, 0xffffff, v0
	v_readfirstlane_b32 m0, v0
	s_sendmsg sendmsg(MSG_INTERRUPT)
.LBB6_853:
	s_or_b64 exec, exec, s[20:21]
	s_branch .LBB6_857
.LBB6_854:                              ;   in Loop: Header=BB6_857 Depth=1
	s_or_b64 exec, exec, s[20:21]
	v_readfirstlane_b32 s15, v0
	s_cmp_eq_u32 s15, 0
	s_cbranch_scc1 .LBB6_856
; %bb.855:                              ;   in Loop: Header=BB6_857 Depth=1
	s_sleep 1
	s_cbranch_execnz .LBB6_857
	s_branch .LBB6_859
.LBB6_856:
	s_branch .LBB6_859
.LBB6_857:                              ; =>This Inner Loop Header: Depth=1
	v_mov_b32_e32 v0, 1
	s_and_saveexec_b64 s[20:21], s[4:5]
	s_cbranch_execz .LBB6_854
; %bb.858:                              ;   in Loop: Header=BB6_857 Depth=1
	global_load_dword v0, v[7:8], off offset:20 glc
	s_waitcnt vmcnt(0)
	buffer_wbinvl1_vol
	v_and_b32_e32 v0, 1, v0
	s_branch .LBB6_854
.LBB6_859:
	global_load_dwordx2 v[0:1], v[9:10], off
	s_and_saveexec_b64 s[20:21], s[4:5]
	s_cbranch_execz .LBB6_862
; %bb.860:
	v_mov_b32_e32 v8, 0
	global_load_dwordx2 v[4:5], v8, s[6:7] offset:40
	global_load_dwordx2 v[9:10], v8, s[6:7] offset:24 glc
	global_load_dwordx2 v[6:7], v8, s[6:7]
	v_mov_b32_e32 v3, s19
	s_mov_b64 s[4:5], 0
	s_waitcnt vmcnt(2)
	v_add_co_u32_e32 v11, vcc, 1, v4
	v_addc_co_u32_e32 v12, vcc, 0, v5, vcc
	v_add_co_u32_e32 v2, vcc, s18, v11
	v_addc_co_u32_e32 v3, vcc, v12, v3, vcc
	v_cmp_eq_u64_e32 vcc, 0, v[2:3]
	v_cndmask_b32_e32 v3, v3, v12, vcc
	v_cndmask_b32_e32 v2, v2, v11, vcc
	v_and_b32_e32 v5, v3, v5
	v_and_b32_e32 v4, v2, v4
	v_mul_lo_u32 v5, v5, 24
	v_mul_hi_u32 v11, v4, 24
	v_mul_lo_u32 v12, v4, 24
	s_waitcnt vmcnt(1)
	v_mov_b32_e32 v4, v9
	v_add_u32_e32 v5, v11, v5
	s_waitcnt vmcnt(0)
	v_add_co_u32_e32 v6, vcc, v6, v12
	v_addc_co_u32_e32 v7, vcc, v7, v5, vcc
	global_store_dwordx2 v[6:7], v[9:10], off
	v_mov_b32_e32 v5, v10
	s_waitcnt vmcnt(0)
	global_atomic_cmpswap_x2 v[4:5], v8, v[2:5], s[6:7] offset:24 glc
	s_waitcnt vmcnt(0)
	v_cmp_ne_u64_e32 vcc, v[4:5], v[9:10]
	s_and_b64 exec, exec, vcc
	s_cbranch_execz .LBB6_862
.LBB6_861:                              ; =>This Inner Loop Header: Depth=1
	s_sleep 1
	global_store_dwordx2 v[6:7], v[4:5], off
	s_waitcnt vmcnt(0)
	global_atomic_cmpswap_x2 v[9:10], v8, v[2:5], s[6:7] offset:24 glc
	s_waitcnt vmcnt(0)
	v_cmp_eq_u64_e32 vcc, v[9:10], v[4:5]
	v_mov_b32_e32 v4, v9
	s_or_b64 s[4:5], vcc, s[4:5]
	v_mov_b32_e32 v5, v10
	s_andn2_b64 exec, exec, s[4:5]
	s_cbranch_execnz .LBB6_861
.LBB6_862:
	s_or_b64 exec, exec, s[20:21]
	s_getpc_b64 s[18:19]
	s_add_u32 s18, s18, .str.7@rel32@lo+4
	s_addc_u32 s19, s19, .str.7@rel32@hi+12
	s_cmp_lg_u64 s[18:19], 0
	s_cbranch_scc0 .LBB6_947
; %bb.863:
	s_waitcnt vmcnt(0)
	v_and_b32_e32 v33, 2, v0
	v_mov_b32_e32 v28, 0
	v_and_b32_e32 v2, -3, v0
	v_mov_b32_e32 v3, v1
	s_mov_b64 s[20:21], 4
	v_mov_b32_e32 v6, 2
	v_mov_b32_e32 v7, 1
	s_branch .LBB6_865
.LBB6_864:                              ;   in Loop: Header=BB6_865 Depth=1
	s_or_b64 exec, exec, s[26:27]
	s_sub_u32 s20, s20, s22
	s_subb_u32 s21, s21, s23
	s_add_u32 s18, s18, s22
	s_addc_u32 s19, s19, s23
	s_cmp_lg_u64 s[20:21], 0
	s_cbranch_scc0 .LBB6_946
.LBB6_865:                              ; =>This Loop Header: Depth=1
                                        ;     Child Loop BB6_868 Depth 2
                                        ;     Child Loop BB6_875 Depth 2
	;; [unrolled: 1-line block ×11, first 2 shown]
	v_cmp_lt_u64_e64 s[4:5], s[20:21], 56
	v_cmp_gt_u64_e64 s[24:25], s[20:21], 7
	s_and_b64 s[4:5], s[4:5], exec
	s_cselect_b32 s23, s21, 0
	s_cselect_b32 s22, s20, 56
	s_and_b64 vcc, exec, s[24:25]
	s_cbranch_vccnz .LBB6_870
; %bb.866:                              ;   in Loop: Header=BB6_865 Depth=1
	v_mov_b32_e32 v10, 0
	s_cmp_eq_u64 s[20:21], 0
	v_mov_b32_e32 v11, 0
	s_mov_b64 s[4:5], 0
	s_cbranch_scc1 .LBB6_869
; %bb.867:                              ;   in Loop: Header=BB6_865 Depth=1
	v_mov_b32_e32 v10, 0
	s_lshl_b64 s[24:25], s[22:23], 3
	s_mov_b64 s[26:27], 0
	v_mov_b32_e32 v11, 0
	s_mov_b64 s[28:29], s[18:19]
.LBB6_868:                              ;   Parent Loop BB6_865 Depth=1
                                        ; =>  This Inner Loop Header: Depth=2
	global_load_ubyte v4, v28, s[28:29]
	s_waitcnt vmcnt(0)
	v_and_b32_e32 v27, 0xffff, v4
	v_lshlrev_b64 v[4:5], s26, v[27:28]
	s_add_u32 s26, s26, 8
	s_addc_u32 s27, s27, 0
	s_add_u32 s28, s28, 1
	s_addc_u32 s29, s29, 0
	v_or_b32_e32 v10, v4, v10
	s_cmp_lg_u32 s24, s26
	v_or_b32_e32 v11, v5, v11
	s_cbranch_scc1 .LBB6_868
.LBB6_869:                              ;   in Loop: Header=BB6_865 Depth=1
	s_mov_b32 s15, 0
	s_andn2_b64 vcc, exec, s[4:5]
	s_mov_b64 s[4:5], s[18:19]
	s_cbranch_vccz .LBB6_871
	s_branch .LBB6_872
.LBB6_870:                              ;   in Loop: Header=BB6_865 Depth=1
                                        ; implicit-def: $vgpr10_vgpr11
                                        ; implicit-def: $sgpr15
	s_mov_b64 s[4:5], s[18:19]
.LBB6_871:                              ;   in Loop: Header=BB6_865 Depth=1
	global_load_dwordx2 v[10:11], v28, s[18:19]
	s_add_i32 s15, s22, -8
	s_add_u32 s4, s18, 8
	s_addc_u32 s5, s19, 0
.LBB6_872:                              ;   in Loop: Header=BB6_865 Depth=1
	s_cmp_gt_u32 s15, 7
	s_cbranch_scc1 .LBB6_876
; %bb.873:                              ;   in Loop: Header=BB6_865 Depth=1
	s_cmp_eq_u32 s15, 0
	s_cbranch_scc1 .LBB6_877
; %bb.874:                              ;   in Loop: Header=BB6_865 Depth=1
	v_mov_b32_e32 v12, 0
	s_mov_b64 s[24:25], 0
	v_mov_b32_e32 v13, 0
	s_mov_b64 s[26:27], 0
.LBB6_875:                              ;   Parent Loop BB6_865 Depth=1
                                        ; =>  This Inner Loop Header: Depth=2
	s_add_u32 s28, s4, s26
	s_addc_u32 s29, s5, s27
	global_load_ubyte v4, v28, s[28:29]
	s_add_u32 s26, s26, 1
	s_addc_u32 s27, s27, 0
	s_waitcnt vmcnt(0)
	v_and_b32_e32 v27, 0xffff, v4
	v_lshlrev_b64 v[4:5], s24, v[27:28]
	s_add_u32 s24, s24, 8
	s_addc_u32 s25, s25, 0
	v_or_b32_e32 v12, v4, v12
	s_cmp_lg_u32 s15, s26
	v_or_b32_e32 v13, v5, v13
	s_cbranch_scc1 .LBB6_875
	s_branch .LBB6_878
.LBB6_876:                              ;   in Loop: Header=BB6_865 Depth=1
                                        ; implicit-def: $vgpr12_vgpr13
                                        ; implicit-def: $sgpr28
	s_branch .LBB6_879
.LBB6_877:                              ;   in Loop: Header=BB6_865 Depth=1
	v_mov_b32_e32 v12, 0
	v_mov_b32_e32 v13, 0
.LBB6_878:                              ;   in Loop: Header=BB6_865 Depth=1
	s_mov_b32 s28, 0
	s_cbranch_execnz .LBB6_880
.LBB6_879:                              ;   in Loop: Header=BB6_865 Depth=1
	global_load_dwordx2 v[12:13], v28, s[4:5]
	s_add_i32 s28, s15, -8
	s_add_u32 s4, s4, 8
	s_addc_u32 s5, s5, 0
.LBB6_880:                              ;   in Loop: Header=BB6_865 Depth=1
	s_cmp_gt_u32 s28, 7
	s_cbranch_scc1 .LBB6_884
; %bb.881:                              ;   in Loop: Header=BB6_865 Depth=1
	s_cmp_eq_u32 s28, 0
	s_cbranch_scc1 .LBB6_885
; %bb.882:                              ;   in Loop: Header=BB6_865 Depth=1
	v_mov_b32_e32 v14, 0
	s_mov_b64 s[24:25], 0
	v_mov_b32_e32 v15, 0
	s_mov_b64 s[26:27], 0
.LBB6_883:                              ;   Parent Loop BB6_865 Depth=1
                                        ; =>  This Inner Loop Header: Depth=2
	s_add_u32 vcc_lo, s4, s26
	s_addc_u32 vcc_hi, s5, s27
	global_load_ubyte v4, v28, vcc
	s_add_u32 s26, s26, 1
	s_addc_u32 s27, s27, 0
	s_waitcnt vmcnt(0)
	v_and_b32_e32 v27, 0xffff, v4
	v_lshlrev_b64 v[4:5], s24, v[27:28]
	s_add_u32 s24, s24, 8
	s_addc_u32 s25, s25, 0
	v_or_b32_e32 v14, v4, v14
	s_cmp_lg_u32 s28, s26
	v_or_b32_e32 v15, v5, v15
	s_cbranch_scc1 .LBB6_883
	s_branch .LBB6_886
.LBB6_884:                              ;   in Loop: Header=BB6_865 Depth=1
                                        ; implicit-def: $sgpr15
	s_branch .LBB6_887
.LBB6_885:                              ;   in Loop: Header=BB6_865 Depth=1
	v_mov_b32_e32 v14, 0
	v_mov_b32_e32 v15, 0
.LBB6_886:                              ;   in Loop: Header=BB6_865 Depth=1
	s_mov_b32 s15, 0
	s_cbranch_execnz .LBB6_888
.LBB6_887:                              ;   in Loop: Header=BB6_865 Depth=1
	global_load_dwordx2 v[14:15], v28, s[4:5]
	s_add_i32 s15, s28, -8
	s_add_u32 s4, s4, 8
	s_addc_u32 s5, s5, 0
.LBB6_888:                              ;   in Loop: Header=BB6_865 Depth=1
	s_cmp_gt_u32 s15, 7
	s_cbranch_scc1 .LBB6_892
; %bb.889:                              ;   in Loop: Header=BB6_865 Depth=1
	s_cmp_eq_u32 s15, 0
	s_cbranch_scc1 .LBB6_893
; %bb.890:                              ;   in Loop: Header=BB6_865 Depth=1
	v_mov_b32_e32 v16, 0
	s_mov_b64 s[24:25], 0
	v_mov_b32_e32 v17, 0
	s_mov_b64 s[26:27], 0
.LBB6_891:                              ;   Parent Loop BB6_865 Depth=1
                                        ; =>  This Inner Loop Header: Depth=2
	s_add_u32 s28, s4, s26
	s_addc_u32 s29, s5, s27
	global_load_ubyte v4, v28, s[28:29]
	s_add_u32 s26, s26, 1
	s_addc_u32 s27, s27, 0
	s_waitcnt vmcnt(0)
	v_and_b32_e32 v27, 0xffff, v4
	v_lshlrev_b64 v[4:5], s24, v[27:28]
	s_add_u32 s24, s24, 8
	s_addc_u32 s25, s25, 0
	v_or_b32_e32 v16, v4, v16
	s_cmp_lg_u32 s15, s26
	v_or_b32_e32 v17, v5, v17
	s_cbranch_scc1 .LBB6_891
	s_branch .LBB6_894
.LBB6_892:                              ;   in Loop: Header=BB6_865 Depth=1
                                        ; implicit-def: $vgpr16_vgpr17
                                        ; implicit-def: $sgpr28
	s_branch .LBB6_895
.LBB6_893:                              ;   in Loop: Header=BB6_865 Depth=1
	v_mov_b32_e32 v16, 0
	v_mov_b32_e32 v17, 0
.LBB6_894:                              ;   in Loop: Header=BB6_865 Depth=1
	s_mov_b32 s28, 0
	s_cbranch_execnz .LBB6_896
.LBB6_895:                              ;   in Loop: Header=BB6_865 Depth=1
	global_load_dwordx2 v[16:17], v28, s[4:5]
	s_add_i32 s28, s15, -8
	s_add_u32 s4, s4, 8
	s_addc_u32 s5, s5, 0
.LBB6_896:                              ;   in Loop: Header=BB6_865 Depth=1
	s_cmp_gt_u32 s28, 7
	s_cbranch_scc1 .LBB6_900
; %bb.897:                              ;   in Loop: Header=BB6_865 Depth=1
	s_cmp_eq_u32 s28, 0
	s_cbranch_scc1 .LBB6_901
; %bb.898:                              ;   in Loop: Header=BB6_865 Depth=1
	v_mov_b32_e32 v18, 0
	s_mov_b64 s[24:25], 0
	v_mov_b32_e32 v19, 0
	s_mov_b64 s[26:27], 0
.LBB6_899:                              ;   Parent Loop BB6_865 Depth=1
                                        ; =>  This Inner Loop Header: Depth=2
	s_add_u32 vcc_lo, s4, s26
	s_addc_u32 vcc_hi, s5, s27
	global_load_ubyte v4, v28, vcc
	s_add_u32 s26, s26, 1
	s_addc_u32 s27, s27, 0
	s_waitcnt vmcnt(0)
	v_and_b32_e32 v27, 0xffff, v4
	v_lshlrev_b64 v[4:5], s24, v[27:28]
	s_add_u32 s24, s24, 8
	s_addc_u32 s25, s25, 0
	v_or_b32_e32 v18, v4, v18
	s_cmp_lg_u32 s28, s26
	v_or_b32_e32 v19, v5, v19
	s_cbranch_scc1 .LBB6_899
	s_branch .LBB6_902
.LBB6_900:                              ;   in Loop: Header=BB6_865 Depth=1
                                        ; implicit-def: $sgpr15
	s_branch .LBB6_903
.LBB6_901:                              ;   in Loop: Header=BB6_865 Depth=1
	v_mov_b32_e32 v18, 0
	v_mov_b32_e32 v19, 0
.LBB6_902:                              ;   in Loop: Header=BB6_865 Depth=1
	s_mov_b32 s15, 0
	s_cbranch_execnz .LBB6_904
.LBB6_903:                              ;   in Loop: Header=BB6_865 Depth=1
	global_load_dwordx2 v[18:19], v28, s[4:5]
	s_add_i32 s15, s28, -8
	s_add_u32 s4, s4, 8
	s_addc_u32 s5, s5, 0
.LBB6_904:                              ;   in Loop: Header=BB6_865 Depth=1
	s_cmp_gt_u32 s15, 7
	s_cbranch_scc1 .LBB6_908
; %bb.905:                              ;   in Loop: Header=BB6_865 Depth=1
	s_cmp_eq_u32 s15, 0
	s_cbranch_scc1 .LBB6_909
; %bb.906:                              ;   in Loop: Header=BB6_865 Depth=1
	v_mov_b32_e32 v20, 0
	s_mov_b64 s[24:25], 0
	v_mov_b32_e32 v21, 0
	s_mov_b64 s[26:27], 0
.LBB6_907:                              ;   Parent Loop BB6_865 Depth=1
                                        ; =>  This Inner Loop Header: Depth=2
	s_add_u32 s28, s4, s26
	s_addc_u32 s29, s5, s27
	global_load_ubyte v4, v28, s[28:29]
	s_add_u32 s26, s26, 1
	s_addc_u32 s27, s27, 0
	s_waitcnt vmcnt(0)
	v_and_b32_e32 v27, 0xffff, v4
	v_lshlrev_b64 v[4:5], s24, v[27:28]
	s_add_u32 s24, s24, 8
	s_addc_u32 s25, s25, 0
	v_or_b32_e32 v20, v4, v20
	s_cmp_lg_u32 s15, s26
	v_or_b32_e32 v21, v5, v21
	s_cbranch_scc1 .LBB6_907
	s_branch .LBB6_910
.LBB6_908:                              ;   in Loop: Header=BB6_865 Depth=1
                                        ; implicit-def: $vgpr20_vgpr21
                                        ; implicit-def: $sgpr28
	s_branch .LBB6_911
.LBB6_909:                              ;   in Loop: Header=BB6_865 Depth=1
	v_mov_b32_e32 v20, 0
	v_mov_b32_e32 v21, 0
.LBB6_910:                              ;   in Loop: Header=BB6_865 Depth=1
	s_mov_b32 s28, 0
	s_cbranch_execnz .LBB6_912
.LBB6_911:                              ;   in Loop: Header=BB6_865 Depth=1
	global_load_dwordx2 v[20:21], v28, s[4:5]
	s_add_i32 s28, s15, -8
	s_add_u32 s4, s4, 8
	s_addc_u32 s5, s5, 0
.LBB6_912:                              ;   in Loop: Header=BB6_865 Depth=1
	s_cmp_gt_u32 s28, 7
	s_cbranch_scc1 .LBB6_916
; %bb.913:                              ;   in Loop: Header=BB6_865 Depth=1
	s_cmp_eq_u32 s28, 0
	s_cbranch_scc1 .LBB6_917
; %bb.914:                              ;   in Loop: Header=BB6_865 Depth=1
	v_mov_b32_e32 v22, 0
	s_mov_b64 s[24:25], 0
	v_mov_b32_e32 v23, 0
	s_mov_b64 s[26:27], s[4:5]
.LBB6_915:                              ;   Parent Loop BB6_865 Depth=1
                                        ; =>  This Inner Loop Header: Depth=2
	global_load_ubyte v4, v28, s[26:27]
	s_add_i32 s28, s28, -1
	s_waitcnt vmcnt(0)
	v_and_b32_e32 v27, 0xffff, v4
	v_lshlrev_b64 v[4:5], s24, v[27:28]
	s_add_u32 s24, s24, 8
	s_addc_u32 s25, s25, 0
	s_add_u32 s26, s26, 1
	s_addc_u32 s27, s27, 0
	v_or_b32_e32 v22, v4, v22
	s_cmp_lg_u32 s28, 0
	v_or_b32_e32 v23, v5, v23
	s_cbranch_scc1 .LBB6_915
	s_branch .LBB6_918
.LBB6_916:                              ;   in Loop: Header=BB6_865 Depth=1
	s_branch .LBB6_919
.LBB6_917:                              ;   in Loop: Header=BB6_865 Depth=1
	v_mov_b32_e32 v22, 0
	v_mov_b32_e32 v23, 0
.LBB6_918:                              ;   in Loop: Header=BB6_865 Depth=1
	s_cbranch_execnz .LBB6_920
.LBB6_919:                              ;   in Loop: Header=BB6_865 Depth=1
	global_load_dwordx2 v[22:23], v28, s[4:5]
.LBB6_920:                              ;   in Loop: Header=BB6_865 Depth=1
	v_readfirstlane_b32 s4, v32
	s_waitcnt vmcnt(0)
	v_mov_b32_e32 v4, 0
	v_mov_b32_e32 v5, 0
	v_cmp_eq_u32_e64 s[4:5], s4, v32
	s_and_saveexec_b64 s[24:25], s[4:5]
	s_cbranch_execz .LBB6_926
; %bb.921:                              ;   in Loop: Header=BB6_865 Depth=1
	global_load_dwordx2 v[26:27], v28, s[6:7] offset:24 glc
	s_waitcnt vmcnt(0)
	buffer_wbinvl1_vol
	global_load_dwordx2 v[4:5], v28, s[6:7] offset:40
	global_load_dwordx2 v[8:9], v28, s[6:7]
	s_waitcnt vmcnt(1)
	v_and_b32_e32 v4, v4, v26
	v_and_b32_e32 v5, v5, v27
	v_mul_lo_u32 v5, v5, 24
	v_mul_hi_u32 v24, v4, 24
	v_mul_lo_u32 v4, v4, 24
	v_add_u32_e32 v5, v24, v5
	s_waitcnt vmcnt(0)
	v_add_co_u32_e32 v4, vcc, v8, v4
	v_addc_co_u32_e32 v5, vcc, v9, v5, vcc
	global_load_dwordx2 v[24:25], v[4:5], off glc
	s_waitcnt vmcnt(0)
	global_atomic_cmpswap_x2 v[4:5], v28, v[24:27], s[6:7] offset:24 glc
	s_waitcnt vmcnt(0)
	buffer_wbinvl1_vol
	v_cmp_ne_u64_e32 vcc, v[4:5], v[26:27]
	s_and_saveexec_b64 s[26:27], vcc
	s_cbranch_execz .LBB6_925
; %bb.922:                              ;   in Loop: Header=BB6_865 Depth=1
	s_mov_b64 s[28:29], 0
.LBB6_923:                              ;   Parent Loop BB6_865 Depth=1
                                        ; =>  This Inner Loop Header: Depth=2
	s_sleep 1
	global_load_dwordx2 v[8:9], v28, s[6:7] offset:40
	global_load_dwordx2 v[24:25], v28, s[6:7]
	v_mov_b32_e32 v27, v5
	v_mov_b32_e32 v26, v4
	s_waitcnt vmcnt(1)
	v_and_b32_e32 v4, v8, v26
	s_waitcnt vmcnt(0)
	v_mad_u64_u32 v[4:5], vcc, v4, 24, v[24:25]
	v_and_b32_e32 v8, v9, v27
	v_mad_u64_u32 v[8:9], vcc, v8, 24, v[5:6]
	v_mov_b32_e32 v5, v8
	global_load_dwordx2 v[24:25], v[4:5], off glc
	s_waitcnt vmcnt(0)
	global_atomic_cmpswap_x2 v[4:5], v28, v[24:27], s[6:7] offset:24 glc
	s_waitcnt vmcnt(0)
	buffer_wbinvl1_vol
	v_cmp_eq_u64_e32 vcc, v[4:5], v[26:27]
	s_or_b64 s[28:29], vcc, s[28:29]
	s_andn2_b64 exec, exec, s[28:29]
	s_cbranch_execnz .LBB6_923
; %bb.924:                              ;   in Loop: Header=BB6_865 Depth=1
	s_or_b64 exec, exec, s[28:29]
.LBB6_925:                              ;   in Loop: Header=BB6_865 Depth=1
	s_or_b64 exec, exec, s[26:27]
.LBB6_926:                              ;   in Loop: Header=BB6_865 Depth=1
	s_or_b64 exec, exec, s[24:25]
	global_load_dwordx2 v[8:9], v28, s[6:7] offset:40
	global_load_dwordx4 v[24:27], v28, s[6:7]
	v_readfirstlane_b32 s24, v4
	v_readfirstlane_b32 s25, v5
	s_mov_b64 s[26:27], exec
	s_waitcnt vmcnt(1)
	v_readfirstlane_b32 s28, v8
	v_readfirstlane_b32 s29, v9
	s_and_b64 s[28:29], s[24:25], s[28:29]
	s_mul_i32 s15, s29, 24
	s_mul_hi_u32 vcc_lo, s28, 24
	s_mul_i32 vcc_hi, s28, 24
	s_add_i32 s15, vcc_lo, s15
	v_mov_b32_e32 v4, s15
	s_waitcnt vmcnt(0)
	v_add_co_u32_e32 v29, vcc, vcc_hi, v24
	v_addc_co_u32_e32 v30, vcc, v25, v4, vcc
	s_and_saveexec_b64 vcc, s[4:5]
	s_cbranch_execz .LBB6_928
; %bb.927:                              ;   in Loop: Header=BB6_865 Depth=1
	v_mov_b32_e32 v4, s26
	v_mov_b32_e32 v5, s27
	global_store_dwordx4 v[29:30], v[4:7], off offset:8
.LBB6_928:                              ;   in Loop: Header=BB6_865 Depth=1
	s_or_b64 exec, exec, vcc
	s_lshl_b64 s[26:27], s[28:29], 12
	v_mov_b32_e32 v4, s27
	v_add_co_u32_e32 v26, vcc, s26, v26
	v_addc_co_u32_e32 v34, vcc, v27, v4, vcc
	v_cmp_gt_u64_e64 vcc, s[20:21], 56
	v_or_b32_e32 v5, v2, v33
	s_lshl_b32 s15, s22, 2
	v_cndmask_b32_e32 v2, v5, v2, vcc
	s_add_i32 s15, s15, 28
	v_or_b32_e32 v4, 0, v3
	s_and_b32 s15, s15, 0x1e0
	v_and_b32_e32 v2, 0xffffff1f, v2
	v_cndmask_b32_e32 v9, v4, v3, vcc
	v_or_b32_e32 v8, s15, v2
	v_readfirstlane_b32 s26, v26
	v_readfirstlane_b32 s27, v34
	s_nop 4
	global_store_dwordx4 v31, v[8:11], s[26:27]
	global_store_dwordx4 v31, v[12:15], s[26:27] offset:16
	global_store_dwordx4 v31, v[16:19], s[26:27] offset:32
	;; [unrolled: 1-line block ×3, first 2 shown]
	s_and_saveexec_b64 s[26:27], s[4:5]
	s_cbranch_execz .LBB6_936
; %bb.929:                              ;   in Loop: Header=BB6_865 Depth=1
	global_load_dwordx2 v[12:13], v28, s[6:7] offset:32 glc
	global_load_dwordx2 v[2:3], v28, s[6:7] offset:40
	v_mov_b32_e32 v10, s24
	v_mov_b32_e32 v11, s25
	s_waitcnt vmcnt(0)
	v_readfirstlane_b32 s28, v2
	v_readfirstlane_b32 s29, v3
	s_and_b64 s[28:29], s[28:29], s[24:25]
	s_mul_i32 s15, s29, 24
	s_mul_hi_u32 s29, s28, 24
	s_mul_i32 s28, s28, 24
	s_add_i32 s15, s29, s15
	v_mov_b32_e32 v2, s15
	v_add_co_u32_e32 v8, vcc, s28, v24
	v_addc_co_u32_e32 v9, vcc, v25, v2, vcc
	global_store_dwordx2 v[8:9], v[12:13], off
	s_waitcnt vmcnt(0)
	global_atomic_cmpswap_x2 v[4:5], v28, v[10:13], s[6:7] offset:32 glc
	s_waitcnt vmcnt(0)
	v_cmp_ne_u64_e32 vcc, v[4:5], v[12:13]
	s_and_saveexec_b64 s[28:29], vcc
	s_cbranch_execz .LBB6_932
; %bb.930:                              ;   in Loop: Header=BB6_865 Depth=1
	s_mov_b64 s[30:31], 0
.LBB6_931:                              ;   Parent Loop BB6_865 Depth=1
                                        ; =>  This Inner Loop Header: Depth=2
	s_sleep 1
	global_store_dwordx2 v[8:9], v[4:5], off
	v_mov_b32_e32 v2, s24
	v_mov_b32_e32 v3, s25
	s_waitcnt vmcnt(0)
	global_atomic_cmpswap_x2 v[2:3], v28, v[2:5], s[6:7] offset:32 glc
	s_waitcnt vmcnt(0)
	v_cmp_eq_u64_e32 vcc, v[2:3], v[4:5]
	v_mov_b32_e32 v5, v3
	s_or_b64 s[30:31], vcc, s[30:31]
	v_mov_b32_e32 v4, v2
	s_andn2_b64 exec, exec, s[30:31]
	s_cbranch_execnz .LBB6_931
.LBB6_932:                              ;   in Loop: Header=BB6_865 Depth=1
	s_or_b64 exec, exec, s[28:29]
	global_load_dwordx2 v[2:3], v28, s[6:7] offset:16
	s_mov_b64 s[30:31], exec
	v_mbcnt_lo_u32_b32 v4, s30, 0
	v_mbcnt_hi_u32_b32 v4, s31, v4
	v_cmp_eq_u32_e32 vcc, 0, v4
	s_and_saveexec_b64 s[28:29], vcc
	s_cbranch_execz .LBB6_934
; %bb.933:                              ;   in Loop: Header=BB6_865 Depth=1
	s_bcnt1_i32_b64 s15, s[30:31]
	v_mov_b32_e32 v27, s15
	s_waitcnt vmcnt(0)
	global_atomic_add_x2 v[2:3], v[27:28], off offset:8
.LBB6_934:                              ;   in Loop: Header=BB6_865 Depth=1
	s_or_b64 exec, exec, s[28:29]
	s_waitcnt vmcnt(0)
	global_load_dwordx2 v[4:5], v[2:3], off offset:16
	s_waitcnt vmcnt(0)
	v_cmp_eq_u64_e32 vcc, 0, v[4:5]
	s_cbranch_vccnz .LBB6_936
; %bb.935:                              ;   in Loop: Header=BB6_865 Depth=1
	global_load_dword v27, v[2:3], off offset:24
	s_waitcnt vmcnt(0)
	v_and_b32_e32 v2, 0xffffff, v27
	v_readfirstlane_b32 m0, v2
	global_store_dwordx2 v[4:5], v[27:28], off
	s_sendmsg sendmsg(MSG_INTERRUPT)
.LBB6_936:                              ;   in Loop: Header=BB6_865 Depth=1
	s_or_b64 exec, exec, s[26:27]
	v_add_co_u32_e32 v2, vcc, v26, v31
	v_addc_co_u32_e32 v3, vcc, 0, v34, vcc
	s_branch .LBB6_940
.LBB6_937:                              ;   in Loop: Header=BB6_940 Depth=2
	s_or_b64 exec, exec, s[26:27]
	v_readfirstlane_b32 s15, v4
	s_cmp_eq_u32 s15, 0
	s_cbranch_scc1 .LBB6_939
; %bb.938:                              ;   in Loop: Header=BB6_940 Depth=2
	s_sleep 1
	s_cbranch_execnz .LBB6_940
	s_branch .LBB6_942
.LBB6_939:                              ;   in Loop: Header=BB6_865 Depth=1
	s_branch .LBB6_942
.LBB6_940:                              ;   Parent Loop BB6_865 Depth=1
                                        ; =>  This Inner Loop Header: Depth=2
	v_mov_b32_e32 v4, 1
	s_and_saveexec_b64 s[26:27], s[4:5]
	s_cbranch_execz .LBB6_937
; %bb.941:                              ;   in Loop: Header=BB6_940 Depth=2
	global_load_dword v4, v[29:30], off offset:20 glc
	s_waitcnt vmcnt(0)
	buffer_wbinvl1_vol
	v_and_b32_e32 v4, 1, v4
	s_branch .LBB6_937
.LBB6_942:                              ;   in Loop: Header=BB6_865 Depth=1
	global_load_dwordx4 v[2:5], v[2:3], off
	s_and_saveexec_b64 s[26:27], s[4:5]
	s_cbranch_execz .LBB6_864
; %bb.943:                              ;   in Loop: Header=BB6_865 Depth=1
	global_load_dwordx2 v[4:5], v28, s[6:7] offset:40
	global_load_dwordx2 v[12:13], v28, s[6:7] offset:24 glc
	global_load_dwordx2 v[14:15], v28, s[6:7]
	v_mov_b32_e32 v9, s25
	s_waitcnt vmcnt(2)
	v_add_co_u32_e32 v10, vcc, 1, v4
	v_addc_co_u32_e32 v11, vcc, 0, v5, vcc
	v_add_co_u32_e32 v8, vcc, s24, v10
	v_addc_co_u32_e32 v9, vcc, v11, v9, vcc
	v_cmp_eq_u64_e32 vcc, 0, v[8:9]
	v_cndmask_b32_e32 v9, v9, v11, vcc
	v_cndmask_b32_e32 v8, v8, v10, vcc
	v_and_b32_e32 v5, v9, v5
	v_and_b32_e32 v4, v8, v4
	v_mul_lo_u32 v5, v5, 24
	v_mul_hi_u32 v11, v4, 24
	v_mul_lo_u32 v4, v4, 24
	s_waitcnt vmcnt(1)
	v_mov_b32_e32 v10, v12
	v_add_u32_e32 v5, v11, v5
	s_waitcnt vmcnt(0)
	v_add_co_u32_e32 v4, vcc, v14, v4
	v_addc_co_u32_e32 v5, vcc, v15, v5, vcc
	global_store_dwordx2 v[4:5], v[12:13], off
	v_mov_b32_e32 v11, v13
	s_waitcnt vmcnt(0)
	global_atomic_cmpswap_x2 v[10:11], v28, v[8:11], s[6:7] offset:24 glc
	s_waitcnt vmcnt(0)
	v_cmp_ne_u64_e32 vcc, v[10:11], v[12:13]
	s_and_b64 exec, exec, vcc
	s_cbranch_execz .LBB6_864
; %bb.944:                              ;   in Loop: Header=BB6_865 Depth=1
	s_mov_b64 s[4:5], 0
.LBB6_945:                              ;   Parent Loop BB6_865 Depth=1
                                        ; =>  This Inner Loop Header: Depth=2
	s_sleep 1
	global_store_dwordx2 v[4:5], v[10:11], off
	s_waitcnt vmcnt(0)
	global_atomic_cmpswap_x2 v[12:13], v28, v[8:11], s[6:7] offset:24 glc
	s_waitcnt vmcnt(0)
	v_cmp_eq_u64_e32 vcc, v[12:13], v[10:11]
	v_mov_b32_e32 v10, v12
	s_or_b64 s[4:5], vcc, s[4:5]
	v_mov_b32_e32 v11, v13
	s_andn2_b64 exec, exec, s[4:5]
	s_cbranch_execnz .LBB6_945
	s_branch .LBB6_864
.LBB6_946:
	s_branch .LBB6_974
.LBB6_947:
                                        ; implicit-def: $vgpr2_vgpr3
	s_cbranch_execz .LBB6_974
; %bb.948:
	v_readfirstlane_b32 s4, v32
	v_mov_b32_e32 v8, 0
	v_mov_b32_e32 v9, 0
	v_cmp_eq_u32_e64 s[4:5], s4, v32
	s_and_saveexec_b64 s[18:19], s[4:5]
	s_cbranch_execz .LBB6_954
; %bb.949:
	s_waitcnt vmcnt(0)
	v_mov_b32_e32 v2, 0
	global_load_dwordx2 v[5:6], v2, s[6:7] offset:24 glc
	s_waitcnt vmcnt(0)
	buffer_wbinvl1_vol
	global_load_dwordx2 v[3:4], v2, s[6:7] offset:40
	global_load_dwordx2 v[7:8], v2, s[6:7]
	s_waitcnt vmcnt(1)
	v_and_b32_e32 v3, v3, v5
	v_and_b32_e32 v4, v4, v6
	v_mul_lo_u32 v4, v4, 24
	v_mul_hi_u32 v9, v3, 24
	v_mul_lo_u32 v3, v3, 24
	v_add_u32_e32 v4, v9, v4
	s_waitcnt vmcnt(0)
	v_add_co_u32_e32 v3, vcc, v7, v3
	v_addc_co_u32_e32 v4, vcc, v8, v4, vcc
	global_load_dwordx2 v[3:4], v[3:4], off glc
	s_waitcnt vmcnt(0)
	global_atomic_cmpswap_x2 v[8:9], v2, v[3:6], s[6:7] offset:24 glc
	s_waitcnt vmcnt(0)
	buffer_wbinvl1_vol
	v_cmp_ne_u64_e32 vcc, v[8:9], v[5:6]
	s_and_saveexec_b64 s[20:21], vcc
	s_cbranch_execz .LBB6_953
; %bb.950:
	s_mov_b64 s[22:23], 0
.LBB6_951:                              ; =>This Inner Loop Header: Depth=1
	s_sleep 1
	global_load_dwordx2 v[3:4], v2, s[6:7] offset:40
	global_load_dwordx2 v[10:11], v2, s[6:7]
	v_mov_b32_e32 v5, v8
	v_mov_b32_e32 v6, v9
	s_waitcnt vmcnt(1)
	v_and_b32_e32 v3, v3, v5
	s_waitcnt vmcnt(0)
	v_mad_u64_u32 v[7:8], s[24:25], v3, 24, v[10:11]
	v_and_b32_e32 v4, v4, v6
	v_mov_b32_e32 v3, v8
	v_mad_u64_u32 v[3:4], s[24:25], v4, 24, v[3:4]
	v_mov_b32_e32 v8, v3
	global_load_dwordx2 v[3:4], v[7:8], off glc
	s_waitcnt vmcnt(0)
	global_atomic_cmpswap_x2 v[8:9], v2, v[3:6], s[6:7] offset:24 glc
	s_waitcnt vmcnt(0)
	buffer_wbinvl1_vol
	v_cmp_eq_u64_e32 vcc, v[8:9], v[5:6]
	s_or_b64 s[22:23], vcc, s[22:23]
	s_andn2_b64 exec, exec, s[22:23]
	s_cbranch_execnz .LBB6_951
; %bb.952:
	s_or_b64 exec, exec, s[22:23]
.LBB6_953:
	s_or_b64 exec, exec, s[20:21]
.LBB6_954:
	s_or_b64 exec, exec, s[18:19]
	s_waitcnt vmcnt(0)
	v_mov_b32_e32 v2, 0
	global_load_dwordx2 v[10:11], v2, s[6:7] offset:40
	global_load_dwordx4 v[4:7], v2, s[6:7]
	v_readfirstlane_b32 s18, v8
	v_readfirstlane_b32 s19, v9
	s_mov_b64 s[20:21], exec
	s_waitcnt vmcnt(1)
	v_readfirstlane_b32 s22, v10
	v_readfirstlane_b32 s23, v11
	s_and_b64 s[22:23], s[18:19], s[22:23]
	s_mul_i32 s15, s23, 24
	s_mul_hi_u32 s24, s22, 24
	s_mul_i32 s25, s22, 24
	s_add_i32 s15, s24, s15
	v_mov_b32_e32 v3, s15
	s_waitcnt vmcnt(0)
	v_add_co_u32_e32 v8, vcc, s25, v4
	v_addc_co_u32_e32 v9, vcc, v5, v3, vcc
	s_and_saveexec_b64 s[24:25], s[4:5]
	s_cbranch_execz .LBB6_956
; %bb.955:
	v_mov_b32_e32 v10, s20
	v_mov_b32_e32 v11, s21
	v_mov_b32_e32 v12, 2
	v_mov_b32_e32 v13, 1
	global_store_dwordx4 v[8:9], v[10:13], off offset:8
.LBB6_956:
	s_or_b64 exec, exec, s[24:25]
	s_lshl_b64 s[20:21], s[22:23], 12
	v_mov_b32_e32 v3, s21
	v_add_co_u32_e32 v10, vcc, s20, v6
	v_addc_co_u32_e32 v11, vcc, v7, v3, vcc
	s_movk_i32 s15, 0xff1f
	v_and_or_b32 v0, v0, s15, 32
	s_mov_b32 s20, 0
	v_mov_b32_e32 v3, v2
	v_readfirstlane_b32 s24, v10
	v_readfirstlane_b32 s25, v11
	v_add_co_u32_e32 v6, vcc, v10, v31
	s_mov_b32 s21, s20
	s_mov_b32 s22, s20
	;; [unrolled: 1-line block ×3, first 2 shown]
	s_nop 0
	global_store_dwordx4 v31, v[0:3], s[24:25]
	v_addc_co_u32_e32 v7, vcc, 0, v11, vcc
	v_mov_b32_e32 v0, s20
	v_mov_b32_e32 v1, s21
	;; [unrolled: 1-line block ×4, first 2 shown]
	global_store_dwordx4 v31, v[0:3], s[24:25] offset:16
	global_store_dwordx4 v31, v[0:3], s[24:25] offset:32
	;; [unrolled: 1-line block ×3, first 2 shown]
	s_and_saveexec_b64 s[20:21], s[4:5]
	s_cbranch_execz .LBB6_964
; %bb.957:
	v_mov_b32_e32 v10, 0
	global_load_dwordx2 v[13:14], v10, s[6:7] offset:32 glc
	global_load_dwordx2 v[0:1], v10, s[6:7] offset:40
	v_mov_b32_e32 v11, s18
	v_mov_b32_e32 v12, s19
	s_waitcnt vmcnt(0)
	v_readfirstlane_b32 s22, v0
	v_readfirstlane_b32 s23, v1
	s_and_b64 s[22:23], s[22:23], s[18:19]
	s_mul_i32 s15, s23, 24
	s_mul_hi_u32 s23, s22, 24
	s_mul_i32 s22, s22, 24
	s_add_i32 s15, s23, s15
	v_mov_b32_e32 v0, s15
	v_add_co_u32_e32 v4, vcc, s22, v4
	v_addc_co_u32_e32 v5, vcc, v5, v0, vcc
	global_store_dwordx2 v[4:5], v[13:14], off
	s_waitcnt vmcnt(0)
	global_atomic_cmpswap_x2 v[2:3], v10, v[11:14], s[6:7] offset:32 glc
	s_waitcnt vmcnt(0)
	v_cmp_ne_u64_e32 vcc, v[2:3], v[13:14]
	s_and_saveexec_b64 s[22:23], vcc
	s_cbranch_execz .LBB6_960
; %bb.958:
	s_mov_b64 s[24:25], 0
.LBB6_959:                              ; =>This Inner Loop Header: Depth=1
	s_sleep 1
	global_store_dwordx2 v[4:5], v[2:3], off
	v_mov_b32_e32 v0, s18
	v_mov_b32_e32 v1, s19
	s_waitcnt vmcnt(0)
	global_atomic_cmpswap_x2 v[0:1], v10, v[0:3], s[6:7] offset:32 glc
	s_waitcnt vmcnt(0)
	v_cmp_eq_u64_e32 vcc, v[0:1], v[2:3]
	v_mov_b32_e32 v3, v1
	s_or_b64 s[24:25], vcc, s[24:25]
	v_mov_b32_e32 v2, v0
	s_andn2_b64 exec, exec, s[24:25]
	s_cbranch_execnz .LBB6_959
.LBB6_960:
	s_or_b64 exec, exec, s[22:23]
	v_mov_b32_e32 v3, 0
	global_load_dwordx2 v[0:1], v3, s[6:7] offset:16
	s_mov_b64 s[22:23], exec
	v_mbcnt_lo_u32_b32 v2, s22, 0
	v_mbcnt_hi_u32_b32 v2, s23, v2
	v_cmp_eq_u32_e32 vcc, 0, v2
	s_and_saveexec_b64 s[24:25], vcc
	s_cbranch_execz .LBB6_962
; %bb.961:
	s_bcnt1_i32_b64 s15, s[22:23]
	v_mov_b32_e32 v2, s15
	s_waitcnt vmcnt(0)
	global_atomic_add_x2 v[0:1], v[2:3], off offset:8
.LBB6_962:
	s_or_b64 exec, exec, s[24:25]
	s_waitcnt vmcnt(0)
	global_load_dwordx2 v[2:3], v[0:1], off offset:16
	s_waitcnt vmcnt(0)
	v_cmp_eq_u64_e32 vcc, 0, v[2:3]
	s_cbranch_vccnz .LBB6_964
; %bb.963:
	global_load_dword v0, v[0:1], off offset:24
	v_mov_b32_e32 v1, 0
	s_waitcnt vmcnt(0)
	global_store_dwordx2 v[2:3], v[0:1], off
	v_and_b32_e32 v0, 0xffffff, v0
	v_readfirstlane_b32 m0, v0
	s_sendmsg sendmsg(MSG_INTERRUPT)
.LBB6_964:
	s_or_b64 exec, exec, s[20:21]
	s_branch .LBB6_968
.LBB6_965:                              ;   in Loop: Header=BB6_968 Depth=1
	s_or_b64 exec, exec, s[20:21]
	v_readfirstlane_b32 s15, v0
	s_cmp_eq_u32 s15, 0
	s_cbranch_scc1 .LBB6_967
; %bb.966:                              ;   in Loop: Header=BB6_968 Depth=1
	s_sleep 1
	s_cbranch_execnz .LBB6_968
	s_branch .LBB6_970
.LBB6_967:
	s_branch .LBB6_970
.LBB6_968:                              ; =>This Inner Loop Header: Depth=1
	v_mov_b32_e32 v0, 1
	s_and_saveexec_b64 s[20:21], s[4:5]
	s_cbranch_execz .LBB6_965
; %bb.969:                              ;   in Loop: Header=BB6_968 Depth=1
	global_load_dword v0, v[8:9], off offset:20 glc
	s_waitcnt vmcnt(0)
	buffer_wbinvl1_vol
	v_and_b32_e32 v0, 1, v0
	s_branch .LBB6_965
.LBB6_970:
	global_load_dwordx2 v[2:3], v[6:7], off
	s_and_saveexec_b64 s[20:21], s[4:5]
	s_cbranch_execz .LBB6_973
; %bb.971:
	v_mov_b32_e32 v8, 0
	global_load_dwordx2 v[0:1], v8, s[6:7] offset:40
	global_load_dwordx2 v[9:10], v8, s[6:7] offset:24 glc
	global_load_dwordx2 v[11:12], v8, s[6:7]
	v_mov_b32_e32 v5, s19
	s_mov_b64 s[4:5], 0
	s_waitcnt vmcnt(2)
	v_add_co_u32_e32 v6, vcc, 1, v0
	v_addc_co_u32_e32 v7, vcc, 0, v1, vcc
	v_add_co_u32_e32 v4, vcc, s18, v6
	v_addc_co_u32_e32 v5, vcc, v7, v5, vcc
	v_cmp_eq_u64_e32 vcc, 0, v[4:5]
	v_cndmask_b32_e32 v5, v5, v7, vcc
	v_cndmask_b32_e32 v4, v4, v6, vcc
	v_and_b32_e32 v1, v5, v1
	v_and_b32_e32 v0, v4, v0
	v_mul_lo_u32 v1, v1, 24
	v_mul_hi_u32 v7, v0, 24
	v_mul_lo_u32 v0, v0, 24
	s_waitcnt vmcnt(1)
	v_mov_b32_e32 v6, v9
	v_add_u32_e32 v1, v7, v1
	s_waitcnt vmcnt(0)
	v_add_co_u32_e32 v0, vcc, v11, v0
	v_addc_co_u32_e32 v1, vcc, v12, v1, vcc
	global_store_dwordx2 v[0:1], v[9:10], off
	v_mov_b32_e32 v7, v10
	s_waitcnt vmcnt(0)
	global_atomic_cmpswap_x2 v[6:7], v8, v[4:7], s[6:7] offset:24 glc
	s_waitcnt vmcnt(0)
	v_cmp_ne_u64_e32 vcc, v[6:7], v[9:10]
	s_and_b64 exec, exec, vcc
	s_cbranch_execz .LBB6_973
.LBB6_972:                              ; =>This Inner Loop Header: Depth=1
	s_sleep 1
	global_store_dwordx2 v[0:1], v[6:7], off
	s_waitcnt vmcnt(0)
	global_atomic_cmpswap_x2 v[9:10], v8, v[4:7], s[6:7] offset:24 glc
	s_waitcnt vmcnt(0)
	v_cmp_eq_u64_e32 vcc, v[9:10], v[6:7]
	v_mov_b32_e32 v6, v9
	s_or_b64 s[4:5], vcc, s[4:5]
	v_mov_b32_e32 v7, v10
	s_andn2_b64 exec, exec, s[4:5]
	s_cbranch_execnz .LBB6_972
.LBB6_973:
	s_or_b64 exec, exec, s[20:21]
.LBB6_974:
	v_readfirstlane_b32 s4, v32
	s_waitcnt vmcnt(0)
	v_mov_b32_e32 v0, 0
	v_mov_b32_e32 v1, 0
	v_cmp_eq_u32_e64 s[4:5], s4, v32
	s_and_saveexec_b64 s[18:19], s[4:5]
	s_cbranch_execz .LBB6_980
; %bb.975:
	v_mov_b32_e32 v4, 0
	global_load_dwordx2 v[7:8], v4, s[6:7] offset:24 glc
	s_waitcnt vmcnt(0)
	buffer_wbinvl1_vol
	global_load_dwordx2 v[0:1], v4, s[6:7] offset:40
	global_load_dwordx2 v[5:6], v4, s[6:7]
	s_waitcnt vmcnt(1)
	v_and_b32_e32 v0, v0, v7
	v_and_b32_e32 v1, v1, v8
	v_mul_lo_u32 v1, v1, 24
	v_mul_hi_u32 v9, v0, 24
	v_mul_lo_u32 v0, v0, 24
	v_add_u32_e32 v1, v9, v1
	s_waitcnt vmcnt(0)
	v_add_co_u32_e32 v0, vcc, v5, v0
	v_addc_co_u32_e32 v1, vcc, v6, v1, vcc
	global_load_dwordx2 v[5:6], v[0:1], off glc
	s_waitcnt vmcnt(0)
	global_atomic_cmpswap_x2 v[0:1], v4, v[5:8], s[6:7] offset:24 glc
	s_waitcnt vmcnt(0)
	buffer_wbinvl1_vol
	v_cmp_ne_u64_e32 vcc, v[0:1], v[7:8]
	s_and_saveexec_b64 s[20:21], vcc
	s_cbranch_execz .LBB6_979
; %bb.976:
	s_mov_b64 s[22:23], 0
.LBB6_977:                              ; =>This Inner Loop Header: Depth=1
	s_sleep 1
	global_load_dwordx2 v[5:6], v4, s[6:7] offset:40
	global_load_dwordx2 v[9:10], v4, s[6:7]
	v_mov_b32_e32 v8, v1
	v_mov_b32_e32 v7, v0
	s_waitcnt vmcnt(1)
	v_and_b32_e32 v0, v5, v7
	s_waitcnt vmcnt(0)
	v_mad_u64_u32 v[0:1], s[24:25], v0, 24, v[9:10]
	v_and_b32_e32 v5, v6, v8
	v_mad_u64_u32 v[5:6], s[24:25], v5, 24, v[1:2]
	v_mov_b32_e32 v1, v5
	global_load_dwordx2 v[5:6], v[0:1], off glc
	s_waitcnt vmcnt(0)
	global_atomic_cmpswap_x2 v[0:1], v4, v[5:8], s[6:7] offset:24 glc
	s_waitcnt vmcnt(0)
	buffer_wbinvl1_vol
	v_cmp_eq_u64_e32 vcc, v[0:1], v[7:8]
	s_or_b64 s[22:23], vcc, s[22:23]
	s_andn2_b64 exec, exec, s[22:23]
	s_cbranch_execnz .LBB6_977
; %bb.978:
	s_or_b64 exec, exec, s[22:23]
.LBB6_979:
	s_or_b64 exec, exec, s[20:21]
.LBB6_980:
	s_or_b64 exec, exec, s[18:19]
	v_mov_b32_e32 v5, 0
	global_load_dwordx2 v[10:11], v5, s[6:7] offset:40
	global_load_dwordx4 v[6:9], v5, s[6:7]
	v_readfirstlane_b32 s18, v0
	v_readfirstlane_b32 s19, v1
	s_mov_b64 s[20:21], exec
	s_waitcnt vmcnt(1)
	v_readfirstlane_b32 s22, v10
	v_readfirstlane_b32 s23, v11
	s_and_b64 s[22:23], s[18:19], s[22:23]
	s_mul_i32 s15, s23, 24
	s_mul_hi_u32 s24, s22, 24
	s_mul_i32 s25, s22, 24
	s_add_i32 s15, s24, s15
	v_mov_b32_e32 v0, s15
	s_waitcnt vmcnt(0)
	v_add_co_u32_e32 v10, vcc, s25, v6
	v_addc_co_u32_e32 v11, vcc, v7, v0, vcc
	s_and_saveexec_b64 s[24:25], s[4:5]
	s_cbranch_execz .LBB6_982
; %bb.981:
	v_mov_b32_e32 v12, s20
	v_mov_b32_e32 v13, s21
	;; [unrolled: 1-line block ×4, first 2 shown]
	global_store_dwordx4 v[10:11], v[12:15], off offset:8
.LBB6_982:
	s_or_b64 exec, exec, s[24:25]
	s_lshl_b64 s[20:21], s[22:23], 12
	v_mov_b32_e32 v0, s21
	v_add_co_u32_e32 v1, vcc, s20, v8
	v_addc_co_u32_e32 v0, vcc, v9, v0, vcc
	s_movk_i32 s15, 0xff1d
	v_and_or_b32 v2, v2, s15, 34
	s_mov_b32 s20, 0
	v_mov_b32_e32 v4, 0x45a
	v_readfirstlane_b32 s24, v1
	v_readfirstlane_b32 s25, v0
	s_mov_b32 s21, s20
	s_mov_b32 s22, s20
	;; [unrolled: 1-line block ×3, first 2 shown]
	s_nop 1
	global_store_dwordx4 v31, v[2:5], s[24:25]
	v_mov_b32_e32 v0, s20
	v_mov_b32_e32 v1, s21
	;; [unrolled: 1-line block ×4, first 2 shown]
	global_store_dwordx4 v31, v[0:3], s[24:25] offset:16
	global_store_dwordx4 v31, v[0:3], s[24:25] offset:32
	;; [unrolled: 1-line block ×3, first 2 shown]
	s_and_saveexec_b64 s[20:21], s[4:5]
	s_cbranch_execz .LBB6_990
; %bb.983:
	v_mov_b32_e32 v8, 0
	global_load_dwordx2 v[14:15], v8, s[6:7] offset:32 glc
	global_load_dwordx2 v[0:1], v8, s[6:7] offset:40
	v_mov_b32_e32 v12, s18
	v_mov_b32_e32 v13, s19
	s_waitcnt vmcnt(0)
	v_readfirstlane_b32 s22, v0
	v_readfirstlane_b32 s23, v1
	s_and_b64 s[22:23], s[22:23], s[18:19]
	s_mul_i32 s15, s23, 24
	s_mul_hi_u32 s23, s22, 24
	s_mul_i32 s22, s22, 24
	s_add_i32 s15, s23, s15
	v_mov_b32_e32 v0, s15
	v_add_co_u32_e32 v4, vcc, s22, v6
	v_addc_co_u32_e32 v5, vcc, v7, v0, vcc
	global_store_dwordx2 v[4:5], v[14:15], off
	s_waitcnt vmcnt(0)
	global_atomic_cmpswap_x2 v[2:3], v8, v[12:15], s[6:7] offset:32 glc
	s_waitcnt vmcnt(0)
	v_cmp_ne_u64_e32 vcc, v[2:3], v[14:15]
	s_and_saveexec_b64 s[22:23], vcc
	s_cbranch_execz .LBB6_986
; %bb.984:
	s_mov_b64 s[24:25], 0
.LBB6_985:                              ; =>This Inner Loop Header: Depth=1
	s_sleep 1
	global_store_dwordx2 v[4:5], v[2:3], off
	v_mov_b32_e32 v0, s18
	v_mov_b32_e32 v1, s19
	s_waitcnt vmcnt(0)
	global_atomic_cmpswap_x2 v[0:1], v8, v[0:3], s[6:7] offset:32 glc
	s_waitcnt vmcnt(0)
	v_cmp_eq_u64_e32 vcc, v[0:1], v[2:3]
	v_mov_b32_e32 v3, v1
	s_or_b64 s[24:25], vcc, s[24:25]
	v_mov_b32_e32 v2, v0
	s_andn2_b64 exec, exec, s[24:25]
	s_cbranch_execnz .LBB6_985
.LBB6_986:
	s_or_b64 exec, exec, s[22:23]
	v_mov_b32_e32 v3, 0
	global_load_dwordx2 v[0:1], v3, s[6:7] offset:16
	s_mov_b64 s[22:23], exec
	v_mbcnt_lo_u32_b32 v2, s22, 0
	v_mbcnt_hi_u32_b32 v2, s23, v2
	v_cmp_eq_u32_e32 vcc, 0, v2
	s_and_saveexec_b64 s[24:25], vcc
	s_cbranch_execz .LBB6_988
; %bb.987:
	s_bcnt1_i32_b64 s15, s[22:23]
	v_mov_b32_e32 v2, s15
	s_waitcnt vmcnt(0)
	global_atomic_add_x2 v[0:1], v[2:3], off offset:8
.LBB6_988:
	s_or_b64 exec, exec, s[24:25]
	s_waitcnt vmcnt(0)
	global_load_dwordx2 v[2:3], v[0:1], off offset:16
	s_waitcnt vmcnt(0)
	v_cmp_eq_u64_e32 vcc, 0, v[2:3]
	s_cbranch_vccnz .LBB6_990
; %bb.989:
	global_load_dword v0, v[0:1], off offset:24
	v_mov_b32_e32 v1, 0
	s_waitcnt vmcnt(0)
	global_store_dwordx2 v[2:3], v[0:1], off
	v_and_b32_e32 v0, 0xffffff, v0
	v_readfirstlane_b32 m0, v0
	s_sendmsg sendmsg(MSG_INTERRUPT)
.LBB6_990:
	s_or_b64 exec, exec, s[20:21]
	s_branch .LBB6_994
.LBB6_991:                              ;   in Loop: Header=BB6_994 Depth=1
	s_or_b64 exec, exec, s[20:21]
	v_readfirstlane_b32 s15, v0
	s_cmp_eq_u32 s15, 0
	s_cbranch_scc1 .LBB6_993
; %bb.992:                              ;   in Loop: Header=BB6_994 Depth=1
	s_sleep 1
	s_cbranch_execnz .LBB6_994
	s_branch .LBB6_996
.LBB6_993:
	s_branch .LBB6_996
.LBB6_994:                              ; =>This Inner Loop Header: Depth=1
	v_mov_b32_e32 v0, 1
	s_and_saveexec_b64 s[20:21], s[4:5]
	s_cbranch_execz .LBB6_991
; %bb.995:                              ;   in Loop: Header=BB6_994 Depth=1
	global_load_dword v0, v[10:11], off offset:20 glc
	s_waitcnt vmcnt(0)
	buffer_wbinvl1_vol
	v_and_b32_e32 v0, 1, v0
	s_branch .LBB6_991
.LBB6_996:
	s_and_saveexec_b64 s[20:21], s[4:5]
	s_cbranch_execz .LBB6_999
; %bb.997:
	v_mov_b32_e32 v6, 0
	global_load_dwordx2 v[2:3], v6, s[6:7] offset:40
	global_load_dwordx2 v[7:8], v6, s[6:7] offset:24 glc
	global_load_dwordx2 v[4:5], v6, s[6:7]
	v_mov_b32_e32 v1, s19
	s_mov_b64 s[4:5], 0
	s_waitcnt vmcnt(2)
	v_add_co_u32_e32 v9, vcc, 1, v2
	v_addc_co_u32_e32 v10, vcc, 0, v3, vcc
	v_add_co_u32_e32 v0, vcc, s18, v9
	v_addc_co_u32_e32 v1, vcc, v10, v1, vcc
	v_cmp_eq_u64_e32 vcc, 0, v[0:1]
	v_cndmask_b32_e32 v1, v1, v10, vcc
	v_cndmask_b32_e32 v0, v0, v9, vcc
	v_and_b32_e32 v3, v1, v3
	v_and_b32_e32 v2, v0, v2
	v_mul_lo_u32 v3, v3, 24
	v_mul_hi_u32 v9, v2, 24
	v_mul_lo_u32 v10, v2, 24
	s_waitcnt vmcnt(1)
	v_mov_b32_e32 v2, v7
	v_add_u32_e32 v3, v9, v3
	s_waitcnt vmcnt(0)
	v_add_co_u32_e32 v4, vcc, v4, v10
	v_addc_co_u32_e32 v5, vcc, v5, v3, vcc
	global_store_dwordx2 v[4:5], v[7:8], off
	v_mov_b32_e32 v3, v8
	s_waitcnt vmcnt(0)
	global_atomic_cmpswap_x2 v[2:3], v6, v[0:3], s[6:7] offset:24 glc
	s_waitcnt vmcnt(0)
	v_cmp_ne_u64_e32 vcc, v[2:3], v[7:8]
	s_and_b64 exec, exec, vcc
	s_cbranch_execz .LBB6_999
.LBB6_998:                              ; =>This Inner Loop Header: Depth=1
	s_sleep 1
	global_store_dwordx2 v[4:5], v[2:3], off
	s_waitcnt vmcnt(0)
	global_atomic_cmpswap_x2 v[7:8], v6, v[0:3], s[6:7] offset:24 glc
	s_waitcnt vmcnt(0)
	v_cmp_eq_u64_e32 vcc, v[7:8], v[2:3]
	v_mov_b32_e32 v2, v7
	s_or_b64 s[4:5], vcc, s[4:5]
	v_mov_b32_e32 v3, v8
	s_andn2_b64 exec, exec, s[4:5]
	s_cbranch_execnz .LBB6_998
.LBB6_999:
	s_or_b64 exec, exec, s[20:21]
	v_readfirstlane_b32 s4, v32
	v_mov_b32_e32 v5, 0
	v_mov_b32_e32 v6, 0
	v_cmp_eq_u32_e64 s[4:5], s4, v32
	s_and_saveexec_b64 s[18:19], s[4:5]
	s_cbranch_execz .LBB6_1005
; %bb.1000:
	v_mov_b32_e32 v0, 0
	global_load_dwordx2 v[3:4], v0, s[6:7] offset:24 glc
	s_waitcnt vmcnt(0)
	buffer_wbinvl1_vol
	global_load_dwordx2 v[1:2], v0, s[6:7] offset:40
	global_load_dwordx2 v[5:6], v0, s[6:7]
	s_waitcnt vmcnt(1)
	v_and_b32_e32 v1, v1, v3
	v_and_b32_e32 v2, v2, v4
	v_mul_lo_u32 v2, v2, 24
	v_mul_hi_u32 v7, v1, 24
	v_mul_lo_u32 v1, v1, 24
	v_add_u32_e32 v2, v7, v2
	s_waitcnt vmcnt(0)
	v_add_co_u32_e32 v1, vcc, v5, v1
	v_addc_co_u32_e32 v2, vcc, v6, v2, vcc
	global_load_dwordx2 v[1:2], v[1:2], off glc
	s_waitcnt vmcnt(0)
	global_atomic_cmpswap_x2 v[5:6], v0, v[1:4], s[6:7] offset:24 glc
	s_waitcnt vmcnt(0)
	buffer_wbinvl1_vol
	v_cmp_ne_u64_e32 vcc, v[5:6], v[3:4]
	s_and_saveexec_b64 s[20:21], vcc
	s_cbranch_execz .LBB6_1004
; %bb.1001:
	s_mov_b64 s[22:23], 0
.LBB6_1002:                             ; =>This Inner Loop Header: Depth=1
	s_sleep 1
	global_load_dwordx2 v[1:2], v0, s[6:7] offset:40
	global_load_dwordx2 v[7:8], v0, s[6:7]
	v_mov_b32_e32 v3, v5
	v_mov_b32_e32 v4, v6
	s_waitcnt vmcnt(1)
	v_and_b32_e32 v1, v1, v3
	s_waitcnt vmcnt(0)
	v_mad_u64_u32 v[5:6], s[24:25], v1, 24, v[7:8]
	v_and_b32_e32 v2, v2, v4
	v_mov_b32_e32 v1, v6
	v_mad_u64_u32 v[1:2], s[24:25], v2, 24, v[1:2]
	v_mov_b32_e32 v6, v1
	global_load_dwordx2 v[1:2], v[5:6], off glc
	s_waitcnt vmcnt(0)
	global_atomic_cmpswap_x2 v[5:6], v0, v[1:4], s[6:7] offset:24 glc
	s_waitcnt vmcnt(0)
	buffer_wbinvl1_vol
	v_cmp_eq_u64_e32 vcc, v[5:6], v[3:4]
	s_or_b64 s[22:23], vcc, s[22:23]
	s_andn2_b64 exec, exec, s[22:23]
	s_cbranch_execnz .LBB6_1002
; %bb.1003:
	s_or_b64 exec, exec, s[22:23]
.LBB6_1004:
	s_or_b64 exec, exec, s[20:21]
.LBB6_1005:
	s_or_b64 exec, exec, s[18:19]
	v_mov_b32_e32 v4, 0
	global_load_dwordx2 v[7:8], v4, s[6:7] offset:40
	global_load_dwordx4 v[0:3], v4, s[6:7]
	v_readfirstlane_b32 s18, v5
	v_readfirstlane_b32 s19, v6
	s_mov_b64 s[20:21], exec
	s_waitcnt vmcnt(1)
	v_readfirstlane_b32 s22, v7
	v_readfirstlane_b32 s23, v8
	s_and_b64 s[22:23], s[18:19], s[22:23]
	s_mul_i32 s15, s23, 24
	s_mul_hi_u32 s24, s22, 24
	s_mul_i32 s25, s22, 24
	s_add_i32 s15, s24, s15
	v_mov_b32_e32 v5, s15
	s_waitcnt vmcnt(0)
	v_add_co_u32_e32 v7, vcc, s25, v0
	v_addc_co_u32_e32 v8, vcc, v1, v5, vcc
	s_and_saveexec_b64 s[24:25], s[4:5]
	s_cbranch_execz .LBB6_1007
; %bb.1006:
	v_mov_b32_e32 v9, s20
	v_mov_b32_e32 v10, s21
	;; [unrolled: 1-line block ×4, first 2 shown]
	global_store_dwordx4 v[7:8], v[9:12], off offset:8
.LBB6_1007:
	s_or_b64 exec, exec, s[24:25]
	s_lshl_b64 s[20:21], s[22:23], 12
	v_mov_b32_e32 v5, s21
	v_add_co_u32_e32 v2, vcc, s20, v2
	v_addc_co_u32_e32 v11, vcc, v3, v5, vcc
	s_mov_b32 s20, 0
	v_mov_b32_e32 v3, 33
	v_mov_b32_e32 v5, v4
	;; [unrolled: 1-line block ×3, first 2 shown]
	v_readfirstlane_b32 s24, v2
	v_readfirstlane_b32 s25, v11
	v_add_co_u32_e32 v9, vcc, v2, v31
	s_mov_b32 s21, s20
	s_mov_b32 s22, s20
	;; [unrolled: 1-line block ×3, first 2 shown]
	s_nop 0
	global_store_dwordx4 v31, v[3:6], s[24:25]
	v_mov_b32_e32 v2, s20
	v_addc_co_u32_e32 v10, vcc, 0, v11, vcc
	v_mov_b32_e32 v3, s21
	v_mov_b32_e32 v4, s22
	;; [unrolled: 1-line block ×3, first 2 shown]
	global_store_dwordx4 v31, v[2:5], s[24:25] offset:16
	global_store_dwordx4 v31, v[2:5], s[24:25] offset:32
	;; [unrolled: 1-line block ×3, first 2 shown]
	s_and_saveexec_b64 s[20:21], s[4:5]
	s_cbranch_execz .LBB6_1015
; %bb.1008:
	v_mov_b32_e32 v6, 0
	global_load_dwordx2 v[13:14], v6, s[6:7] offset:32 glc
	global_load_dwordx2 v[2:3], v6, s[6:7] offset:40
	v_mov_b32_e32 v11, s18
	v_mov_b32_e32 v12, s19
	s_waitcnt vmcnt(0)
	v_readfirstlane_b32 s22, v2
	v_readfirstlane_b32 s23, v3
	s_and_b64 s[22:23], s[22:23], s[18:19]
	s_mul_i32 s15, s23, 24
	s_mul_hi_u32 s23, s22, 24
	s_mul_i32 s22, s22, 24
	s_add_i32 s15, s23, s15
	v_mov_b32_e32 v2, s15
	v_add_co_u32_e32 v4, vcc, s22, v0
	v_addc_co_u32_e32 v5, vcc, v1, v2, vcc
	global_store_dwordx2 v[4:5], v[13:14], off
	s_waitcnt vmcnt(0)
	global_atomic_cmpswap_x2 v[2:3], v6, v[11:14], s[6:7] offset:32 glc
	s_waitcnt vmcnt(0)
	v_cmp_ne_u64_e32 vcc, v[2:3], v[13:14]
	s_and_saveexec_b64 s[22:23], vcc
	s_cbranch_execz .LBB6_1011
; %bb.1009:
	s_mov_b64 s[24:25], 0
.LBB6_1010:                             ; =>This Inner Loop Header: Depth=1
	s_sleep 1
	global_store_dwordx2 v[4:5], v[2:3], off
	v_mov_b32_e32 v0, s18
	v_mov_b32_e32 v1, s19
	s_waitcnt vmcnt(0)
	global_atomic_cmpswap_x2 v[0:1], v6, v[0:3], s[6:7] offset:32 glc
	s_waitcnt vmcnt(0)
	v_cmp_eq_u64_e32 vcc, v[0:1], v[2:3]
	v_mov_b32_e32 v3, v1
	s_or_b64 s[24:25], vcc, s[24:25]
	v_mov_b32_e32 v2, v0
	s_andn2_b64 exec, exec, s[24:25]
	s_cbranch_execnz .LBB6_1010
.LBB6_1011:
	s_or_b64 exec, exec, s[22:23]
	v_mov_b32_e32 v3, 0
	global_load_dwordx2 v[0:1], v3, s[6:7] offset:16
	s_mov_b64 s[22:23], exec
	v_mbcnt_lo_u32_b32 v2, s22, 0
	v_mbcnt_hi_u32_b32 v2, s23, v2
	v_cmp_eq_u32_e32 vcc, 0, v2
	s_and_saveexec_b64 s[24:25], vcc
	s_cbranch_execz .LBB6_1013
; %bb.1012:
	s_bcnt1_i32_b64 s15, s[22:23]
	v_mov_b32_e32 v2, s15
	s_waitcnt vmcnt(0)
	global_atomic_add_x2 v[0:1], v[2:3], off offset:8
.LBB6_1013:
	s_or_b64 exec, exec, s[24:25]
	s_waitcnt vmcnt(0)
	global_load_dwordx2 v[2:3], v[0:1], off offset:16
	s_waitcnt vmcnt(0)
	v_cmp_eq_u64_e32 vcc, 0, v[2:3]
	s_cbranch_vccnz .LBB6_1015
; %bb.1014:
	global_load_dword v0, v[0:1], off offset:24
	v_mov_b32_e32 v1, 0
	s_waitcnt vmcnt(0)
	global_store_dwordx2 v[2:3], v[0:1], off
	v_and_b32_e32 v0, 0xffffff, v0
	v_readfirstlane_b32 m0, v0
	s_sendmsg sendmsg(MSG_INTERRUPT)
.LBB6_1015:
	s_or_b64 exec, exec, s[20:21]
	s_branch .LBB6_1019
.LBB6_1016:                             ;   in Loop: Header=BB6_1019 Depth=1
	s_or_b64 exec, exec, s[20:21]
	v_readfirstlane_b32 s15, v0
	s_cmp_eq_u32 s15, 0
	s_cbranch_scc1 .LBB6_1018
; %bb.1017:                             ;   in Loop: Header=BB6_1019 Depth=1
	s_sleep 1
	s_cbranch_execnz .LBB6_1019
	s_branch .LBB6_1021
.LBB6_1018:
	s_branch .LBB6_1021
.LBB6_1019:                             ; =>This Inner Loop Header: Depth=1
	v_mov_b32_e32 v0, 1
	s_and_saveexec_b64 s[20:21], s[4:5]
	s_cbranch_execz .LBB6_1016
; %bb.1020:                             ;   in Loop: Header=BB6_1019 Depth=1
	global_load_dword v0, v[7:8], off offset:20 glc
	s_waitcnt vmcnt(0)
	buffer_wbinvl1_vol
	v_and_b32_e32 v0, 1, v0
	s_branch .LBB6_1016
.LBB6_1021:
	global_load_dwordx2 v[0:1], v[9:10], off
	s_and_saveexec_b64 s[20:21], s[4:5]
	s_cbranch_execz .LBB6_1024
; %bb.1022:
	v_mov_b32_e32 v8, 0
	global_load_dwordx2 v[4:5], v8, s[6:7] offset:40
	global_load_dwordx2 v[9:10], v8, s[6:7] offset:24 glc
	global_load_dwordx2 v[6:7], v8, s[6:7]
	v_mov_b32_e32 v3, s19
	s_mov_b64 s[4:5], 0
	s_waitcnt vmcnt(2)
	v_add_co_u32_e32 v11, vcc, 1, v4
	v_addc_co_u32_e32 v12, vcc, 0, v5, vcc
	v_add_co_u32_e32 v2, vcc, s18, v11
	v_addc_co_u32_e32 v3, vcc, v12, v3, vcc
	v_cmp_eq_u64_e32 vcc, 0, v[2:3]
	v_cndmask_b32_e32 v3, v3, v12, vcc
	v_cndmask_b32_e32 v2, v2, v11, vcc
	v_and_b32_e32 v5, v3, v5
	v_and_b32_e32 v4, v2, v4
	v_mul_lo_u32 v5, v5, 24
	v_mul_hi_u32 v11, v4, 24
	v_mul_lo_u32 v12, v4, 24
	s_waitcnt vmcnt(1)
	v_mov_b32_e32 v4, v9
	v_add_u32_e32 v5, v11, v5
	s_waitcnt vmcnt(0)
	v_add_co_u32_e32 v6, vcc, v6, v12
	v_addc_co_u32_e32 v7, vcc, v7, v5, vcc
	global_store_dwordx2 v[6:7], v[9:10], off
	v_mov_b32_e32 v5, v10
	s_waitcnt vmcnt(0)
	global_atomic_cmpswap_x2 v[4:5], v8, v[2:5], s[6:7] offset:24 glc
	s_waitcnt vmcnt(0)
	v_cmp_ne_u64_e32 vcc, v[4:5], v[9:10]
	s_and_b64 exec, exec, vcc
	s_cbranch_execz .LBB6_1024
.LBB6_1023:                             ; =>This Inner Loop Header: Depth=1
	s_sleep 1
	global_store_dwordx2 v[6:7], v[4:5], off
	s_waitcnt vmcnt(0)
	global_atomic_cmpswap_x2 v[9:10], v8, v[2:5], s[6:7] offset:24 glc
	s_waitcnt vmcnt(0)
	v_cmp_eq_u64_e32 vcc, v[9:10], v[4:5]
	v_mov_b32_e32 v4, v9
	s_or_b64 s[4:5], vcc, s[4:5]
	v_mov_b32_e32 v5, v10
	s_andn2_b64 exec, exec, s[4:5]
	s_cbranch_execnz .LBB6_1023
.LBB6_1024:
	s_or_b64 exec, exec, s[20:21]
	s_and_b64 vcc, exec, s[16:17]
	s_cbranch_vccz .LBB6_1109
; %bb.1025:
	s_waitcnt vmcnt(0)
	v_and_b32_e32 v33, 2, v0
	v_mov_b32_e32 v28, 0
	v_and_b32_e32 v2, -3, v0
	v_mov_b32_e32 v3, v1
	s_mov_b64 s[20:21], 3
	v_mov_b32_e32 v6, 2
	v_mov_b32_e32 v7, 1
	s_getpc_b64 s[18:19]
	s_add_u32 s18, s18, .str.6@rel32@lo+4
	s_addc_u32 s19, s19, .str.6@rel32@hi+12
	s_branch .LBB6_1027
.LBB6_1026:                             ;   in Loop: Header=BB6_1027 Depth=1
	s_or_b64 exec, exec, s[26:27]
	s_sub_u32 s20, s20, s22
	s_subb_u32 s21, s21, s23
	s_add_u32 s18, s18, s22
	s_addc_u32 s19, s19, s23
	s_cmp_lg_u64 s[20:21], 0
	s_cbranch_scc0 .LBB6_1108
.LBB6_1027:                             ; =>This Loop Header: Depth=1
                                        ;     Child Loop BB6_1030 Depth 2
                                        ;     Child Loop BB6_1037 Depth 2
	;; [unrolled: 1-line block ×11, first 2 shown]
	v_cmp_lt_u64_e64 s[4:5], s[20:21], 56
	v_cmp_gt_u64_e64 s[24:25], s[20:21], 7
	s_and_b64 s[4:5], s[4:5], exec
	s_cselect_b32 s23, s21, 0
	s_cselect_b32 s22, s20, 56
	s_and_b64 vcc, exec, s[24:25]
	s_cbranch_vccnz .LBB6_1032
; %bb.1028:                             ;   in Loop: Header=BB6_1027 Depth=1
	v_mov_b32_e32 v10, 0
	s_cmp_eq_u64 s[20:21], 0
	v_mov_b32_e32 v11, 0
	s_mov_b64 s[4:5], 0
	s_cbranch_scc1 .LBB6_1031
; %bb.1029:                             ;   in Loop: Header=BB6_1027 Depth=1
	v_mov_b32_e32 v10, 0
	s_lshl_b64 s[24:25], s[22:23], 3
	s_mov_b64 s[26:27], 0
	v_mov_b32_e32 v11, 0
	s_mov_b64 s[28:29], s[18:19]
.LBB6_1030:                             ;   Parent Loop BB6_1027 Depth=1
                                        ; =>  This Inner Loop Header: Depth=2
	global_load_ubyte v4, v28, s[28:29]
	s_waitcnt vmcnt(0)
	v_and_b32_e32 v27, 0xffff, v4
	v_lshlrev_b64 v[4:5], s26, v[27:28]
	s_add_u32 s26, s26, 8
	s_addc_u32 s27, s27, 0
	s_add_u32 s28, s28, 1
	s_addc_u32 s29, s29, 0
	v_or_b32_e32 v10, v4, v10
	s_cmp_lg_u32 s24, s26
	v_or_b32_e32 v11, v5, v11
	s_cbranch_scc1 .LBB6_1030
.LBB6_1031:                             ;   in Loop: Header=BB6_1027 Depth=1
	s_mov_b32 s15, 0
	s_andn2_b64 vcc, exec, s[4:5]
	s_mov_b64 s[4:5], s[18:19]
	s_cbranch_vccz .LBB6_1033
	s_branch .LBB6_1034
.LBB6_1032:                             ;   in Loop: Header=BB6_1027 Depth=1
                                        ; implicit-def: $vgpr10_vgpr11
                                        ; implicit-def: $sgpr15
	s_mov_b64 s[4:5], s[18:19]
.LBB6_1033:                             ;   in Loop: Header=BB6_1027 Depth=1
	global_load_dwordx2 v[10:11], v28, s[18:19]
	s_add_i32 s15, s22, -8
	s_add_u32 s4, s18, 8
	s_addc_u32 s5, s19, 0
.LBB6_1034:                             ;   in Loop: Header=BB6_1027 Depth=1
	s_cmp_gt_u32 s15, 7
	s_cbranch_scc1 .LBB6_1038
; %bb.1035:                             ;   in Loop: Header=BB6_1027 Depth=1
	s_cmp_eq_u32 s15, 0
	s_cbranch_scc1 .LBB6_1039
; %bb.1036:                             ;   in Loop: Header=BB6_1027 Depth=1
	v_mov_b32_e32 v12, 0
	s_mov_b64 s[24:25], 0
	v_mov_b32_e32 v13, 0
	s_mov_b64 s[26:27], 0
.LBB6_1037:                             ;   Parent Loop BB6_1027 Depth=1
                                        ; =>  This Inner Loop Header: Depth=2
	s_add_u32 s28, s4, s26
	s_addc_u32 s29, s5, s27
	global_load_ubyte v4, v28, s[28:29]
	s_add_u32 s26, s26, 1
	s_addc_u32 s27, s27, 0
	s_waitcnt vmcnt(0)
	v_and_b32_e32 v27, 0xffff, v4
	v_lshlrev_b64 v[4:5], s24, v[27:28]
	s_add_u32 s24, s24, 8
	s_addc_u32 s25, s25, 0
	v_or_b32_e32 v12, v4, v12
	s_cmp_lg_u32 s15, s26
	v_or_b32_e32 v13, v5, v13
	s_cbranch_scc1 .LBB6_1037
	s_branch .LBB6_1040
.LBB6_1038:                             ;   in Loop: Header=BB6_1027 Depth=1
                                        ; implicit-def: $vgpr12_vgpr13
                                        ; implicit-def: $sgpr28
	s_branch .LBB6_1041
.LBB6_1039:                             ;   in Loop: Header=BB6_1027 Depth=1
	v_mov_b32_e32 v12, 0
	v_mov_b32_e32 v13, 0
.LBB6_1040:                             ;   in Loop: Header=BB6_1027 Depth=1
	s_mov_b32 s28, 0
	s_cbranch_execnz .LBB6_1042
.LBB6_1041:                             ;   in Loop: Header=BB6_1027 Depth=1
	global_load_dwordx2 v[12:13], v28, s[4:5]
	s_add_i32 s28, s15, -8
	s_add_u32 s4, s4, 8
	s_addc_u32 s5, s5, 0
.LBB6_1042:                             ;   in Loop: Header=BB6_1027 Depth=1
	s_cmp_gt_u32 s28, 7
	s_cbranch_scc1 .LBB6_1046
; %bb.1043:                             ;   in Loop: Header=BB6_1027 Depth=1
	s_cmp_eq_u32 s28, 0
	s_cbranch_scc1 .LBB6_1047
; %bb.1044:                             ;   in Loop: Header=BB6_1027 Depth=1
	v_mov_b32_e32 v14, 0
	s_mov_b64 s[24:25], 0
	v_mov_b32_e32 v15, 0
	s_mov_b64 s[26:27], 0
.LBB6_1045:                             ;   Parent Loop BB6_1027 Depth=1
                                        ; =>  This Inner Loop Header: Depth=2
	s_add_u32 vcc_lo, s4, s26
	s_addc_u32 vcc_hi, s5, s27
	global_load_ubyte v4, v28, vcc
	s_add_u32 s26, s26, 1
	s_addc_u32 s27, s27, 0
	s_waitcnt vmcnt(0)
	v_and_b32_e32 v27, 0xffff, v4
	v_lshlrev_b64 v[4:5], s24, v[27:28]
	s_add_u32 s24, s24, 8
	s_addc_u32 s25, s25, 0
	v_or_b32_e32 v14, v4, v14
	s_cmp_lg_u32 s28, s26
	v_or_b32_e32 v15, v5, v15
	s_cbranch_scc1 .LBB6_1045
	s_branch .LBB6_1048
.LBB6_1046:                             ;   in Loop: Header=BB6_1027 Depth=1
                                        ; implicit-def: $sgpr15
	s_branch .LBB6_1049
.LBB6_1047:                             ;   in Loop: Header=BB6_1027 Depth=1
	v_mov_b32_e32 v14, 0
	v_mov_b32_e32 v15, 0
.LBB6_1048:                             ;   in Loop: Header=BB6_1027 Depth=1
	s_mov_b32 s15, 0
	s_cbranch_execnz .LBB6_1050
.LBB6_1049:                             ;   in Loop: Header=BB6_1027 Depth=1
	global_load_dwordx2 v[14:15], v28, s[4:5]
	s_add_i32 s15, s28, -8
	s_add_u32 s4, s4, 8
	s_addc_u32 s5, s5, 0
.LBB6_1050:                             ;   in Loop: Header=BB6_1027 Depth=1
	s_cmp_gt_u32 s15, 7
	s_cbranch_scc1 .LBB6_1054
; %bb.1051:                             ;   in Loop: Header=BB6_1027 Depth=1
	s_cmp_eq_u32 s15, 0
	s_cbranch_scc1 .LBB6_1055
; %bb.1052:                             ;   in Loop: Header=BB6_1027 Depth=1
	v_mov_b32_e32 v16, 0
	s_mov_b64 s[24:25], 0
	v_mov_b32_e32 v17, 0
	s_mov_b64 s[26:27], 0
.LBB6_1053:                             ;   Parent Loop BB6_1027 Depth=1
                                        ; =>  This Inner Loop Header: Depth=2
	s_add_u32 s28, s4, s26
	s_addc_u32 s29, s5, s27
	global_load_ubyte v4, v28, s[28:29]
	s_add_u32 s26, s26, 1
	s_addc_u32 s27, s27, 0
	s_waitcnt vmcnt(0)
	v_and_b32_e32 v27, 0xffff, v4
	v_lshlrev_b64 v[4:5], s24, v[27:28]
	s_add_u32 s24, s24, 8
	s_addc_u32 s25, s25, 0
	v_or_b32_e32 v16, v4, v16
	s_cmp_lg_u32 s15, s26
	v_or_b32_e32 v17, v5, v17
	s_cbranch_scc1 .LBB6_1053
	s_branch .LBB6_1056
.LBB6_1054:                             ;   in Loop: Header=BB6_1027 Depth=1
                                        ; implicit-def: $vgpr16_vgpr17
                                        ; implicit-def: $sgpr28
	s_branch .LBB6_1057
.LBB6_1055:                             ;   in Loop: Header=BB6_1027 Depth=1
	v_mov_b32_e32 v16, 0
	v_mov_b32_e32 v17, 0
.LBB6_1056:                             ;   in Loop: Header=BB6_1027 Depth=1
	s_mov_b32 s28, 0
	s_cbranch_execnz .LBB6_1058
.LBB6_1057:                             ;   in Loop: Header=BB6_1027 Depth=1
	global_load_dwordx2 v[16:17], v28, s[4:5]
	s_add_i32 s28, s15, -8
	s_add_u32 s4, s4, 8
	s_addc_u32 s5, s5, 0
.LBB6_1058:                             ;   in Loop: Header=BB6_1027 Depth=1
	s_cmp_gt_u32 s28, 7
	s_cbranch_scc1 .LBB6_1062
; %bb.1059:                             ;   in Loop: Header=BB6_1027 Depth=1
	s_cmp_eq_u32 s28, 0
	s_cbranch_scc1 .LBB6_1063
; %bb.1060:                             ;   in Loop: Header=BB6_1027 Depth=1
	v_mov_b32_e32 v18, 0
	s_mov_b64 s[24:25], 0
	v_mov_b32_e32 v19, 0
	s_mov_b64 s[26:27], 0
.LBB6_1061:                             ;   Parent Loop BB6_1027 Depth=1
                                        ; =>  This Inner Loop Header: Depth=2
	s_add_u32 vcc_lo, s4, s26
	s_addc_u32 vcc_hi, s5, s27
	global_load_ubyte v4, v28, vcc
	s_add_u32 s26, s26, 1
	s_addc_u32 s27, s27, 0
	s_waitcnt vmcnt(0)
	v_and_b32_e32 v27, 0xffff, v4
	v_lshlrev_b64 v[4:5], s24, v[27:28]
	s_add_u32 s24, s24, 8
	s_addc_u32 s25, s25, 0
	v_or_b32_e32 v18, v4, v18
	s_cmp_lg_u32 s28, s26
	v_or_b32_e32 v19, v5, v19
	s_cbranch_scc1 .LBB6_1061
	s_branch .LBB6_1064
.LBB6_1062:                             ;   in Loop: Header=BB6_1027 Depth=1
                                        ; implicit-def: $sgpr15
	s_branch .LBB6_1065
.LBB6_1063:                             ;   in Loop: Header=BB6_1027 Depth=1
	v_mov_b32_e32 v18, 0
	v_mov_b32_e32 v19, 0
.LBB6_1064:                             ;   in Loop: Header=BB6_1027 Depth=1
	s_mov_b32 s15, 0
	s_cbranch_execnz .LBB6_1066
.LBB6_1065:                             ;   in Loop: Header=BB6_1027 Depth=1
	global_load_dwordx2 v[18:19], v28, s[4:5]
	s_add_i32 s15, s28, -8
	s_add_u32 s4, s4, 8
	s_addc_u32 s5, s5, 0
.LBB6_1066:                             ;   in Loop: Header=BB6_1027 Depth=1
	s_cmp_gt_u32 s15, 7
	s_cbranch_scc1 .LBB6_1070
; %bb.1067:                             ;   in Loop: Header=BB6_1027 Depth=1
	s_cmp_eq_u32 s15, 0
	s_cbranch_scc1 .LBB6_1071
; %bb.1068:                             ;   in Loop: Header=BB6_1027 Depth=1
	v_mov_b32_e32 v20, 0
	s_mov_b64 s[24:25], 0
	v_mov_b32_e32 v21, 0
	s_mov_b64 s[26:27], 0
.LBB6_1069:                             ;   Parent Loop BB6_1027 Depth=1
                                        ; =>  This Inner Loop Header: Depth=2
	s_add_u32 s28, s4, s26
	s_addc_u32 s29, s5, s27
	global_load_ubyte v4, v28, s[28:29]
	s_add_u32 s26, s26, 1
	s_addc_u32 s27, s27, 0
	s_waitcnt vmcnt(0)
	v_and_b32_e32 v27, 0xffff, v4
	v_lshlrev_b64 v[4:5], s24, v[27:28]
	s_add_u32 s24, s24, 8
	s_addc_u32 s25, s25, 0
	v_or_b32_e32 v20, v4, v20
	s_cmp_lg_u32 s15, s26
	v_or_b32_e32 v21, v5, v21
	s_cbranch_scc1 .LBB6_1069
	s_branch .LBB6_1072
.LBB6_1070:                             ;   in Loop: Header=BB6_1027 Depth=1
                                        ; implicit-def: $vgpr20_vgpr21
                                        ; implicit-def: $sgpr28
	s_branch .LBB6_1073
.LBB6_1071:                             ;   in Loop: Header=BB6_1027 Depth=1
	v_mov_b32_e32 v20, 0
	v_mov_b32_e32 v21, 0
.LBB6_1072:                             ;   in Loop: Header=BB6_1027 Depth=1
	s_mov_b32 s28, 0
	s_cbranch_execnz .LBB6_1074
.LBB6_1073:                             ;   in Loop: Header=BB6_1027 Depth=1
	global_load_dwordx2 v[20:21], v28, s[4:5]
	s_add_i32 s28, s15, -8
	s_add_u32 s4, s4, 8
	s_addc_u32 s5, s5, 0
.LBB6_1074:                             ;   in Loop: Header=BB6_1027 Depth=1
	s_cmp_gt_u32 s28, 7
	s_cbranch_scc1 .LBB6_1078
; %bb.1075:                             ;   in Loop: Header=BB6_1027 Depth=1
	s_cmp_eq_u32 s28, 0
	s_cbranch_scc1 .LBB6_1079
; %bb.1076:                             ;   in Loop: Header=BB6_1027 Depth=1
	v_mov_b32_e32 v22, 0
	s_mov_b64 s[24:25], 0
	v_mov_b32_e32 v23, 0
	s_mov_b64 s[26:27], s[4:5]
.LBB6_1077:                             ;   Parent Loop BB6_1027 Depth=1
                                        ; =>  This Inner Loop Header: Depth=2
	global_load_ubyte v4, v28, s[26:27]
	s_add_i32 s28, s28, -1
	s_waitcnt vmcnt(0)
	v_and_b32_e32 v27, 0xffff, v4
	v_lshlrev_b64 v[4:5], s24, v[27:28]
	s_add_u32 s24, s24, 8
	s_addc_u32 s25, s25, 0
	s_add_u32 s26, s26, 1
	s_addc_u32 s27, s27, 0
	v_or_b32_e32 v22, v4, v22
	s_cmp_lg_u32 s28, 0
	v_or_b32_e32 v23, v5, v23
	s_cbranch_scc1 .LBB6_1077
	s_branch .LBB6_1080
.LBB6_1078:                             ;   in Loop: Header=BB6_1027 Depth=1
	s_branch .LBB6_1081
.LBB6_1079:                             ;   in Loop: Header=BB6_1027 Depth=1
	v_mov_b32_e32 v22, 0
	v_mov_b32_e32 v23, 0
.LBB6_1080:                             ;   in Loop: Header=BB6_1027 Depth=1
	s_cbranch_execnz .LBB6_1082
.LBB6_1081:                             ;   in Loop: Header=BB6_1027 Depth=1
	global_load_dwordx2 v[22:23], v28, s[4:5]
.LBB6_1082:                             ;   in Loop: Header=BB6_1027 Depth=1
	v_readfirstlane_b32 s4, v32
	s_waitcnt vmcnt(0)
	v_mov_b32_e32 v4, 0
	v_mov_b32_e32 v5, 0
	v_cmp_eq_u32_e64 s[4:5], s4, v32
	s_and_saveexec_b64 s[24:25], s[4:5]
	s_cbranch_execz .LBB6_1088
; %bb.1083:                             ;   in Loop: Header=BB6_1027 Depth=1
	global_load_dwordx2 v[26:27], v28, s[6:7] offset:24 glc
	s_waitcnt vmcnt(0)
	buffer_wbinvl1_vol
	global_load_dwordx2 v[4:5], v28, s[6:7] offset:40
	global_load_dwordx2 v[8:9], v28, s[6:7]
	s_waitcnt vmcnt(1)
	v_and_b32_e32 v4, v4, v26
	v_and_b32_e32 v5, v5, v27
	v_mul_lo_u32 v5, v5, 24
	v_mul_hi_u32 v24, v4, 24
	v_mul_lo_u32 v4, v4, 24
	v_add_u32_e32 v5, v24, v5
	s_waitcnt vmcnt(0)
	v_add_co_u32_e32 v4, vcc, v8, v4
	v_addc_co_u32_e32 v5, vcc, v9, v5, vcc
	global_load_dwordx2 v[24:25], v[4:5], off glc
	s_waitcnt vmcnt(0)
	global_atomic_cmpswap_x2 v[4:5], v28, v[24:27], s[6:7] offset:24 glc
	s_waitcnt vmcnt(0)
	buffer_wbinvl1_vol
	v_cmp_ne_u64_e32 vcc, v[4:5], v[26:27]
	s_and_saveexec_b64 s[26:27], vcc
	s_cbranch_execz .LBB6_1087
; %bb.1084:                             ;   in Loop: Header=BB6_1027 Depth=1
	s_mov_b64 s[28:29], 0
.LBB6_1085:                             ;   Parent Loop BB6_1027 Depth=1
                                        ; =>  This Inner Loop Header: Depth=2
	s_sleep 1
	global_load_dwordx2 v[8:9], v28, s[6:7] offset:40
	global_load_dwordx2 v[24:25], v28, s[6:7]
	v_mov_b32_e32 v27, v5
	v_mov_b32_e32 v26, v4
	s_waitcnt vmcnt(1)
	v_and_b32_e32 v4, v8, v26
	s_waitcnt vmcnt(0)
	v_mad_u64_u32 v[4:5], vcc, v4, 24, v[24:25]
	v_and_b32_e32 v8, v9, v27
	v_mad_u64_u32 v[8:9], vcc, v8, 24, v[5:6]
	v_mov_b32_e32 v5, v8
	global_load_dwordx2 v[24:25], v[4:5], off glc
	s_waitcnt vmcnt(0)
	global_atomic_cmpswap_x2 v[4:5], v28, v[24:27], s[6:7] offset:24 glc
	s_waitcnt vmcnt(0)
	buffer_wbinvl1_vol
	v_cmp_eq_u64_e32 vcc, v[4:5], v[26:27]
	s_or_b64 s[28:29], vcc, s[28:29]
	s_andn2_b64 exec, exec, s[28:29]
	s_cbranch_execnz .LBB6_1085
; %bb.1086:                             ;   in Loop: Header=BB6_1027 Depth=1
	s_or_b64 exec, exec, s[28:29]
.LBB6_1087:                             ;   in Loop: Header=BB6_1027 Depth=1
	s_or_b64 exec, exec, s[26:27]
.LBB6_1088:                             ;   in Loop: Header=BB6_1027 Depth=1
	s_or_b64 exec, exec, s[24:25]
	global_load_dwordx2 v[8:9], v28, s[6:7] offset:40
	global_load_dwordx4 v[24:27], v28, s[6:7]
	v_readfirstlane_b32 s24, v4
	v_readfirstlane_b32 s25, v5
	s_mov_b64 s[26:27], exec
	s_waitcnt vmcnt(1)
	v_readfirstlane_b32 s28, v8
	v_readfirstlane_b32 s29, v9
	s_and_b64 s[28:29], s[24:25], s[28:29]
	s_mul_i32 s15, s29, 24
	s_mul_hi_u32 vcc_lo, s28, 24
	s_mul_i32 vcc_hi, s28, 24
	s_add_i32 s15, vcc_lo, s15
	v_mov_b32_e32 v4, s15
	s_waitcnt vmcnt(0)
	v_add_co_u32_e32 v29, vcc, vcc_hi, v24
	v_addc_co_u32_e32 v30, vcc, v25, v4, vcc
	s_and_saveexec_b64 vcc, s[4:5]
	s_cbranch_execz .LBB6_1090
; %bb.1089:                             ;   in Loop: Header=BB6_1027 Depth=1
	v_mov_b32_e32 v4, s26
	v_mov_b32_e32 v5, s27
	global_store_dwordx4 v[29:30], v[4:7], off offset:8
.LBB6_1090:                             ;   in Loop: Header=BB6_1027 Depth=1
	s_or_b64 exec, exec, vcc
	s_lshl_b64 s[26:27], s[28:29], 12
	v_mov_b32_e32 v4, s27
	v_add_co_u32_e32 v26, vcc, s26, v26
	v_addc_co_u32_e32 v34, vcc, v27, v4, vcc
	v_cmp_gt_u64_e64 vcc, s[20:21], 56
	v_or_b32_e32 v5, v2, v33
	s_lshl_b32 s15, s22, 2
	v_cndmask_b32_e32 v2, v5, v2, vcc
	s_add_i32 s15, s15, 28
	v_or_b32_e32 v4, 0, v3
	s_and_b32 s15, s15, 0x1e0
	v_and_b32_e32 v2, 0xffffff1f, v2
	v_cndmask_b32_e32 v9, v4, v3, vcc
	v_or_b32_e32 v8, s15, v2
	v_readfirstlane_b32 s26, v26
	v_readfirstlane_b32 s27, v34
	s_nop 4
	global_store_dwordx4 v31, v[8:11], s[26:27]
	global_store_dwordx4 v31, v[12:15], s[26:27] offset:16
	global_store_dwordx4 v31, v[16:19], s[26:27] offset:32
	;; [unrolled: 1-line block ×3, first 2 shown]
	s_and_saveexec_b64 s[26:27], s[4:5]
	s_cbranch_execz .LBB6_1098
; %bb.1091:                             ;   in Loop: Header=BB6_1027 Depth=1
	global_load_dwordx2 v[12:13], v28, s[6:7] offset:32 glc
	global_load_dwordx2 v[2:3], v28, s[6:7] offset:40
	v_mov_b32_e32 v10, s24
	v_mov_b32_e32 v11, s25
	s_waitcnt vmcnt(0)
	v_readfirstlane_b32 s28, v2
	v_readfirstlane_b32 s29, v3
	s_and_b64 s[28:29], s[28:29], s[24:25]
	s_mul_i32 s15, s29, 24
	s_mul_hi_u32 s29, s28, 24
	s_mul_i32 s28, s28, 24
	s_add_i32 s15, s29, s15
	v_mov_b32_e32 v2, s15
	v_add_co_u32_e32 v8, vcc, s28, v24
	v_addc_co_u32_e32 v9, vcc, v25, v2, vcc
	global_store_dwordx2 v[8:9], v[12:13], off
	s_waitcnt vmcnt(0)
	global_atomic_cmpswap_x2 v[4:5], v28, v[10:13], s[6:7] offset:32 glc
	s_waitcnt vmcnt(0)
	v_cmp_ne_u64_e32 vcc, v[4:5], v[12:13]
	s_and_saveexec_b64 s[28:29], vcc
	s_cbranch_execz .LBB6_1094
; %bb.1092:                             ;   in Loop: Header=BB6_1027 Depth=1
	s_mov_b64 s[30:31], 0
.LBB6_1093:                             ;   Parent Loop BB6_1027 Depth=1
                                        ; =>  This Inner Loop Header: Depth=2
	s_sleep 1
	global_store_dwordx2 v[8:9], v[4:5], off
	v_mov_b32_e32 v2, s24
	v_mov_b32_e32 v3, s25
	s_waitcnt vmcnt(0)
	global_atomic_cmpswap_x2 v[2:3], v28, v[2:5], s[6:7] offset:32 glc
	s_waitcnt vmcnt(0)
	v_cmp_eq_u64_e32 vcc, v[2:3], v[4:5]
	v_mov_b32_e32 v5, v3
	s_or_b64 s[30:31], vcc, s[30:31]
	v_mov_b32_e32 v4, v2
	s_andn2_b64 exec, exec, s[30:31]
	s_cbranch_execnz .LBB6_1093
.LBB6_1094:                             ;   in Loop: Header=BB6_1027 Depth=1
	s_or_b64 exec, exec, s[28:29]
	global_load_dwordx2 v[2:3], v28, s[6:7] offset:16
	s_mov_b64 s[30:31], exec
	v_mbcnt_lo_u32_b32 v4, s30, 0
	v_mbcnt_hi_u32_b32 v4, s31, v4
	v_cmp_eq_u32_e32 vcc, 0, v4
	s_and_saveexec_b64 s[28:29], vcc
	s_cbranch_execz .LBB6_1096
; %bb.1095:                             ;   in Loop: Header=BB6_1027 Depth=1
	s_bcnt1_i32_b64 s15, s[30:31]
	v_mov_b32_e32 v27, s15
	s_waitcnt vmcnt(0)
	global_atomic_add_x2 v[2:3], v[27:28], off offset:8
.LBB6_1096:                             ;   in Loop: Header=BB6_1027 Depth=1
	s_or_b64 exec, exec, s[28:29]
	s_waitcnt vmcnt(0)
	global_load_dwordx2 v[4:5], v[2:3], off offset:16
	s_waitcnt vmcnt(0)
	v_cmp_eq_u64_e32 vcc, 0, v[4:5]
	s_cbranch_vccnz .LBB6_1098
; %bb.1097:                             ;   in Loop: Header=BB6_1027 Depth=1
	global_load_dword v27, v[2:3], off offset:24
	s_waitcnt vmcnt(0)
	v_and_b32_e32 v2, 0xffffff, v27
	v_readfirstlane_b32 m0, v2
	global_store_dwordx2 v[4:5], v[27:28], off
	s_sendmsg sendmsg(MSG_INTERRUPT)
.LBB6_1098:                             ;   in Loop: Header=BB6_1027 Depth=1
	s_or_b64 exec, exec, s[26:27]
	v_add_co_u32_e32 v2, vcc, v26, v31
	v_addc_co_u32_e32 v3, vcc, 0, v34, vcc
	s_branch .LBB6_1102
.LBB6_1099:                             ;   in Loop: Header=BB6_1102 Depth=2
	s_or_b64 exec, exec, s[26:27]
	v_readfirstlane_b32 s15, v4
	s_cmp_eq_u32 s15, 0
	s_cbranch_scc1 .LBB6_1101
; %bb.1100:                             ;   in Loop: Header=BB6_1102 Depth=2
	s_sleep 1
	s_cbranch_execnz .LBB6_1102
	s_branch .LBB6_1104
.LBB6_1101:                             ;   in Loop: Header=BB6_1027 Depth=1
	s_branch .LBB6_1104
.LBB6_1102:                             ;   Parent Loop BB6_1027 Depth=1
                                        ; =>  This Inner Loop Header: Depth=2
	v_mov_b32_e32 v4, 1
	s_and_saveexec_b64 s[26:27], s[4:5]
	s_cbranch_execz .LBB6_1099
; %bb.1103:                             ;   in Loop: Header=BB6_1102 Depth=2
	global_load_dword v4, v[29:30], off offset:20 glc
	s_waitcnt vmcnt(0)
	buffer_wbinvl1_vol
	v_and_b32_e32 v4, 1, v4
	s_branch .LBB6_1099
.LBB6_1104:                             ;   in Loop: Header=BB6_1027 Depth=1
	global_load_dwordx4 v[2:5], v[2:3], off
	s_and_saveexec_b64 s[26:27], s[4:5]
	s_cbranch_execz .LBB6_1026
; %bb.1105:                             ;   in Loop: Header=BB6_1027 Depth=1
	global_load_dwordx2 v[4:5], v28, s[6:7] offset:40
	global_load_dwordx2 v[12:13], v28, s[6:7] offset:24 glc
	global_load_dwordx2 v[14:15], v28, s[6:7]
	v_mov_b32_e32 v9, s25
	s_waitcnt vmcnt(2)
	v_add_co_u32_e32 v10, vcc, 1, v4
	v_addc_co_u32_e32 v11, vcc, 0, v5, vcc
	v_add_co_u32_e32 v8, vcc, s24, v10
	v_addc_co_u32_e32 v9, vcc, v11, v9, vcc
	v_cmp_eq_u64_e32 vcc, 0, v[8:9]
	v_cndmask_b32_e32 v9, v9, v11, vcc
	v_cndmask_b32_e32 v8, v8, v10, vcc
	v_and_b32_e32 v5, v9, v5
	v_and_b32_e32 v4, v8, v4
	v_mul_lo_u32 v5, v5, 24
	v_mul_hi_u32 v11, v4, 24
	v_mul_lo_u32 v4, v4, 24
	s_waitcnt vmcnt(1)
	v_mov_b32_e32 v10, v12
	v_add_u32_e32 v5, v11, v5
	s_waitcnt vmcnt(0)
	v_add_co_u32_e32 v4, vcc, v14, v4
	v_addc_co_u32_e32 v5, vcc, v15, v5, vcc
	global_store_dwordx2 v[4:5], v[12:13], off
	v_mov_b32_e32 v11, v13
	s_waitcnt vmcnt(0)
	global_atomic_cmpswap_x2 v[10:11], v28, v[8:11], s[6:7] offset:24 glc
	s_waitcnt vmcnt(0)
	v_cmp_ne_u64_e32 vcc, v[10:11], v[12:13]
	s_and_b64 exec, exec, vcc
	s_cbranch_execz .LBB6_1026
; %bb.1106:                             ;   in Loop: Header=BB6_1027 Depth=1
	s_mov_b64 s[4:5], 0
.LBB6_1107:                             ;   Parent Loop BB6_1027 Depth=1
                                        ; =>  This Inner Loop Header: Depth=2
	s_sleep 1
	global_store_dwordx2 v[4:5], v[10:11], off
	s_waitcnt vmcnt(0)
	global_atomic_cmpswap_x2 v[12:13], v28, v[8:11], s[6:7] offset:24 glc
	s_waitcnt vmcnt(0)
	v_cmp_eq_u64_e32 vcc, v[12:13], v[10:11]
	v_mov_b32_e32 v10, v12
	s_or_b64 s[4:5], vcc, s[4:5]
	v_mov_b32_e32 v11, v13
	s_andn2_b64 exec, exec, s[4:5]
	s_cbranch_execnz .LBB6_1107
	s_branch .LBB6_1026
.LBB6_1108:
	s_branch .LBB6_1136
.LBB6_1109:
                                        ; implicit-def: $vgpr2_vgpr3
	s_cbranch_execz .LBB6_1136
; %bb.1110:
	v_readfirstlane_b32 s4, v32
	v_mov_b32_e32 v8, 0
	v_mov_b32_e32 v9, 0
	v_cmp_eq_u32_e64 s[4:5], s4, v32
	s_and_saveexec_b64 s[18:19], s[4:5]
	s_cbranch_execz .LBB6_1116
; %bb.1111:
	s_waitcnt vmcnt(0)
	v_mov_b32_e32 v2, 0
	global_load_dwordx2 v[5:6], v2, s[6:7] offset:24 glc
	s_waitcnt vmcnt(0)
	buffer_wbinvl1_vol
	global_load_dwordx2 v[3:4], v2, s[6:7] offset:40
	global_load_dwordx2 v[7:8], v2, s[6:7]
	s_waitcnt vmcnt(1)
	v_and_b32_e32 v3, v3, v5
	v_and_b32_e32 v4, v4, v6
	v_mul_lo_u32 v4, v4, 24
	v_mul_hi_u32 v9, v3, 24
	v_mul_lo_u32 v3, v3, 24
	v_add_u32_e32 v4, v9, v4
	s_waitcnt vmcnt(0)
	v_add_co_u32_e32 v3, vcc, v7, v3
	v_addc_co_u32_e32 v4, vcc, v8, v4, vcc
	global_load_dwordx2 v[3:4], v[3:4], off glc
	s_waitcnt vmcnt(0)
	global_atomic_cmpswap_x2 v[8:9], v2, v[3:6], s[6:7] offset:24 glc
	s_waitcnt vmcnt(0)
	buffer_wbinvl1_vol
	v_cmp_ne_u64_e32 vcc, v[8:9], v[5:6]
	s_and_saveexec_b64 s[20:21], vcc
	s_cbranch_execz .LBB6_1115
; %bb.1112:
	s_mov_b64 s[22:23], 0
.LBB6_1113:                             ; =>This Inner Loop Header: Depth=1
	s_sleep 1
	global_load_dwordx2 v[3:4], v2, s[6:7] offset:40
	global_load_dwordx2 v[10:11], v2, s[6:7]
	v_mov_b32_e32 v5, v8
	v_mov_b32_e32 v6, v9
	s_waitcnt vmcnt(1)
	v_and_b32_e32 v3, v3, v5
	s_waitcnt vmcnt(0)
	v_mad_u64_u32 v[7:8], s[24:25], v3, 24, v[10:11]
	v_and_b32_e32 v4, v4, v6
	v_mov_b32_e32 v3, v8
	v_mad_u64_u32 v[3:4], s[24:25], v4, 24, v[3:4]
	v_mov_b32_e32 v8, v3
	global_load_dwordx2 v[3:4], v[7:8], off glc
	s_waitcnt vmcnt(0)
	global_atomic_cmpswap_x2 v[8:9], v2, v[3:6], s[6:7] offset:24 glc
	s_waitcnt vmcnt(0)
	buffer_wbinvl1_vol
	v_cmp_eq_u64_e32 vcc, v[8:9], v[5:6]
	s_or_b64 s[22:23], vcc, s[22:23]
	s_andn2_b64 exec, exec, s[22:23]
	s_cbranch_execnz .LBB6_1113
; %bb.1114:
	s_or_b64 exec, exec, s[22:23]
.LBB6_1115:
	s_or_b64 exec, exec, s[20:21]
.LBB6_1116:
	s_or_b64 exec, exec, s[18:19]
	s_waitcnt vmcnt(0)
	v_mov_b32_e32 v2, 0
	global_load_dwordx2 v[10:11], v2, s[6:7] offset:40
	global_load_dwordx4 v[4:7], v2, s[6:7]
	v_readfirstlane_b32 s18, v8
	v_readfirstlane_b32 s19, v9
	s_mov_b64 s[20:21], exec
	s_waitcnt vmcnt(1)
	v_readfirstlane_b32 s22, v10
	v_readfirstlane_b32 s23, v11
	s_and_b64 s[22:23], s[18:19], s[22:23]
	s_mul_i32 s15, s23, 24
	s_mul_hi_u32 s24, s22, 24
	s_mul_i32 s25, s22, 24
	s_add_i32 s15, s24, s15
	v_mov_b32_e32 v3, s15
	s_waitcnt vmcnt(0)
	v_add_co_u32_e32 v8, vcc, s25, v4
	v_addc_co_u32_e32 v9, vcc, v5, v3, vcc
	s_and_saveexec_b64 s[24:25], s[4:5]
	s_cbranch_execz .LBB6_1118
; %bb.1117:
	v_mov_b32_e32 v10, s20
	v_mov_b32_e32 v11, s21
	;; [unrolled: 1-line block ×4, first 2 shown]
	global_store_dwordx4 v[8:9], v[10:13], off offset:8
.LBB6_1118:
	s_or_b64 exec, exec, s[24:25]
	s_lshl_b64 s[20:21], s[22:23], 12
	v_mov_b32_e32 v3, s21
	v_add_co_u32_e32 v10, vcc, s20, v6
	v_addc_co_u32_e32 v11, vcc, v7, v3, vcc
	s_movk_i32 s15, 0xff1f
	v_and_or_b32 v0, v0, s15, 32
	s_mov_b32 s20, 0
	v_mov_b32_e32 v3, v2
	v_readfirstlane_b32 s24, v10
	v_readfirstlane_b32 s25, v11
	v_add_co_u32_e32 v6, vcc, v10, v31
	s_mov_b32 s21, s20
	s_mov_b32 s22, s20
	;; [unrolled: 1-line block ×3, first 2 shown]
	s_nop 0
	global_store_dwordx4 v31, v[0:3], s[24:25]
	v_addc_co_u32_e32 v7, vcc, 0, v11, vcc
	v_mov_b32_e32 v0, s20
	v_mov_b32_e32 v1, s21
	;; [unrolled: 1-line block ×4, first 2 shown]
	global_store_dwordx4 v31, v[0:3], s[24:25] offset:16
	global_store_dwordx4 v31, v[0:3], s[24:25] offset:32
	;; [unrolled: 1-line block ×3, first 2 shown]
	s_and_saveexec_b64 s[20:21], s[4:5]
	s_cbranch_execz .LBB6_1126
; %bb.1119:
	v_mov_b32_e32 v10, 0
	global_load_dwordx2 v[13:14], v10, s[6:7] offset:32 glc
	global_load_dwordx2 v[0:1], v10, s[6:7] offset:40
	v_mov_b32_e32 v11, s18
	v_mov_b32_e32 v12, s19
	s_waitcnt vmcnt(0)
	v_readfirstlane_b32 s22, v0
	v_readfirstlane_b32 s23, v1
	s_and_b64 s[22:23], s[22:23], s[18:19]
	s_mul_i32 s15, s23, 24
	s_mul_hi_u32 s23, s22, 24
	s_mul_i32 s22, s22, 24
	s_add_i32 s15, s23, s15
	v_mov_b32_e32 v0, s15
	v_add_co_u32_e32 v4, vcc, s22, v4
	v_addc_co_u32_e32 v5, vcc, v5, v0, vcc
	global_store_dwordx2 v[4:5], v[13:14], off
	s_waitcnt vmcnt(0)
	global_atomic_cmpswap_x2 v[2:3], v10, v[11:14], s[6:7] offset:32 glc
	s_waitcnt vmcnt(0)
	v_cmp_ne_u64_e32 vcc, v[2:3], v[13:14]
	s_and_saveexec_b64 s[22:23], vcc
	s_cbranch_execz .LBB6_1122
; %bb.1120:
	s_mov_b64 s[24:25], 0
.LBB6_1121:                             ; =>This Inner Loop Header: Depth=1
	s_sleep 1
	global_store_dwordx2 v[4:5], v[2:3], off
	v_mov_b32_e32 v0, s18
	v_mov_b32_e32 v1, s19
	s_waitcnt vmcnt(0)
	global_atomic_cmpswap_x2 v[0:1], v10, v[0:3], s[6:7] offset:32 glc
	s_waitcnt vmcnt(0)
	v_cmp_eq_u64_e32 vcc, v[0:1], v[2:3]
	v_mov_b32_e32 v3, v1
	s_or_b64 s[24:25], vcc, s[24:25]
	v_mov_b32_e32 v2, v0
	s_andn2_b64 exec, exec, s[24:25]
	s_cbranch_execnz .LBB6_1121
.LBB6_1122:
	s_or_b64 exec, exec, s[22:23]
	v_mov_b32_e32 v3, 0
	global_load_dwordx2 v[0:1], v3, s[6:7] offset:16
	s_mov_b64 s[22:23], exec
	v_mbcnt_lo_u32_b32 v2, s22, 0
	v_mbcnt_hi_u32_b32 v2, s23, v2
	v_cmp_eq_u32_e32 vcc, 0, v2
	s_and_saveexec_b64 s[24:25], vcc
	s_cbranch_execz .LBB6_1124
; %bb.1123:
	s_bcnt1_i32_b64 s15, s[22:23]
	v_mov_b32_e32 v2, s15
	s_waitcnt vmcnt(0)
	global_atomic_add_x2 v[0:1], v[2:3], off offset:8
.LBB6_1124:
	s_or_b64 exec, exec, s[24:25]
	s_waitcnt vmcnt(0)
	global_load_dwordx2 v[2:3], v[0:1], off offset:16
	s_waitcnt vmcnt(0)
	v_cmp_eq_u64_e32 vcc, 0, v[2:3]
	s_cbranch_vccnz .LBB6_1126
; %bb.1125:
	global_load_dword v0, v[0:1], off offset:24
	v_mov_b32_e32 v1, 0
	s_waitcnt vmcnt(0)
	global_store_dwordx2 v[2:3], v[0:1], off
	v_and_b32_e32 v0, 0xffffff, v0
	v_readfirstlane_b32 m0, v0
	s_sendmsg sendmsg(MSG_INTERRUPT)
.LBB6_1126:
	s_or_b64 exec, exec, s[20:21]
	s_branch .LBB6_1130
.LBB6_1127:                             ;   in Loop: Header=BB6_1130 Depth=1
	s_or_b64 exec, exec, s[20:21]
	v_readfirstlane_b32 s15, v0
	s_cmp_eq_u32 s15, 0
	s_cbranch_scc1 .LBB6_1129
; %bb.1128:                             ;   in Loop: Header=BB6_1130 Depth=1
	s_sleep 1
	s_cbranch_execnz .LBB6_1130
	s_branch .LBB6_1132
.LBB6_1129:
	s_branch .LBB6_1132
.LBB6_1130:                             ; =>This Inner Loop Header: Depth=1
	v_mov_b32_e32 v0, 1
	s_and_saveexec_b64 s[20:21], s[4:5]
	s_cbranch_execz .LBB6_1127
; %bb.1131:                             ;   in Loop: Header=BB6_1130 Depth=1
	global_load_dword v0, v[8:9], off offset:20 glc
	s_waitcnt vmcnt(0)
	buffer_wbinvl1_vol
	v_and_b32_e32 v0, 1, v0
	s_branch .LBB6_1127
.LBB6_1132:
	global_load_dwordx2 v[2:3], v[6:7], off
	s_and_saveexec_b64 s[20:21], s[4:5]
	s_cbranch_execz .LBB6_1135
; %bb.1133:
	v_mov_b32_e32 v8, 0
	global_load_dwordx2 v[0:1], v8, s[6:7] offset:40
	global_load_dwordx2 v[9:10], v8, s[6:7] offset:24 glc
	global_load_dwordx2 v[11:12], v8, s[6:7]
	v_mov_b32_e32 v5, s19
	s_mov_b64 s[4:5], 0
	s_waitcnt vmcnt(2)
	v_add_co_u32_e32 v6, vcc, 1, v0
	v_addc_co_u32_e32 v7, vcc, 0, v1, vcc
	v_add_co_u32_e32 v4, vcc, s18, v6
	v_addc_co_u32_e32 v5, vcc, v7, v5, vcc
	v_cmp_eq_u64_e32 vcc, 0, v[4:5]
	v_cndmask_b32_e32 v5, v5, v7, vcc
	v_cndmask_b32_e32 v4, v4, v6, vcc
	v_and_b32_e32 v1, v5, v1
	v_and_b32_e32 v0, v4, v0
	v_mul_lo_u32 v1, v1, 24
	v_mul_hi_u32 v7, v0, 24
	v_mul_lo_u32 v0, v0, 24
	s_waitcnt vmcnt(1)
	v_mov_b32_e32 v6, v9
	v_add_u32_e32 v1, v7, v1
	s_waitcnt vmcnt(0)
	v_add_co_u32_e32 v0, vcc, v11, v0
	v_addc_co_u32_e32 v1, vcc, v12, v1, vcc
	global_store_dwordx2 v[0:1], v[9:10], off
	v_mov_b32_e32 v7, v10
	s_waitcnt vmcnt(0)
	global_atomic_cmpswap_x2 v[6:7], v8, v[4:7], s[6:7] offset:24 glc
	s_waitcnt vmcnt(0)
	v_cmp_ne_u64_e32 vcc, v[6:7], v[9:10]
	s_and_b64 exec, exec, vcc
	s_cbranch_execz .LBB6_1135
.LBB6_1134:                             ; =>This Inner Loop Header: Depth=1
	s_sleep 1
	global_store_dwordx2 v[0:1], v[6:7], off
	s_waitcnt vmcnt(0)
	global_atomic_cmpswap_x2 v[9:10], v8, v[4:7], s[6:7] offset:24 glc
	s_waitcnt vmcnt(0)
	v_cmp_eq_u64_e32 vcc, v[9:10], v[6:7]
	v_mov_b32_e32 v6, v9
	s_or_b64 s[4:5], vcc, s[4:5]
	v_mov_b32_e32 v7, v10
	s_andn2_b64 exec, exec, s[4:5]
	s_cbranch_execnz .LBB6_1134
.LBB6_1135:
	s_or_b64 exec, exec, s[20:21]
.LBB6_1136:
	v_readfirstlane_b32 s4, v32
	s_waitcnt vmcnt(0)
	v_mov_b32_e32 v0, 0
	v_mov_b32_e32 v1, 0
	v_cmp_eq_u32_e64 s[4:5], s4, v32
	s_and_saveexec_b64 s[18:19], s[4:5]
	s_cbranch_execz .LBB6_1142
; %bb.1137:
	v_mov_b32_e32 v4, 0
	global_load_dwordx2 v[7:8], v4, s[6:7] offset:24 glc
	s_waitcnt vmcnt(0)
	buffer_wbinvl1_vol
	global_load_dwordx2 v[0:1], v4, s[6:7] offset:40
	global_load_dwordx2 v[5:6], v4, s[6:7]
	s_waitcnt vmcnt(1)
	v_and_b32_e32 v0, v0, v7
	v_and_b32_e32 v1, v1, v8
	v_mul_lo_u32 v1, v1, 24
	v_mul_hi_u32 v9, v0, 24
	v_mul_lo_u32 v0, v0, 24
	v_add_u32_e32 v1, v9, v1
	s_waitcnt vmcnt(0)
	v_add_co_u32_e32 v0, vcc, v5, v0
	v_addc_co_u32_e32 v1, vcc, v6, v1, vcc
	global_load_dwordx2 v[5:6], v[0:1], off glc
	s_waitcnt vmcnt(0)
	global_atomic_cmpswap_x2 v[0:1], v4, v[5:8], s[6:7] offset:24 glc
	s_waitcnt vmcnt(0)
	buffer_wbinvl1_vol
	v_cmp_ne_u64_e32 vcc, v[0:1], v[7:8]
	s_and_saveexec_b64 s[20:21], vcc
	s_cbranch_execz .LBB6_1141
; %bb.1138:
	s_mov_b64 s[22:23], 0
.LBB6_1139:                             ; =>This Inner Loop Header: Depth=1
	s_sleep 1
	global_load_dwordx2 v[5:6], v4, s[6:7] offset:40
	global_load_dwordx2 v[9:10], v4, s[6:7]
	v_mov_b32_e32 v8, v1
	v_mov_b32_e32 v7, v0
	s_waitcnt vmcnt(1)
	v_and_b32_e32 v0, v5, v7
	s_waitcnt vmcnt(0)
	v_mad_u64_u32 v[0:1], s[24:25], v0, 24, v[9:10]
	v_and_b32_e32 v5, v6, v8
	v_mad_u64_u32 v[5:6], s[24:25], v5, 24, v[1:2]
	v_mov_b32_e32 v1, v5
	global_load_dwordx2 v[5:6], v[0:1], off glc
	s_waitcnt vmcnt(0)
	global_atomic_cmpswap_x2 v[0:1], v4, v[5:8], s[6:7] offset:24 glc
	s_waitcnt vmcnt(0)
	buffer_wbinvl1_vol
	v_cmp_eq_u64_e32 vcc, v[0:1], v[7:8]
	s_or_b64 s[22:23], vcc, s[22:23]
	s_andn2_b64 exec, exec, s[22:23]
	s_cbranch_execnz .LBB6_1139
; %bb.1140:
	s_or_b64 exec, exec, s[22:23]
.LBB6_1141:
	s_or_b64 exec, exec, s[20:21]
.LBB6_1142:
	s_or_b64 exec, exec, s[18:19]
	v_mov_b32_e32 v5, 0
	global_load_dwordx2 v[10:11], v5, s[6:7] offset:40
	global_load_dwordx4 v[6:9], v5, s[6:7]
	v_readfirstlane_b32 s18, v0
	v_readfirstlane_b32 s19, v1
	s_mov_b64 s[20:21], exec
	s_waitcnt vmcnt(1)
	v_readfirstlane_b32 s22, v10
	v_readfirstlane_b32 s23, v11
	s_and_b64 s[22:23], s[18:19], s[22:23]
	s_mul_i32 s15, s23, 24
	s_mul_hi_u32 s24, s22, 24
	s_mul_i32 s25, s22, 24
	s_add_i32 s15, s24, s15
	v_mov_b32_e32 v0, s15
	s_waitcnt vmcnt(0)
	v_add_co_u32_e32 v10, vcc, s25, v6
	v_addc_co_u32_e32 v11, vcc, v7, v0, vcc
	s_and_saveexec_b64 s[24:25], s[4:5]
	s_cbranch_execz .LBB6_1144
; %bb.1143:
	v_mov_b32_e32 v12, s20
	v_mov_b32_e32 v13, s21
	v_mov_b32_e32 v14, 2
	v_mov_b32_e32 v15, 1
	global_store_dwordx4 v[10:11], v[12:15], off offset:8
.LBB6_1144:
	s_or_b64 exec, exec, s[24:25]
	s_lshl_b64 s[20:21], s[22:23], 12
	v_mov_b32_e32 v0, s21
	v_add_co_u32_e32 v1, vcc, s20, v8
	v_addc_co_u32_e32 v0, vcc, v9, v0, vcc
	s_movk_i32 s15, 0xff1d
	v_and_or_b32 v2, v2, s15, 34
	s_mov_b32 s20, 0
	v_mov_b32_e32 v4, 58
	v_readfirstlane_b32 s24, v1
	v_readfirstlane_b32 s25, v0
	s_mov_b32 s21, s20
	s_mov_b32 s22, s20
	;; [unrolled: 1-line block ×3, first 2 shown]
	s_nop 1
	global_store_dwordx4 v31, v[2:5], s[24:25]
	v_mov_b32_e32 v0, s20
	v_mov_b32_e32 v1, s21
	;; [unrolled: 1-line block ×4, first 2 shown]
	global_store_dwordx4 v31, v[0:3], s[24:25] offset:16
	global_store_dwordx4 v31, v[0:3], s[24:25] offset:32
	;; [unrolled: 1-line block ×3, first 2 shown]
	s_and_saveexec_b64 s[20:21], s[4:5]
	s_cbranch_execz .LBB6_1152
; %bb.1145:
	v_mov_b32_e32 v8, 0
	global_load_dwordx2 v[14:15], v8, s[6:7] offset:32 glc
	global_load_dwordx2 v[0:1], v8, s[6:7] offset:40
	v_mov_b32_e32 v12, s18
	v_mov_b32_e32 v13, s19
	s_waitcnt vmcnt(0)
	v_readfirstlane_b32 s22, v0
	v_readfirstlane_b32 s23, v1
	s_and_b64 s[22:23], s[22:23], s[18:19]
	s_mul_i32 s15, s23, 24
	s_mul_hi_u32 s23, s22, 24
	s_mul_i32 s22, s22, 24
	s_add_i32 s15, s23, s15
	v_mov_b32_e32 v0, s15
	v_add_co_u32_e32 v4, vcc, s22, v6
	v_addc_co_u32_e32 v5, vcc, v7, v0, vcc
	global_store_dwordx2 v[4:5], v[14:15], off
	s_waitcnt vmcnt(0)
	global_atomic_cmpswap_x2 v[2:3], v8, v[12:15], s[6:7] offset:32 glc
	s_waitcnt vmcnt(0)
	v_cmp_ne_u64_e32 vcc, v[2:3], v[14:15]
	s_and_saveexec_b64 s[22:23], vcc
	s_cbranch_execz .LBB6_1148
; %bb.1146:
	s_mov_b64 s[24:25], 0
.LBB6_1147:                             ; =>This Inner Loop Header: Depth=1
	s_sleep 1
	global_store_dwordx2 v[4:5], v[2:3], off
	v_mov_b32_e32 v0, s18
	v_mov_b32_e32 v1, s19
	s_waitcnt vmcnt(0)
	global_atomic_cmpswap_x2 v[0:1], v8, v[0:3], s[6:7] offset:32 glc
	s_waitcnt vmcnt(0)
	v_cmp_eq_u64_e32 vcc, v[0:1], v[2:3]
	v_mov_b32_e32 v3, v1
	s_or_b64 s[24:25], vcc, s[24:25]
	v_mov_b32_e32 v2, v0
	s_andn2_b64 exec, exec, s[24:25]
	s_cbranch_execnz .LBB6_1147
.LBB6_1148:
	s_or_b64 exec, exec, s[22:23]
	v_mov_b32_e32 v3, 0
	global_load_dwordx2 v[0:1], v3, s[6:7] offset:16
	s_mov_b64 s[22:23], exec
	v_mbcnt_lo_u32_b32 v2, s22, 0
	v_mbcnt_hi_u32_b32 v2, s23, v2
	v_cmp_eq_u32_e32 vcc, 0, v2
	s_and_saveexec_b64 s[24:25], vcc
	s_cbranch_execz .LBB6_1150
; %bb.1149:
	s_bcnt1_i32_b64 s15, s[22:23]
	v_mov_b32_e32 v2, s15
	s_waitcnt vmcnt(0)
	global_atomic_add_x2 v[0:1], v[2:3], off offset:8
.LBB6_1150:
	s_or_b64 exec, exec, s[24:25]
	s_waitcnt vmcnt(0)
	global_load_dwordx2 v[2:3], v[0:1], off offset:16
	s_waitcnt vmcnt(0)
	v_cmp_eq_u64_e32 vcc, 0, v[2:3]
	s_cbranch_vccnz .LBB6_1152
; %bb.1151:
	global_load_dword v0, v[0:1], off offset:24
	v_mov_b32_e32 v1, 0
	s_waitcnt vmcnt(0)
	global_store_dwordx2 v[2:3], v[0:1], off
	v_and_b32_e32 v0, 0xffffff, v0
	v_readfirstlane_b32 m0, v0
	s_sendmsg sendmsg(MSG_INTERRUPT)
.LBB6_1152:
	s_or_b64 exec, exec, s[20:21]
	s_branch .LBB6_1156
.LBB6_1153:                             ;   in Loop: Header=BB6_1156 Depth=1
	s_or_b64 exec, exec, s[20:21]
	v_readfirstlane_b32 s15, v0
	s_cmp_eq_u32 s15, 0
	s_cbranch_scc1 .LBB6_1155
; %bb.1154:                             ;   in Loop: Header=BB6_1156 Depth=1
	s_sleep 1
	s_cbranch_execnz .LBB6_1156
	s_branch .LBB6_1158
.LBB6_1155:
	s_branch .LBB6_1158
.LBB6_1156:                             ; =>This Inner Loop Header: Depth=1
	v_mov_b32_e32 v0, 1
	s_and_saveexec_b64 s[20:21], s[4:5]
	s_cbranch_execz .LBB6_1153
; %bb.1157:                             ;   in Loop: Header=BB6_1156 Depth=1
	global_load_dword v0, v[10:11], off offset:20 glc
	s_waitcnt vmcnt(0)
	buffer_wbinvl1_vol
	v_and_b32_e32 v0, 1, v0
	s_branch .LBB6_1153
.LBB6_1158:
	s_and_saveexec_b64 s[20:21], s[4:5]
	s_cbranch_execz .LBB6_1161
; %bb.1159:
	v_mov_b32_e32 v6, 0
	global_load_dwordx2 v[2:3], v6, s[6:7] offset:40
	global_load_dwordx2 v[7:8], v6, s[6:7] offset:24 glc
	global_load_dwordx2 v[4:5], v6, s[6:7]
	v_mov_b32_e32 v1, s19
	s_mov_b64 s[4:5], 0
	s_waitcnt vmcnt(2)
	v_add_co_u32_e32 v9, vcc, 1, v2
	v_addc_co_u32_e32 v10, vcc, 0, v3, vcc
	v_add_co_u32_e32 v0, vcc, s18, v9
	v_addc_co_u32_e32 v1, vcc, v10, v1, vcc
	v_cmp_eq_u64_e32 vcc, 0, v[0:1]
	v_cndmask_b32_e32 v1, v1, v10, vcc
	v_cndmask_b32_e32 v0, v0, v9, vcc
	v_and_b32_e32 v3, v1, v3
	v_and_b32_e32 v2, v0, v2
	v_mul_lo_u32 v3, v3, 24
	v_mul_hi_u32 v9, v2, 24
	v_mul_lo_u32 v10, v2, 24
	s_waitcnt vmcnt(1)
	v_mov_b32_e32 v2, v7
	v_add_u32_e32 v3, v9, v3
	s_waitcnt vmcnt(0)
	v_add_co_u32_e32 v4, vcc, v4, v10
	v_addc_co_u32_e32 v5, vcc, v5, v3, vcc
	global_store_dwordx2 v[4:5], v[7:8], off
	v_mov_b32_e32 v3, v8
	s_waitcnt vmcnt(0)
	global_atomic_cmpswap_x2 v[2:3], v6, v[0:3], s[6:7] offset:24 glc
	s_waitcnt vmcnt(0)
	v_cmp_ne_u64_e32 vcc, v[2:3], v[7:8]
	s_and_b64 exec, exec, vcc
	s_cbranch_execz .LBB6_1161
.LBB6_1160:                             ; =>This Inner Loop Header: Depth=1
	s_sleep 1
	global_store_dwordx2 v[4:5], v[2:3], off
	s_waitcnt vmcnt(0)
	global_atomic_cmpswap_x2 v[7:8], v6, v[0:3], s[6:7] offset:24 glc
	s_waitcnt vmcnt(0)
	v_cmp_eq_u64_e32 vcc, v[7:8], v[2:3]
	v_mov_b32_e32 v2, v7
	s_or_b64 s[4:5], vcc, s[4:5]
	v_mov_b32_e32 v3, v8
	s_andn2_b64 exec, exec, s[4:5]
	s_cbranch_execnz .LBB6_1160
.LBB6_1161:
	s_or_b64 exec, exec, s[20:21]
	v_readfirstlane_b32 s4, v32
	v_mov_b32_e32 v5, 0
	v_mov_b32_e32 v6, 0
	v_cmp_eq_u32_e64 s[4:5], s4, v32
	s_and_saveexec_b64 s[18:19], s[4:5]
	s_cbranch_execz .LBB6_1167
; %bb.1162:
	v_mov_b32_e32 v0, 0
	global_load_dwordx2 v[3:4], v0, s[6:7] offset:24 glc
	s_waitcnt vmcnt(0)
	buffer_wbinvl1_vol
	global_load_dwordx2 v[1:2], v0, s[6:7] offset:40
	global_load_dwordx2 v[5:6], v0, s[6:7]
	s_waitcnt vmcnt(1)
	v_and_b32_e32 v1, v1, v3
	v_and_b32_e32 v2, v2, v4
	v_mul_lo_u32 v2, v2, 24
	v_mul_hi_u32 v7, v1, 24
	v_mul_lo_u32 v1, v1, 24
	v_add_u32_e32 v2, v7, v2
	s_waitcnt vmcnt(0)
	v_add_co_u32_e32 v1, vcc, v5, v1
	v_addc_co_u32_e32 v2, vcc, v6, v2, vcc
	global_load_dwordx2 v[1:2], v[1:2], off glc
	s_waitcnt vmcnt(0)
	global_atomic_cmpswap_x2 v[5:6], v0, v[1:4], s[6:7] offset:24 glc
	s_waitcnt vmcnt(0)
	buffer_wbinvl1_vol
	v_cmp_ne_u64_e32 vcc, v[5:6], v[3:4]
	s_and_saveexec_b64 s[20:21], vcc
	s_cbranch_execz .LBB6_1166
; %bb.1163:
	s_mov_b64 s[22:23], 0
.LBB6_1164:                             ; =>This Inner Loop Header: Depth=1
	s_sleep 1
	global_load_dwordx2 v[1:2], v0, s[6:7] offset:40
	global_load_dwordx2 v[7:8], v0, s[6:7]
	v_mov_b32_e32 v3, v5
	v_mov_b32_e32 v4, v6
	s_waitcnt vmcnt(1)
	v_and_b32_e32 v1, v1, v3
	s_waitcnt vmcnt(0)
	v_mad_u64_u32 v[5:6], s[24:25], v1, 24, v[7:8]
	v_and_b32_e32 v2, v2, v4
	v_mov_b32_e32 v1, v6
	v_mad_u64_u32 v[1:2], s[24:25], v2, 24, v[1:2]
	v_mov_b32_e32 v6, v1
	global_load_dwordx2 v[1:2], v[5:6], off glc
	s_waitcnt vmcnt(0)
	global_atomic_cmpswap_x2 v[5:6], v0, v[1:4], s[6:7] offset:24 glc
	s_waitcnt vmcnt(0)
	buffer_wbinvl1_vol
	v_cmp_eq_u64_e32 vcc, v[5:6], v[3:4]
	s_or_b64 s[22:23], vcc, s[22:23]
	s_andn2_b64 exec, exec, s[22:23]
	s_cbranch_execnz .LBB6_1164
; %bb.1165:
	s_or_b64 exec, exec, s[22:23]
.LBB6_1166:
	s_or_b64 exec, exec, s[20:21]
.LBB6_1167:
	s_or_b64 exec, exec, s[18:19]
	v_mov_b32_e32 v4, 0
	global_load_dwordx2 v[7:8], v4, s[6:7] offset:40
	global_load_dwordx4 v[0:3], v4, s[6:7]
	v_readfirstlane_b32 s18, v5
	v_readfirstlane_b32 s19, v6
	s_mov_b64 s[20:21], exec
	s_waitcnt vmcnt(1)
	v_readfirstlane_b32 s22, v7
	v_readfirstlane_b32 s23, v8
	s_and_b64 s[22:23], s[18:19], s[22:23]
	s_mul_i32 s15, s23, 24
	s_mul_hi_u32 s24, s22, 24
	s_mul_i32 s25, s22, 24
	s_add_i32 s15, s24, s15
	v_mov_b32_e32 v5, s15
	s_waitcnt vmcnt(0)
	v_add_co_u32_e32 v7, vcc, s25, v0
	v_addc_co_u32_e32 v8, vcc, v1, v5, vcc
	s_and_saveexec_b64 s[24:25], s[4:5]
	s_cbranch_execz .LBB6_1169
; %bb.1168:
	v_mov_b32_e32 v9, s20
	v_mov_b32_e32 v10, s21
	v_mov_b32_e32 v11, 2
	v_mov_b32_e32 v12, 1
	global_store_dwordx4 v[7:8], v[9:12], off offset:8
.LBB6_1169:
	s_or_b64 exec, exec, s[24:25]
	s_lshl_b64 s[20:21], s[22:23], 12
	v_mov_b32_e32 v5, s21
	v_add_co_u32_e32 v2, vcc, s20, v2
	v_addc_co_u32_e32 v11, vcc, v3, v5, vcc
	s_mov_b32 s20, 0
	v_mov_b32_e32 v3, 33
	v_mov_b32_e32 v5, v4
	;; [unrolled: 1-line block ×3, first 2 shown]
	v_readfirstlane_b32 s24, v2
	v_readfirstlane_b32 s25, v11
	v_add_co_u32_e32 v9, vcc, v2, v31
	s_mov_b32 s21, s20
	s_mov_b32 s22, s20
	;; [unrolled: 1-line block ×3, first 2 shown]
	s_nop 0
	global_store_dwordx4 v31, v[3:6], s[24:25]
	v_mov_b32_e32 v2, s20
	v_addc_co_u32_e32 v10, vcc, 0, v11, vcc
	v_mov_b32_e32 v3, s21
	v_mov_b32_e32 v4, s22
	;; [unrolled: 1-line block ×3, first 2 shown]
	global_store_dwordx4 v31, v[2:5], s[24:25] offset:16
	global_store_dwordx4 v31, v[2:5], s[24:25] offset:32
	;; [unrolled: 1-line block ×3, first 2 shown]
	s_and_saveexec_b64 s[20:21], s[4:5]
	s_cbranch_execz .LBB6_1177
; %bb.1170:
	v_mov_b32_e32 v6, 0
	global_load_dwordx2 v[13:14], v6, s[6:7] offset:32 glc
	global_load_dwordx2 v[2:3], v6, s[6:7] offset:40
	v_mov_b32_e32 v11, s18
	v_mov_b32_e32 v12, s19
	s_waitcnt vmcnt(0)
	v_readfirstlane_b32 s22, v2
	v_readfirstlane_b32 s23, v3
	s_and_b64 s[22:23], s[22:23], s[18:19]
	s_mul_i32 s15, s23, 24
	s_mul_hi_u32 s23, s22, 24
	s_mul_i32 s22, s22, 24
	s_add_i32 s15, s23, s15
	v_mov_b32_e32 v2, s15
	v_add_co_u32_e32 v4, vcc, s22, v0
	v_addc_co_u32_e32 v5, vcc, v1, v2, vcc
	global_store_dwordx2 v[4:5], v[13:14], off
	s_waitcnt vmcnt(0)
	global_atomic_cmpswap_x2 v[2:3], v6, v[11:14], s[6:7] offset:32 glc
	s_waitcnt vmcnt(0)
	v_cmp_ne_u64_e32 vcc, v[2:3], v[13:14]
	s_and_saveexec_b64 s[22:23], vcc
	s_cbranch_execz .LBB6_1173
; %bb.1171:
	s_mov_b64 s[24:25], 0
.LBB6_1172:                             ; =>This Inner Loop Header: Depth=1
	s_sleep 1
	global_store_dwordx2 v[4:5], v[2:3], off
	v_mov_b32_e32 v0, s18
	v_mov_b32_e32 v1, s19
	s_waitcnt vmcnt(0)
	global_atomic_cmpswap_x2 v[0:1], v6, v[0:3], s[6:7] offset:32 glc
	s_waitcnt vmcnt(0)
	v_cmp_eq_u64_e32 vcc, v[0:1], v[2:3]
	v_mov_b32_e32 v3, v1
	s_or_b64 s[24:25], vcc, s[24:25]
	v_mov_b32_e32 v2, v0
	s_andn2_b64 exec, exec, s[24:25]
	s_cbranch_execnz .LBB6_1172
.LBB6_1173:
	s_or_b64 exec, exec, s[22:23]
	v_mov_b32_e32 v3, 0
	global_load_dwordx2 v[0:1], v3, s[6:7] offset:16
	s_mov_b64 s[22:23], exec
	v_mbcnt_lo_u32_b32 v2, s22, 0
	v_mbcnt_hi_u32_b32 v2, s23, v2
	v_cmp_eq_u32_e32 vcc, 0, v2
	s_and_saveexec_b64 s[24:25], vcc
	s_cbranch_execz .LBB6_1175
; %bb.1174:
	s_bcnt1_i32_b64 s15, s[22:23]
	v_mov_b32_e32 v2, s15
	s_waitcnt vmcnt(0)
	global_atomic_add_x2 v[0:1], v[2:3], off offset:8
.LBB6_1175:
	s_or_b64 exec, exec, s[24:25]
	s_waitcnt vmcnt(0)
	global_load_dwordx2 v[2:3], v[0:1], off offset:16
	s_waitcnt vmcnt(0)
	v_cmp_eq_u64_e32 vcc, 0, v[2:3]
	s_cbranch_vccnz .LBB6_1177
; %bb.1176:
	global_load_dword v0, v[0:1], off offset:24
	v_mov_b32_e32 v1, 0
	s_waitcnt vmcnt(0)
	global_store_dwordx2 v[2:3], v[0:1], off
	v_and_b32_e32 v0, 0xffffff, v0
	v_readfirstlane_b32 m0, v0
	s_sendmsg sendmsg(MSG_INTERRUPT)
.LBB6_1177:
	s_or_b64 exec, exec, s[20:21]
	s_branch .LBB6_1181
.LBB6_1178:                             ;   in Loop: Header=BB6_1181 Depth=1
	s_or_b64 exec, exec, s[20:21]
	v_readfirstlane_b32 s15, v0
	s_cmp_eq_u32 s15, 0
	s_cbranch_scc1 .LBB6_1180
; %bb.1179:                             ;   in Loop: Header=BB6_1181 Depth=1
	s_sleep 1
	s_cbranch_execnz .LBB6_1181
	s_branch .LBB6_1183
.LBB6_1180:
	s_branch .LBB6_1183
.LBB6_1181:                             ; =>This Inner Loop Header: Depth=1
	v_mov_b32_e32 v0, 1
	s_and_saveexec_b64 s[20:21], s[4:5]
	s_cbranch_execz .LBB6_1178
; %bb.1182:                             ;   in Loop: Header=BB6_1181 Depth=1
	global_load_dword v0, v[7:8], off offset:20 glc
	s_waitcnt vmcnt(0)
	buffer_wbinvl1_vol
	v_and_b32_e32 v0, 1, v0
	s_branch .LBB6_1178
.LBB6_1183:
	global_load_dwordx2 v[0:1], v[9:10], off
	s_and_saveexec_b64 s[20:21], s[4:5]
	s_cbranch_execz .LBB6_1186
; %bb.1184:
	v_mov_b32_e32 v8, 0
	global_load_dwordx2 v[4:5], v8, s[6:7] offset:40
	global_load_dwordx2 v[9:10], v8, s[6:7] offset:24 glc
	global_load_dwordx2 v[6:7], v8, s[6:7]
	v_mov_b32_e32 v3, s19
	s_mov_b64 s[4:5], 0
	s_waitcnt vmcnt(2)
	v_add_co_u32_e32 v11, vcc, 1, v4
	v_addc_co_u32_e32 v12, vcc, 0, v5, vcc
	v_add_co_u32_e32 v2, vcc, s18, v11
	v_addc_co_u32_e32 v3, vcc, v12, v3, vcc
	v_cmp_eq_u64_e32 vcc, 0, v[2:3]
	v_cndmask_b32_e32 v3, v3, v12, vcc
	v_cndmask_b32_e32 v2, v2, v11, vcc
	v_and_b32_e32 v5, v3, v5
	v_and_b32_e32 v4, v2, v4
	v_mul_lo_u32 v5, v5, 24
	v_mul_hi_u32 v11, v4, 24
	v_mul_lo_u32 v12, v4, 24
	s_waitcnt vmcnt(1)
	v_mov_b32_e32 v4, v9
	v_add_u32_e32 v5, v11, v5
	s_waitcnt vmcnt(0)
	v_add_co_u32_e32 v6, vcc, v6, v12
	v_addc_co_u32_e32 v7, vcc, v7, v5, vcc
	global_store_dwordx2 v[6:7], v[9:10], off
	v_mov_b32_e32 v5, v10
	s_waitcnt vmcnt(0)
	global_atomic_cmpswap_x2 v[4:5], v8, v[2:5], s[6:7] offset:24 glc
	s_waitcnt vmcnt(0)
	v_cmp_ne_u64_e32 vcc, v[4:5], v[9:10]
	s_and_b64 exec, exec, vcc
	s_cbranch_execz .LBB6_1186
.LBB6_1185:                             ; =>This Inner Loop Header: Depth=1
	s_sleep 1
	global_store_dwordx2 v[6:7], v[4:5], off
	s_waitcnt vmcnt(0)
	global_atomic_cmpswap_x2 v[9:10], v8, v[2:5], s[6:7] offset:24 glc
	s_waitcnt vmcnt(0)
	v_cmp_eq_u64_e32 vcc, v[9:10], v[4:5]
	v_mov_b32_e32 v4, v9
	s_or_b64 s[4:5], vcc, s[4:5]
	v_mov_b32_e32 v5, v10
	s_andn2_b64 exec, exec, s[4:5]
	s_cbranch_execnz .LBB6_1185
.LBB6_1186:
	s_or_b64 exec, exec, s[20:21]
	s_and_b64 vcc, exec, s[16:17]
	s_cbranch_vccz .LBB6_1271
; %bb.1187:
	s_waitcnt vmcnt(0)
	v_and_b32_e32 v33, 2, v0
	v_mov_b32_e32 v28, 0
	v_and_b32_e32 v2, -3, v0
	v_mov_b32_e32 v3, v1
	s_mov_b64 s[18:19], 3
	v_mov_b32_e32 v6, 2
	v_mov_b32_e32 v7, 1
	s_getpc_b64 s[16:17]
	s_add_u32 s16, s16, .str.6@rel32@lo+4
	s_addc_u32 s17, s17, .str.6@rel32@hi+12
	s_branch .LBB6_1189
.LBB6_1188:                             ;   in Loop: Header=BB6_1189 Depth=1
	s_or_b64 exec, exec, s[24:25]
	s_sub_u32 s18, s18, s20
	s_subb_u32 s19, s19, s21
	s_add_u32 s16, s16, s20
	s_addc_u32 s17, s17, s21
	s_cmp_lg_u64 s[18:19], 0
	s_cbranch_scc0 .LBB6_1270
.LBB6_1189:                             ; =>This Loop Header: Depth=1
                                        ;     Child Loop BB6_1192 Depth 2
                                        ;     Child Loop BB6_1199 Depth 2
	;; [unrolled: 1-line block ×11, first 2 shown]
	v_cmp_lt_u64_e64 s[4:5], s[18:19], 56
	v_cmp_gt_u64_e64 s[22:23], s[18:19], 7
	s_and_b64 s[4:5], s[4:5], exec
	s_cselect_b32 s21, s19, 0
	s_cselect_b32 s20, s18, 56
	s_and_b64 vcc, exec, s[22:23]
	s_cbranch_vccnz .LBB6_1194
; %bb.1190:                             ;   in Loop: Header=BB6_1189 Depth=1
	v_mov_b32_e32 v10, 0
	s_cmp_eq_u64 s[18:19], 0
	v_mov_b32_e32 v11, 0
	s_mov_b64 s[4:5], 0
	s_cbranch_scc1 .LBB6_1193
; %bb.1191:                             ;   in Loop: Header=BB6_1189 Depth=1
	v_mov_b32_e32 v10, 0
	s_lshl_b64 s[22:23], s[20:21], 3
	s_mov_b64 s[24:25], 0
	v_mov_b32_e32 v11, 0
	s_mov_b64 s[26:27], s[16:17]
.LBB6_1192:                             ;   Parent Loop BB6_1189 Depth=1
                                        ; =>  This Inner Loop Header: Depth=2
	global_load_ubyte v4, v28, s[26:27]
	s_waitcnt vmcnt(0)
	v_and_b32_e32 v27, 0xffff, v4
	v_lshlrev_b64 v[4:5], s24, v[27:28]
	s_add_u32 s24, s24, 8
	s_addc_u32 s25, s25, 0
	s_add_u32 s26, s26, 1
	s_addc_u32 s27, s27, 0
	v_or_b32_e32 v10, v4, v10
	s_cmp_lg_u32 s22, s24
	v_or_b32_e32 v11, v5, v11
	s_cbranch_scc1 .LBB6_1192
.LBB6_1193:                             ;   in Loop: Header=BB6_1189 Depth=1
	s_mov_b32 s15, 0
	s_andn2_b64 vcc, exec, s[4:5]
	s_mov_b64 s[4:5], s[16:17]
	s_cbranch_vccz .LBB6_1195
	s_branch .LBB6_1196
.LBB6_1194:                             ;   in Loop: Header=BB6_1189 Depth=1
                                        ; implicit-def: $vgpr10_vgpr11
                                        ; implicit-def: $sgpr15
	s_mov_b64 s[4:5], s[16:17]
.LBB6_1195:                             ;   in Loop: Header=BB6_1189 Depth=1
	global_load_dwordx2 v[10:11], v28, s[16:17]
	s_add_i32 s15, s20, -8
	s_add_u32 s4, s16, 8
	s_addc_u32 s5, s17, 0
.LBB6_1196:                             ;   in Loop: Header=BB6_1189 Depth=1
	s_cmp_gt_u32 s15, 7
	s_cbranch_scc1 .LBB6_1200
; %bb.1197:                             ;   in Loop: Header=BB6_1189 Depth=1
	s_cmp_eq_u32 s15, 0
	s_cbranch_scc1 .LBB6_1201
; %bb.1198:                             ;   in Loop: Header=BB6_1189 Depth=1
	v_mov_b32_e32 v12, 0
	s_mov_b64 s[22:23], 0
	v_mov_b32_e32 v13, 0
	s_mov_b64 s[24:25], 0
.LBB6_1199:                             ;   Parent Loop BB6_1189 Depth=1
                                        ; =>  This Inner Loop Header: Depth=2
	s_add_u32 s26, s4, s24
	s_addc_u32 s27, s5, s25
	global_load_ubyte v4, v28, s[26:27]
	s_add_u32 s24, s24, 1
	s_addc_u32 s25, s25, 0
	s_waitcnt vmcnt(0)
	v_and_b32_e32 v27, 0xffff, v4
	v_lshlrev_b64 v[4:5], s22, v[27:28]
	s_add_u32 s22, s22, 8
	s_addc_u32 s23, s23, 0
	v_or_b32_e32 v12, v4, v12
	s_cmp_lg_u32 s15, s24
	v_or_b32_e32 v13, v5, v13
	s_cbranch_scc1 .LBB6_1199
	s_branch .LBB6_1202
.LBB6_1200:                             ;   in Loop: Header=BB6_1189 Depth=1
                                        ; implicit-def: $vgpr12_vgpr13
                                        ; implicit-def: $sgpr26
	s_branch .LBB6_1203
.LBB6_1201:                             ;   in Loop: Header=BB6_1189 Depth=1
	v_mov_b32_e32 v12, 0
	v_mov_b32_e32 v13, 0
.LBB6_1202:                             ;   in Loop: Header=BB6_1189 Depth=1
	s_mov_b32 s26, 0
	s_cbranch_execnz .LBB6_1204
.LBB6_1203:                             ;   in Loop: Header=BB6_1189 Depth=1
	global_load_dwordx2 v[12:13], v28, s[4:5]
	s_add_i32 s26, s15, -8
	s_add_u32 s4, s4, 8
	s_addc_u32 s5, s5, 0
.LBB6_1204:                             ;   in Loop: Header=BB6_1189 Depth=1
	s_cmp_gt_u32 s26, 7
	s_cbranch_scc1 .LBB6_1208
; %bb.1205:                             ;   in Loop: Header=BB6_1189 Depth=1
	s_cmp_eq_u32 s26, 0
	s_cbranch_scc1 .LBB6_1209
; %bb.1206:                             ;   in Loop: Header=BB6_1189 Depth=1
	v_mov_b32_e32 v14, 0
	s_mov_b64 s[22:23], 0
	v_mov_b32_e32 v15, 0
	s_mov_b64 s[24:25], 0
.LBB6_1207:                             ;   Parent Loop BB6_1189 Depth=1
                                        ; =>  This Inner Loop Header: Depth=2
	s_add_u32 s28, s4, s24
	s_addc_u32 s29, s5, s25
	global_load_ubyte v4, v28, s[28:29]
	s_add_u32 s24, s24, 1
	s_addc_u32 s25, s25, 0
	s_waitcnt vmcnt(0)
	v_and_b32_e32 v27, 0xffff, v4
	v_lshlrev_b64 v[4:5], s22, v[27:28]
	s_add_u32 s22, s22, 8
	s_addc_u32 s23, s23, 0
	v_or_b32_e32 v14, v4, v14
	s_cmp_lg_u32 s26, s24
	v_or_b32_e32 v15, v5, v15
	s_cbranch_scc1 .LBB6_1207
	s_branch .LBB6_1210
.LBB6_1208:                             ;   in Loop: Header=BB6_1189 Depth=1
                                        ; implicit-def: $sgpr15
	s_branch .LBB6_1211
.LBB6_1209:                             ;   in Loop: Header=BB6_1189 Depth=1
	v_mov_b32_e32 v14, 0
	v_mov_b32_e32 v15, 0
.LBB6_1210:                             ;   in Loop: Header=BB6_1189 Depth=1
	s_mov_b32 s15, 0
	s_cbranch_execnz .LBB6_1212
.LBB6_1211:                             ;   in Loop: Header=BB6_1189 Depth=1
	global_load_dwordx2 v[14:15], v28, s[4:5]
	s_add_i32 s15, s26, -8
	s_add_u32 s4, s4, 8
	s_addc_u32 s5, s5, 0
.LBB6_1212:                             ;   in Loop: Header=BB6_1189 Depth=1
	s_cmp_gt_u32 s15, 7
	s_cbranch_scc1 .LBB6_1216
; %bb.1213:                             ;   in Loop: Header=BB6_1189 Depth=1
	s_cmp_eq_u32 s15, 0
	s_cbranch_scc1 .LBB6_1217
; %bb.1214:                             ;   in Loop: Header=BB6_1189 Depth=1
	v_mov_b32_e32 v16, 0
	s_mov_b64 s[22:23], 0
	v_mov_b32_e32 v17, 0
	s_mov_b64 s[24:25], 0
.LBB6_1215:                             ;   Parent Loop BB6_1189 Depth=1
                                        ; =>  This Inner Loop Header: Depth=2
	s_add_u32 s26, s4, s24
	s_addc_u32 s27, s5, s25
	global_load_ubyte v4, v28, s[26:27]
	s_add_u32 s24, s24, 1
	s_addc_u32 s25, s25, 0
	s_waitcnt vmcnt(0)
	v_and_b32_e32 v27, 0xffff, v4
	v_lshlrev_b64 v[4:5], s22, v[27:28]
	s_add_u32 s22, s22, 8
	s_addc_u32 s23, s23, 0
	v_or_b32_e32 v16, v4, v16
	s_cmp_lg_u32 s15, s24
	v_or_b32_e32 v17, v5, v17
	s_cbranch_scc1 .LBB6_1215
	s_branch .LBB6_1218
.LBB6_1216:                             ;   in Loop: Header=BB6_1189 Depth=1
                                        ; implicit-def: $vgpr16_vgpr17
                                        ; implicit-def: $sgpr26
	s_branch .LBB6_1219
.LBB6_1217:                             ;   in Loop: Header=BB6_1189 Depth=1
	v_mov_b32_e32 v16, 0
	v_mov_b32_e32 v17, 0
.LBB6_1218:                             ;   in Loop: Header=BB6_1189 Depth=1
	s_mov_b32 s26, 0
	s_cbranch_execnz .LBB6_1220
.LBB6_1219:                             ;   in Loop: Header=BB6_1189 Depth=1
	global_load_dwordx2 v[16:17], v28, s[4:5]
	s_add_i32 s26, s15, -8
	s_add_u32 s4, s4, 8
	s_addc_u32 s5, s5, 0
.LBB6_1220:                             ;   in Loop: Header=BB6_1189 Depth=1
	s_cmp_gt_u32 s26, 7
	s_cbranch_scc1 .LBB6_1224
; %bb.1221:                             ;   in Loop: Header=BB6_1189 Depth=1
	s_cmp_eq_u32 s26, 0
	s_cbranch_scc1 .LBB6_1225
; %bb.1222:                             ;   in Loop: Header=BB6_1189 Depth=1
	v_mov_b32_e32 v18, 0
	s_mov_b64 s[22:23], 0
	v_mov_b32_e32 v19, 0
	s_mov_b64 s[24:25], 0
.LBB6_1223:                             ;   Parent Loop BB6_1189 Depth=1
                                        ; =>  This Inner Loop Header: Depth=2
	s_add_u32 s28, s4, s24
	s_addc_u32 s29, s5, s25
	global_load_ubyte v4, v28, s[28:29]
	s_add_u32 s24, s24, 1
	s_addc_u32 s25, s25, 0
	s_waitcnt vmcnt(0)
	v_and_b32_e32 v27, 0xffff, v4
	v_lshlrev_b64 v[4:5], s22, v[27:28]
	s_add_u32 s22, s22, 8
	s_addc_u32 s23, s23, 0
	v_or_b32_e32 v18, v4, v18
	s_cmp_lg_u32 s26, s24
	v_or_b32_e32 v19, v5, v19
	s_cbranch_scc1 .LBB6_1223
	s_branch .LBB6_1226
.LBB6_1224:                             ;   in Loop: Header=BB6_1189 Depth=1
                                        ; implicit-def: $sgpr15
	s_branch .LBB6_1227
.LBB6_1225:                             ;   in Loop: Header=BB6_1189 Depth=1
	v_mov_b32_e32 v18, 0
	v_mov_b32_e32 v19, 0
.LBB6_1226:                             ;   in Loop: Header=BB6_1189 Depth=1
	s_mov_b32 s15, 0
	s_cbranch_execnz .LBB6_1228
.LBB6_1227:                             ;   in Loop: Header=BB6_1189 Depth=1
	global_load_dwordx2 v[18:19], v28, s[4:5]
	s_add_i32 s15, s26, -8
	s_add_u32 s4, s4, 8
	s_addc_u32 s5, s5, 0
.LBB6_1228:                             ;   in Loop: Header=BB6_1189 Depth=1
	s_cmp_gt_u32 s15, 7
	s_cbranch_scc1 .LBB6_1232
; %bb.1229:                             ;   in Loop: Header=BB6_1189 Depth=1
	s_cmp_eq_u32 s15, 0
	s_cbranch_scc1 .LBB6_1233
; %bb.1230:                             ;   in Loop: Header=BB6_1189 Depth=1
	v_mov_b32_e32 v20, 0
	s_mov_b64 s[22:23], 0
	v_mov_b32_e32 v21, 0
	s_mov_b64 s[24:25], 0
.LBB6_1231:                             ;   Parent Loop BB6_1189 Depth=1
                                        ; =>  This Inner Loop Header: Depth=2
	s_add_u32 s26, s4, s24
	s_addc_u32 s27, s5, s25
	global_load_ubyte v4, v28, s[26:27]
	s_add_u32 s24, s24, 1
	s_addc_u32 s25, s25, 0
	s_waitcnt vmcnt(0)
	v_and_b32_e32 v27, 0xffff, v4
	v_lshlrev_b64 v[4:5], s22, v[27:28]
	s_add_u32 s22, s22, 8
	s_addc_u32 s23, s23, 0
	v_or_b32_e32 v20, v4, v20
	s_cmp_lg_u32 s15, s24
	v_or_b32_e32 v21, v5, v21
	s_cbranch_scc1 .LBB6_1231
	s_branch .LBB6_1234
.LBB6_1232:                             ;   in Loop: Header=BB6_1189 Depth=1
                                        ; implicit-def: $vgpr20_vgpr21
                                        ; implicit-def: $sgpr26
	s_branch .LBB6_1235
.LBB6_1233:                             ;   in Loop: Header=BB6_1189 Depth=1
	v_mov_b32_e32 v20, 0
	v_mov_b32_e32 v21, 0
.LBB6_1234:                             ;   in Loop: Header=BB6_1189 Depth=1
	s_mov_b32 s26, 0
	s_cbranch_execnz .LBB6_1236
.LBB6_1235:                             ;   in Loop: Header=BB6_1189 Depth=1
	global_load_dwordx2 v[20:21], v28, s[4:5]
	s_add_i32 s26, s15, -8
	s_add_u32 s4, s4, 8
	s_addc_u32 s5, s5, 0
.LBB6_1236:                             ;   in Loop: Header=BB6_1189 Depth=1
	s_cmp_gt_u32 s26, 7
	s_cbranch_scc1 .LBB6_1240
; %bb.1237:                             ;   in Loop: Header=BB6_1189 Depth=1
	s_cmp_eq_u32 s26, 0
	s_cbranch_scc1 .LBB6_1241
; %bb.1238:                             ;   in Loop: Header=BB6_1189 Depth=1
	v_mov_b32_e32 v22, 0
	s_mov_b64 s[22:23], 0
	v_mov_b32_e32 v23, 0
	s_mov_b64 s[24:25], s[4:5]
.LBB6_1239:                             ;   Parent Loop BB6_1189 Depth=1
                                        ; =>  This Inner Loop Header: Depth=2
	global_load_ubyte v4, v28, s[24:25]
	s_add_i32 s26, s26, -1
	s_waitcnt vmcnt(0)
	v_and_b32_e32 v27, 0xffff, v4
	v_lshlrev_b64 v[4:5], s22, v[27:28]
	s_add_u32 s22, s22, 8
	s_addc_u32 s23, s23, 0
	s_add_u32 s24, s24, 1
	s_addc_u32 s25, s25, 0
	v_or_b32_e32 v22, v4, v22
	s_cmp_lg_u32 s26, 0
	v_or_b32_e32 v23, v5, v23
	s_cbranch_scc1 .LBB6_1239
	s_branch .LBB6_1242
.LBB6_1240:                             ;   in Loop: Header=BB6_1189 Depth=1
	s_branch .LBB6_1243
.LBB6_1241:                             ;   in Loop: Header=BB6_1189 Depth=1
	v_mov_b32_e32 v22, 0
	v_mov_b32_e32 v23, 0
.LBB6_1242:                             ;   in Loop: Header=BB6_1189 Depth=1
	s_cbranch_execnz .LBB6_1244
.LBB6_1243:                             ;   in Loop: Header=BB6_1189 Depth=1
	global_load_dwordx2 v[22:23], v28, s[4:5]
.LBB6_1244:                             ;   in Loop: Header=BB6_1189 Depth=1
	v_readfirstlane_b32 s4, v32
	s_waitcnt vmcnt(0)
	v_mov_b32_e32 v4, 0
	v_mov_b32_e32 v5, 0
	v_cmp_eq_u32_e64 s[4:5], s4, v32
	s_and_saveexec_b64 s[22:23], s[4:5]
	s_cbranch_execz .LBB6_1250
; %bb.1245:                             ;   in Loop: Header=BB6_1189 Depth=1
	global_load_dwordx2 v[26:27], v28, s[6:7] offset:24 glc
	s_waitcnt vmcnt(0)
	buffer_wbinvl1_vol
	global_load_dwordx2 v[4:5], v28, s[6:7] offset:40
	global_load_dwordx2 v[8:9], v28, s[6:7]
	s_waitcnt vmcnt(1)
	v_and_b32_e32 v4, v4, v26
	v_and_b32_e32 v5, v5, v27
	v_mul_lo_u32 v5, v5, 24
	v_mul_hi_u32 v24, v4, 24
	v_mul_lo_u32 v4, v4, 24
	v_add_u32_e32 v5, v24, v5
	s_waitcnt vmcnt(0)
	v_add_co_u32_e32 v4, vcc, v8, v4
	v_addc_co_u32_e32 v5, vcc, v9, v5, vcc
	global_load_dwordx2 v[24:25], v[4:5], off glc
	s_waitcnt vmcnt(0)
	global_atomic_cmpswap_x2 v[4:5], v28, v[24:27], s[6:7] offset:24 glc
	s_waitcnt vmcnt(0)
	buffer_wbinvl1_vol
	v_cmp_ne_u64_e32 vcc, v[4:5], v[26:27]
	s_and_saveexec_b64 s[24:25], vcc
	s_cbranch_execz .LBB6_1249
; %bb.1246:                             ;   in Loop: Header=BB6_1189 Depth=1
	s_mov_b64 s[26:27], 0
.LBB6_1247:                             ;   Parent Loop BB6_1189 Depth=1
                                        ; =>  This Inner Loop Header: Depth=2
	s_sleep 1
	global_load_dwordx2 v[8:9], v28, s[6:7] offset:40
	global_load_dwordx2 v[24:25], v28, s[6:7]
	v_mov_b32_e32 v27, v5
	v_mov_b32_e32 v26, v4
	s_waitcnt vmcnt(1)
	v_and_b32_e32 v4, v8, v26
	s_waitcnt vmcnt(0)
	v_mad_u64_u32 v[4:5], s[28:29], v4, 24, v[24:25]
	v_and_b32_e32 v8, v9, v27
	v_mad_u64_u32 v[8:9], s[28:29], v8, 24, v[5:6]
	v_mov_b32_e32 v5, v8
	global_load_dwordx2 v[24:25], v[4:5], off glc
	s_waitcnt vmcnt(0)
	global_atomic_cmpswap_x2 v[4:5], v28, v[24:27], s[6:7] offset:24 glc
	s_waitcnt vmcnt(0)
	buffer_wbinvl1_vol
	v_cmp_eq_u64_e32 vcc, v[4:5], v[26:27]
	s_or_b64 s[26:27], vcc, s[26:27]
	s_andn2_b64 exec, exec, s[26:27]
	s_cbranch_execnz .LBB6_1247
; %bb.1248:                             ;   in Loop: Header=BB6_1189 Depth=1
	s_or_b64 exec, exec, s[26:27]
.LBB6_1249:                             ;   in Loop: Header=BB6_1189 Depth=1
	s_or_b64 exec, exec, s[24:25]
.LBB6_1250:                             ;   in Loop: Header=BB6_1189 Depth=1
	s_or_b64 exec, exec, s[22:23]
	global_load_dwordx2 v[8:9], v28, s[6:7] offset:40
	global_load_dwordx4 v[24:27], v28, s[6:7]
	v_readfirstlane_b32 s22, v4
	v_readfirstlane_b32 s23, v5
	s_mov_b64 s[24:25], exec
	s_waitcnt vmcnt(1)
	v_readfirstlane_b32 s26, v8
	v_readfirstlane_b32 s27, v9
	s_and_b64 s[26:27], s[22:23], s[26:27]
	s_mul_i32 s15, s27, 24
	s_mul_hi_u32 s28, s26, 24
	s_mul_i32 s29, s26, 24
	s_add_i32 s15, s28, s15
	v_mov_b32_e32 v4, s15
	s_waitcnt vmcnt(0)
	v_add_co_u32_e32 v29, vcc, s29, v24
	v_addc_co_u32_e32 v30, vcc, v25, v4, vcc
	s_and_saveexec_b64 s[28:29], s[4:5]
	s_cbranch_execz .LBB6_1252
; %bb.1251:                             ;   in Loop: Header=BB6_1189 Depth=1
	v_mov_b32_e32 v4, s24
	v_mov_b32_e32 v5, s25
	global_store_dwordx4 v[29:30], v[4:7], off offset:8
.LBB6_1252:                             ;   in Loop: Header=BB6_1189 Depth=1
	s_or_b64 exec, exec, s[28:29]
	s_lshl_b64 s[24:25], s[26:27], 12
	v_mov_b32_e32 v4, s25
	v_add_co_u32_e32 v26, vcc, s24, v26
	v_addc_co_u32_e32 v34, vcc, v27, v4, vcc
	v_cmp_gt_u64_e64 vcc, s[18:19], 56
	v_or_b32_e32 v5, v2, v33
	s_lshl_b32 s15, s20, 2
	v_cndmask_b32_e32 v2, v5, v2, vcc
	s_add_i32 s15, s15, 28
	v_or_b32_e32 v4, 0, v3
	s_and_b32 s15, s15, 0x1e0
	v_and_b32_e32 v2, 0xffffff1f, v2
	v_cndmask_b32_e32 v9, v4, v3, vcc
	v_or_b32_e32 v8, s15, v2
	v_readfirstlane_b32 s24, v26
	v_readfirstlane_b32 s25, v34
	s_nop 4
	global_store_dwordx4 v31, v[8:11], s[24:25]
	global_store_dwordx4 v31, v[12:15], s[24:25] offset:16
	global_store_dwordx4 v31, v[16:19], s[24:25] offset:32
	;; [unrolled: 1-line block ×3, first 2 shown]
	s_and_saveexec_b64 s[24:25], s[4:5]
	s_cbranch_execz .LBB6_1260
; %bb.1253:                             ;   in Loop: Header=BB6_1189 Depth=1
	global_load_dwordx2 v[12:13], v28, s[6:7] offset:32 glc
	global_load_dwordx2 v[2:3], v28, s[6:7] offset:40
	v_mov_b32_e32 v10, s22
	v_mov_b32_e32 v11, s23
	s_waitcnt vmcnt(0)
	v_readfirstlane_b32 s26, v2
	v_readfirstlane_b32 s27, v3
	s_and_b64 s[26:27], s[26:27], s[22:23]
	s_mul_i32 s15, s27, 24
	s_mul_hi_u32 s27, s26, 24
	s_mul_i32 s26, s26, 24
	s_add_i32 s15, s27, s15
	v_mov_b32_e32 v2, s15
	v_add_co_u32_e32 v8, vcc, s26, v24
	v_addc_co_u32_e32 v9, vcc, v25, v2, vcc
	global_store_dwordx2 v[8:9], v[12:13], off
	s_waitcnt vmcnt(0)
	global_atomic_cmpswap_x2 v[4:5], v28, v[10:13], s[6:7] offset:32 glc
	s_waitcnt vmcnt(0)
	v_cmp_ne_u64_e32 vcc, v[4:5], v[12:13]
	s_and_saveexec_b64 s[26:27], vcc
	s_cbranch_execz .LBB6_1256
; %bb.1254:                             ;   in Loop: Header=BB6_1189 Depth=1
	s_mov_b64 s[28:29], 0
.LBB6_1255:                             ;   Parent Loop BB6_1189 Depth=1
                                        ; =>  This Inner Loop Header: Depth=2
	s_sleep 1
	global_store_dwordx2 v[8:9], v[4:5], off
	v_mov_b32_e32 v2, s22
	v_mov_b32_e32 v3, s23
	s_waitcnt vmcnt(0)
	global_atomic_cmpswap_x2 v[2:3], v28, v[2:5], s[6:7] offset:32 glc
	s_waitcnt vmcnt(0)
	v_cmp_eq_u64_e32 vcc, v[2:3], v[4:5]
	v_mov_b32_e32 v5, v3
	s_or_b64 s[28:29], vcc, s[28:29]
	v_mov_b32_e32 v4, v2
	s_andn2_b64 exec, exec, s[28:29]
	s_cbranch_execnz .LBB6_1255
.LBB6_1256:                             ;   in Loop: Header=BB6_1189 Depth=1
	s_or_b64 exec, exec, s[26:27]
	global_load_dwordx2 v[2:3], v28, s[6:7] offset:16
	s_mov_b64 s[28:29], exec
	v_mbcnt_lo_u32_b32 v4, s28, 0
	v_mbcnt_hi_u32_b32 v4, s29, v4
	v_cmp_eq_u32_e32 vcc, 0, v4
	s_and_saveexec_b64 s[26:27], vcc
	s_cbranch_execz .LBB6_1258
; %bb.1257:                             ;   in Loop: Header=BB6_1189 Depth=1
	s_bcnt1_i32_b64 s15, s[28:29]
	v_mov_b32_e32 v27, s15
	s_waitcnt vmcnt(0)
	global_atomic_add_x2 v[2:3], v[27:28], off offset:8
.LBB6_1258:                             ;   in Loop: Header=BB6_1189 Depth=1
	s_or_b64 exec, exec, s[26:27]
	s_waitcnt vmcnt(0)
	global_load_dwordx2 v[4:5], v[2:3], off offset:16
	s_waitcnt vmcnt(0)
	v_cmp_eq_u64_e32 vcc, 0, v[4:5]
	s_cbranch_vccnz .LBB6_1260
; %bb.1259:                             ;   in Loop: Header=BB6_1189 Depth=1
	global_load_dword v27, v[2:3], off offset:24
	s_waitcnt vmcnt(0)
	v_and_b32_e32 v2, 0xffffff, v27
	v_readfirstlane_b32 m0, v2
	global_store_dwordx2 v[4:5], v[27:28], off
	s_sendmsg sendmsg(MSG_INTERRUPT)
.LBB6_1260:                             ;   in Loop: Header=BB6_1189 Depth=1
	s_or_b64 exec, exec, s[24:25]
	v_add_co_u32_e32 v2, vcc, v26, v31
	v_addc_co_u32_e32 v3, vcc, 0, v34, vcc
	s_branch .LBB6_1264
.LBB6_1261:                             ;   in Loop: Header=BB6_1264 Depth=2
	s_or_b64 exec, exec, s[24:25]
	v_readfirstlane_b32 s15, v4
	s_cmp_eq_u32 s15, 0
	s_cbranch_scc1 .LBB6_1263
; %bb.1262:                             ;   in Loop: Header=BB6_1264 Depth=2
	s_sleep 1
	s_cbranch_execnz .LBB6_1264
	s_branch .LBB6_1266
.LBB6_1263:                             ;   in Loop: Header=BB6_1189 Depth=1
	s_branch .LBB6_1266
.LBB6_1264:                             ;   Parent Loop BB6_1189 Depth=1
                                        ; =>  This Inner Loop Header: Depth=2
	v_mov_b32_e32 v4, 1
	s_and_saveexec_b64 s[24:25], s[4:5]
	s_cbranch_execz .LBB6_1261
; %bb.1265:                             ;   in Loop: Header=BB6_1264 Depth=2
	global_load_dword v4, v[29:30], off offset:20 glc
	s_waitcnt vmcnt(0)
	buffer_wbinvl1_vol
	v_and_b32_e32 v4, 1, v4
	s_branch .LBB6_1261
.LBB6_1266:                             ;   in Loop: Header=BB6_1189 Depth=1
	global_load_dwordx4 v[2:5], v[2:3], off
	s_and_saveexec_b64 s[24:25], s[4:5]
	s_cbranch_execz .LBB6_1188
; %bb.1267:                             ;   in Loop: Header=BB6_1189 Depth=1
	global_load_dwordx2 v[4:5], v28, s[6:7] offset:40
	global_load_dwordx2 v[12:13], v28, s[6:7] offset:24 glc
	global_load_dwordx2 v[14:15], v28, s[6:7]
	v_mov_b32_e32 v9, s23
	s_waitcnt vmcnt(2)
	v_add_co_u32_e32 v10, vcc, 1, v4
	v_addc_co_u32_e32 v11, vcc, 0, v5, vcc
	v_add_co_u32_e32 v8, vcc, s22, v10
	v_addc_co_u32_e32 v9, vcc, v11, v9, vcc
	v_cmp_eq_u64_e32 vcc, 0, v[8:9]
	v_cndmask_b32_e32 v9, v9, v11, vcc
	v_cndmask_b32_e32 v8, v8, v10, vcc
	v_and_b32_e32 v5, v9, v5
	v_and_b32_e32 v4, v8, v4
	v_mul_lo_u32 v5, v5, 24
	v_mul_hi_u32 v11, v4, 24
	v_mul_lo_u32 v4, v4, 24
	s_waitcnt vmcnt(1)
	v_mov_b32_e32 v10, v12
	v_add_u32_e32 v5, v11, v5
	s_waitcnt vmcnt(0)
	v_add_co_u32_e32 v4, vcc, v14, v4
	v_addc_co_u32_e32 v5, vcc, v15, v5, vcc
	global_store_dwordx2 v[4:5], v[12:13], off
	v_mov_b32_e32 v11, v13
	s_waitcnt vmcnt(0)
	global_atomic_cmpswap_x2 v[10:11], v28, v[8:11], s[6:7] offset:24 glc
	s_waitcnt vmcnt(0)
	v_cmp_ne_u64_e32 vcc, v[10:11], v[12:13]
	s_and_b64 exec, exec, vcc
	s_cbranch_execz .LBB6_1188
; %bb.1268:                             ;   in Loop: Header=BB6_1189 Depth=1
	s_mov_b64 s[4:5], 0
.LBB6_1269:                             ;   Parent Loop BB6_1189 Depth=1
                                        ; =>  This Inner Loop Header: Depth=2
	s_sleep 1
	global_store_dwordx2 v[4:5], v[10:11], off
	s_waitcnt vmcnt(0)
	global_atomic_cmpswap_x2 v[12:13], v28, v[8:11], s[6:7] offset:24 glc
	s_waitcnt vmcnt(0)
	v_cmp_eq_u64_e32 vcc, v[12:13], v[10:11]
	v_mov_b32_e32 v10, v12
	s_or_b64 s[4:5], vcc, s[4:5]
	v_mov_b32_e32 v11, v13
	s_andn2_b64 exec, exec, s[4:5]
	s_cbranch_execnz .LBB6_1269
	s_branch .LBB6_1188
.LBB6_1270:
	s_branch .LBB6_1298
.LBB6_1271:
                                        ; implicit-def: $vgpr2_vgpr3
	s_cbranch_execz .LBB6_1298
; %bb.1272:
	v_readfirstlane_b32 s4, v32
	v_mov_b32_e32 v8, 0
	v_mov_b32_e32 v9, 0
	v_cmp_eq_u32_e64 s[4:5], s4, v32
	s_and_saveexec_b64 s[16:17], s[4:5]
	s_cbranch_execz .LBB6_1278
; %bb.1273:
	s_waitcnt vmcnt(0)
	v_mov_b32_e32 v2, 0
	global_load_dwordx2 v[5:6], v2, s[6:7] offset:24 glc
	s_waitcnt vmcnt(0)
	buffer_wbinvl1_vol
	global_load_dwordx2 v[3:4], v2, s[6:7] offset:40
	global_load_dwordx2 v[7:8], v2, s[6:7]
	s_waitcnt vmcnt(1)
	v_and_b32_e32 v3, v3, v5
	v_and_b32_e32 v4, v4, v6
	v_mul_lo_u32 v4, v4, 24
	v_mul_hi_u32 v9, v3, 24
	v_mul_lo_u32 v3, v3, 24
	v_add_u32_e32 v4, v9, v4
	s_waitcnt vmcnt(0)
	v_add_co_u32_e32 v3, vcc, v7, v3
	v_addc_co_u32_e32 v4, vcc, v8, v4, vcc
	global_load_dwordx2 v[3:4], v[3:4], off glc
	s_waitcnt vmcnt(0)
	global_atomic_cmpswap_x2 v[8:9], v2, v[3:6], s[6:7] offset:24 glc
	s_waitcnt vmcnt(0)
	buffer_wbinvl1_vol
	v_cmp_ne_u64_e32 vcc, v[8:9], v[5:6]
	s_and_saveexec_b64 s[18:19], vcc
	s_cbranch_execz .LBB6_1277
; %bb.1274:
	s_mov_b64 s[20:21], 0
.LBB6_1275:                             ; =>This Inner Loop Header: Depth=1
	s_sleep 1
	global_load_dwordx2 v[3:4], v2, s[6:7] offset:40
	global_load_dwordx2 v[10:11], v2, s[6:7]
	v_mov_b32_e32 v5, v8
	v_mov_b32_e32 v6, v9
	s_waitcnt vmcnt(1)
	v_and_b32_e32 v3, v3, v5
	s_waitcnt vmcnt(0)
	v_mad_u64_u32 v[7:8], s[22:23], v3, 24, v[10:11]
	v_and_b32_e32 v4, v4, v6
	v_mov_b32_e32 v3, v8
	v_mad_u64_u32 v[3:4], s[22:23], v4, 24, v[3:4]
	v_mov_b32_e32 v8, v3
	global_load_dwordx2 v[3:4], v[7:8], off glc
	s_waitcnt vmcnt(0)
	global_atomic_cmpswap_x2 v[8:9], v2, v[3:6], s[6:7] offset:24 glc
	s_waitcnt vmcnt(0)
	buffer_wbinvl1_vol
	v_cmp_eq_u64_e32 vcc, v[8:9], v[5:6]
	s_or_b64 s[20:21], vcc, s[20:21]
	s_andn2_b64 exec, exec, s[20:21]
	s_cbranch_execnz .LBB6_1275
; %bb.1276:
	s_or_b64 exec, exec, s[20:21]
.LBB6_1277:
	s_or_b64 exec, exec, s[18:19]
.LBB6_1278:
	s_or_b64 exec, exec, s[16:17]
	s_waitcnt vmcnt(0)
	v_mov_b32_e32 v2, 0
	global_load_dwordx2 v[10:11], v2, s[6:7] offset:40
	global_load_dwordx4 v[4:7], v2, s[6:7]
	v_readfirstlane_b32 s16, v8
	v_readfirstlane_b32 s17, v9
	s_mov_b64 s[18:19], exec
	s_waitcnt vmcnt(1)
	v_readfirstlane_b32 s20, v10
	v_readfirstlane_b32 s21, v11
	s_and_b64 s[20:21], s[16:17], s[20:21]
	s_mul_i32 s15, s21, 24
	s_mul_hi_u32 s22, s20, 24
	s_mul_i32 s23, s20, 24
	s_add_i32 s15, s22, s15
	v_mov_b32_e32 v3, s15
	s_waitcnt vmcnt(0)
	v_add_co_u32_e32 v8, vcc, s23, v4
	v_addc_co_u32_e32 v9, vcc, v5, v3, vcc
	s_and_saveexec_b64 s[22:23], s[4:5]
	s_cbranch_execz .LBB6_1280
; %bb.1279:
	v_mov_b32_e32 v10, s18
	v_mov_b32_e32 v11, s19
	;; [unrolled: 1-line block ×4, first 2 shown]
	global_store_dwordx4 v[8:9], v[10:13], off offset:8
.LBB6_1280:
	s_or_b64 exec, exec, s[22:23]
	s_lshl_b64 s[18:19], s[20:21], 12
	v_mov_b32_e32 v3, s19
	v_add_co_u32_e32 v10, vcc, s18, v6
	v_addc_co_u32_e32 v11, vcc, v7, v3, vcc
	s_movk_i32 s15, 0xff1f
	v_and_or_b32 v0, v0, s15, 32
	s_mov_b32 s20, 0
	v_mov_b32_e32 v3, v2
	v_readfirstlane_b32 s18, v10
	v_readfirstlane_b32 s19, v11
	v_add_co_u32_e32 v6, vcc, v10, v31
	s_mov_b32 s21, s20
	s_mov_b32 s22, s20
	;; [unrolled: 1-line block ×3, first 2 shown]
	s_nop 0
	global_store_dwordx4 v31, v[0:3], s[18:19]
	v_addc_co_u32_e32 v7, vcc, 0, v11, vcc
	v_mov_b32_e32 v0, s20
	v_mov_b32_e32 v1, s21
	;; [unrolled: 1-line block ×4, first 2 shown]
	global_store_dwordx4 v31, v[0:3], s[18:19] offset:16
	global_store_dwordx4 v31, v[0:3], s[18:19] offset:32
	;; [unrolled: 1-line block ×3, first 2 shown]
	s_and_saveexec_b64 s[18:19], s[4:5]
	s_cbranch_execz .LBB6_1288
; %bb.1281:
	v_mov_b32_e32 v10, 0
	global_load_dwordx2 v[13:14], v10, s[6:7] offset:32 glc
	global_load_dwordx2 v[0:1], v10, s[6:7] offset:40
	v_mov_b32_e32 v11, s16
	v_mov_b32_e32 v12, s17
	s_waitcnt vmcnt(0)
	v_readfirstlane_b32 s20, v0
	v_readfirstlane_b32 s21, v1
	s_and_b64 s[20:21], s[20:21], s[16:17]
	s_mul_i32 s15, s21, 24
	s_mul_hi_u32 s21, s20, 24
	s_mul_i32 s20, s20, 24
	s_add_i32 s15, s21, s15
	v_mov_b32_e32 v0, s15
	v_add_co_u32_e32 v4, vcc, s20, v4
	v_addc_co_u32_e32 v5, vcc, v5, v0, vcc
	global_store_dwordx2 v[4:5], v[13:14], off
	s_waitcnt vmcnt(0)
	global_atomic_cmpswap_x2 v[2:3], v10, v[11:14], s[6:7] offset:32 glc
	s_waitcnt vmcnt(0)
	v_cmp_ne_u64_e32 vcc, v[2:3], v[13:14]
	s_and_saveexec_b64 s[20:21], vcc
	s_cbranch_execz .LBB6_1284
; %bb.1282:
	s_mov_b64 s[22:23], 0
.LBB6_1283:                             ; =>This Inner Loop Header: Depth=1
	s_sleep 1
	global_store_dwordx2 v[4:5], v[2:3], off
	v_mov_b32_e32 v0, s16
	v_mov_b32_e32 v1, s17
	s_waitcnt vmcnt(0)
	global_atomic_cmpswap_x2 v[0:1], v10, v[0:3], s[6:7] offset:32 glc
	s_waitcnt vmcnt(0)
	v_cmp_eq_u64_e32 vcc, v[0:1], v[2:3]
	v_mov_b32_e32 v3, v1
	s_or_b64 s[22:23], vcc, s[22:23]
	v_mov_b32_e32 v2, v0
	s_andn2_b64 exec, exec, s[22:23]
	s_cbranch_execnz .LBB6_1283
.LBB6_1284:
	s_or_b64 exec, exec, s[20:21]
	v_mov_b32_e32 v3, 0
	global_load_dwordx2 v[0:1], v3, s[6:7] offset:16
	s_mov_b64 s[20:21], exec
	v_mbcnt_lo_u32_b32 v2, s20, 0
	v_mbcnt_hi_u32_b32 v2, s21, v2
	v_cmp_eq_u32_e32 vcc, 0, v2
	s_and_saveexec_b64 s[22:23], vcc
	s_cbranch_execz .LBB6_1286
; %bb.1285:
	s_bcnt1_i32_b64 s15, s[20:21]
	v_mov_b32_e32 v2, s15
	s_waitcnt vmcnt(0)
	global_atomic_add_x2 v[0:1], v[2:3], off offset:8
.LBB6_1286:
	s_or_b64 exec, exec, s[22:23]
	s_waitcnt vmcnt(0)
	global_load_dwordx2 v[2:3], v[0:1], off offset:16
	s_waitcnt vmcnt(0)
	v_cmp_eq_u64_e32 vcc, 0, v[2:3]
	s_cbranch_vccnz .LBB6_1288
; %bb.1287:
	global_load_dword v0, v[0:1], off offset:24
	v_mov_b32_e32 v1, 0
	s_waitcnt vmcnt(0)
	global_store_dwordx2 v[2:3], v[0:1], off
	v_and_b32_e32 v0, 0xffffff, v0
	v_readfirstlane_b32 m0, v0
	s_sendmsg sendmsg(MSG_INTERRUPT)
.LBB6_1288:
	s_or_b64 exec, exec, s[18:19]
	s_branch .LBB6_1292
.LBB6_1289:                             ;   in Loop: Header=BB6_1292 Depth=1
	s_or_b64 exec, exec, s[18:19]
	v_readfirstlane_b32 s15, v0
	s_cmp_eq_u32 s15, 0
	s_cbranch_scc1 .LBB6_1291
; %bb.1290:                             ;   in Loop: Header=BB6_1292 Depth=1
	s_sleep 1
	s_cbranch_execnz .LBB6_1292
	s_branch .LBB6_1294
.LBB6_1291:
	s_branch .LBB6_1294
.LBB6_1292:                             ; =>This Inner Loop Header: Depth=1
	v_mov_b32_e32 v0, 1
	s_and_saveexec_b64 s[18:19], s[4:5]
	s_cbranch_execz .LBB6_1289
; %bb.1293:                             ;   in Loop: Header=BB6_1292 Depth=1
	global_load_dword v0, v[8:9], off offset:20 glc
	s_waitcnt vmcnt(0)
	buffer_wbinvl1_vol
	v_and_b32_e32 v0, 1, v0
	s_branch .LBB6_1289
.LBB6_1294:
	global_load_dwordx2 v[2:3], v[6:7], off
	s_and_saveexec_b64 s[18:19], s[4:5]
	s_cbranch_execz .LBB6_1297
; %bb.1295:
	v_mov_b32_e32 v8, 0
	global_load_dwordx2 v[0:1], v8, s[6:7] offset:40
	global_load_dwordx2 v[9:10], v8, s[6:7] offset:24 glc
	global_load_dwordx2 v[11:12], v8, s[6:7]
	v_mov_b32_e32 v5, s17
	s_mov_b64 s[4:5], 0
	s_waitcnt vmcnt(2)
	v_add_co_u32_e32 v6, vcc, 1, v0
	v_addc_co_u32_e32 v7, vcc, 0, v1, vcc
	v_add_co_u32_e32 v4, vcc, s16, v6
	v_addc_co_u32_e32 v5, vcc, v7, v5, vcc
	v_cmp_eq_u64_e32 vcc, 0, v[4:5]
	v_cndmask_b32_e32 v5, v5, v7, vcc
	v_cndmask_b32_e32 v4, v4, v6, vcc
	v_and_b32_e32 v1, v5, v1
	v_and_b32_e32 v0, v4, v0
	v_mul_lo_u32 v1, v1, 24
	v_mul_hi_u32 v7, v0, 24
	v_mul_lo_u32 v0, v0, 24
	s_waitcnt vmcnt(1)
	v_mov_b32_e32 v6, v9
	v_add_u32_e32 v1, v7, v1
	s_waitcnt vmcnt(0)
	v_add_co_u32_e32 v0, vcc, v11, v0
	v_addc_co_u32_e32 v1, vcc, v12, v1, vcc
	global_store_dwordx2 v[0:1], v[9:10], off
	v_mov_b32_e32 v7, v10
	s_waitcnt vmcnt(0)
	global_atomic_cmpswap_x2 v[6:7], v8, v[4:7], s[6:7] offset:24 glc
	s_waitcnt vmcnt(0)
	v_cmp_ne_u64_e32 vcc, v[6:7], v[9:10]
	s_and_b64 exec, exec, vcc
	s_cbranch_execz .LBB6_1297
.LBB6_1296:                             ; =>This Inner Loop Header: Depth=1
	s_sleep 1
	global_store_dwordx2 v[0:1], v[6:7], off
	s_waitcnt vmcnt(0)
	global_atomic_cmpswap_x2 v[9:10], v8, v[4:7], s[6:7] offset:24 glc
	s_waitcnt vmcnt(0)
	v_cmp_eq_u64_e32 vcc, v[9:10], v[6:7]
	v_mov_b32_e32 v6, v9
	s_or_b64 s[4:5], vcc, s[4:5]
	v_mov_b32_e32 v7, v10
	s_andn2_b64 exec, exec, s[4:5]
	s_cbranch_execnz .LBB6_1296
.LBB6_1297:
	s_or_b64 exec, exec, s[18:19]
.LBB6_1298:
	v_readfirstlane_b32 s4, v32
	s_waitcnt vmcnt(0)
	v_mov_b32_e32 v0, 0
	v_mov_b32_e32 v1, 0
	v_cmp_eq_u32_e64 s[4:5], s4, v32
	s_and_saveexec_b64 s[16:17], s[4:5]
	s_cbranch_execz .LBB6_1304
; %bb.1299:
	v_mov_b32_e32 v4, 0
	global_load_dwordx2 v[7:8], v4, s[6:7] offset:24 glc
	s_waitcnt vmcnt(0)
	buffer_wbinvl1_vol
	global_load_dwordx2 v[0:1], v4, s[6:7] offset:40
	global_load_dwordx2 v[5:6], v4, s[6:7]
	s_waitcnt vmcnt(1)
	v_and_b32_e32 v0, v0, v7
	v_and_b32_e32 v1, v1, v8
	v_mul_lo_u32 v1, v1, 24
	v_mul_hi_u32 v9, v0, 24
	v_mul_lo_u32 v0, v0, 24
	v_add_u32_e32 v1, v9, v1
	s_waitcnt vmcnt(0)
	v_add_co_u32_e32 v0, vcc, v5, v0
	v_addc_co_u32_e32 v1, vcc, v6, v1, vcc
	global_load_dwordx2 v[5:6], v[0:1], off glc
	s_waitcnt vmcnt(0)
	global_atomic_cmpswap_x2 v[0:1], v4, v[5:8], s[6:7] offset:24 glc
	s_waitcnt vmcnt(0)
	buffer_wbinvl1_vol
	v_cmp_ne_u64_e32 vcc, v[0:1], v[7:8]
	s_and_saveexec_b64 s[18:19], vcc
	s_cbranch_execz .LBB6_1303
; %bb.1300:
	s_mov_b64 s[20:21], 0
.LBB6_1301:                             ; =>This Inner Loop Header: Depth=1
	s_sleep 1
	global_load_dwordx2 v[5:6], v4, s[6:7] offset:40
	global_load_dwordx2 v[9:10], v4, s[6:7]
	v_mov_b32_e32 v8, v1
	v_mov_b32_e32 v7, v0
	s_waitcnt vmcnt(1)
	v_and_b32_e32 v0, v5, v7
	s_waitcnt vmcnt(0)
	v_mad_u64_u32 v[0:1], s[22:23], v0, 24, v[9:10]
	v_and_b32_e32 v5, v6, v8
	v_mad_u64_u32 v[5:6], s[22:23], v5, 24, v[1:2]
	v_mov_b32_e32 v1, v5
	global_load_dwordx2 v[5:6], v[0:1], off glc
	s_waitcnt vmcnt(0)
	global_atomic_cmpswap_x2 v[0:1], v4, v[5:8], s[6:7] offset:24 glc
	s_waitcnt vmcnt(0)
	buffer_wbinvl1_vol
	v_cmp_eq_u64_e32 vcc, v[0:1], v[7:8]
	s_or_b64 s[20:21], vcc, s[20:21]
	s_andn2_b64 exec, exec, s[20:21]
	s_cbranch_execnz .LBB6_1301
; %bb.1302:
	s_or_b64 exec, exec, s[20:21]
.LBB6_1303:
	s_or_b64 exec, exec, s[18:19]
.LBB6_1304:
	s_or_b64 exec, exec, s[16:17]
	v_mov_b32_e32 v5, 0
	global_load_dwordx2 v[10:11], v5, s[6:7] offset:40
	global_load_dwordx4 v[6:9], v5, s[6:7]
	v_readfirstlane_b32 s16, v0
	v_readfirstlane_b32 s17, v1
	s_mov_b64 s[18:19], exec
	s_waitcnt vmcnt(1)
	v_readfirstlane_b32 s20, v10
	v_readfirstlane_b32 s21, v11
	s_and_b64 s[20:21], s[16:17], s[20:21]
	s_mul_i32 s15, s21, 24
	s_mul_hi_u32 s22, s20, 24
	s_mul_i32 s23, s20, 24
	s_add_i32 s15, s22, s15
	v_mov_b32_e32 v0, s15
	s_waitcnt vmcnt(0)
	v_add_co_u32_e32 v10, vcc, s23, v6
	v_addc_co_u32_e32 v11, vcc, v7, v0, vcc
	s_and_saveexec_b64 s[22:23], s[4:5]
	s_cbranch_execz .LBB6_1306
; %bb.1305:
	v_mov_b32_e32 v12, s18
	v_mov_b32_e32 v13, s19
	;; [unrolled: 1-line block ×4, first 2 shown]
	global_store_dwordx4 v[10:11], v[12:15], off offset:8
.LBB6_1306:
	s_or_b64 exec, exec, s[22:23]
	s_lshl_b64 s[18:19], s[20:21], 12
	v_mov_b32_e32 v0, s19
	v_add_co_u32_e32 v1, vcc, s18, v8
	v_addc_co_u32_e32 v0, vcc, v9, v0, vcc
	s_movk_i32 s15, 0xff1d
	v_and_or_b32 v2, v2, s15, 34
	s_mov_b32 s20, 0
	v_mov_b32_e32 v4, 10
	v_readfirstlane_b32 s18, v1
	v_readfirstlane_b32 s19, v0
	s_mov_b32 s21, s20
	s_mov_b32 s22, s20
	;; [unrolled: 1-line block ×3, first 2 shown]
	s_nop 1
	global_store_dwordx4 v31, v[2:5], s[18:19]
	v_mov_b32_e32 v0, s20
	v_mov_b32_e32 v1, s21
	;; [unrolled: 1-line block ×4, first 2 shown]
	global_store_dwordx4 v31, v[0:3], s[18:19] offset:16
	global_store_dwordx4 v31, v[0:3], s[18:19] offset:32
	;; [unrolled: 1-line block ×3, first 2 shown]
	s_and_saveexec_b64 s[18:19], s[4:5]
	s_cbranch_execz .LBB6_1314
; %bb.1307:
	v_mov_b32_e32 v8, 0
	global_load_dwordx2 v[14:15], v8, s[6:7] offset:32 glc
	global_load_dwordx2 v[0:1], v8, s[6:7] offset:40
	v_mov_b32_e32 v12, s16
	v_mov_b32_e32 v13, s17
	s_waitcnt vmcnt(0)
	v_readfirstlane_b32 s20, v0
	v_readfirstlane_b32 s21, v1
	s_and_b64 s[20:21], s[20:21], s[16:17]
	s_mul_i32 s15, s21, 24
	s_mul_hi_u32 s21, s20, 24
	s_mul_i32 s20, s20, 24
	s_add_i32 s15, s21, s15
	v_mov_b32_e32 v0, s15
	v_add_co_u32_e32 v4, vcc, s20, v6
	v_addc_co_u32_e32 v5, vcc, v7, v0, vcc
	global_store_dwordx2 v[4:5], v[14:15], off
	s_waitcnt vmcnt(0)
	global_atomic_cmpswap_x2 v[2:3], v8, v[12:15], s[6:7] offset:32 glc
	s_waitcnt vmcnt(0)
	v_cmp_ne_u64_e32 vcc, v[2:3], v[14:15]
	s_and_saveexec_b64 s[20:21], vcc
	s_cbranch_execz .LBB6_1310
; %bb.1308:
	s_mov_b64 s[22:23], 0
.LBB6_1309:                             ; =>This Inner Loop Header: Depth=1
	s_sleep 1
	global_store_dwordx2 v[4:5], v[2:3], off
	v_mov_b32_e32 v0, s16
	v_mov_b32_e32 v1, s17
	s_waitcnt vmcnt(0)
	global_atomic_cmpswap_x2 v[0:1], v8, v[0:3], s[6:7] offset:32 glc
	s_waitcnt vmcnt(0)
	v_cmp_eq_u64_e32 vcc, v[0:1], v[2:3]
	v_mov_b32_e32 v3, v1
	s_or_b64 s[22:23], vcc, s[22:23]
	v_mov_b32_e32 v2, v0
	s_andn2_b64 exec, exec, s[22:23]
	s_cbranch_execnz .LBB6_1309
.LBB6_1310:
	s_or_b64 exec, exec, s[20:21]
	v_mov_b32_e32 v3, 0
	global_load_dwordx2 v[0:1], v3, s[6:7] offset:16
	s_mov_b64 s[20:21], exec
	v_mbcnt_lo_u32_b32 v2, s20, 0
	v_mbcnt_hi_u32_b32 v2, s21, v2
	v_cmp_eq_u32_e32 vcc, 0, v2
	s_and_saveexec_b64 s[22:23], vcc
	s_cbranch_execz .LBB6_1312
; %bb.1311:
	s_bcnt1_i32_b64 s15, s[20:21]
	v_mov_b32_e32 v2, s15
	s_waitcnt vmcnt(0)
	global_atomic_add_x2 v[0:1], v[2:3], off offset:8
.LBB6_1312:
	s_or_b64 exec, exec, s[22:23]
	s_waitcnt vmcnt(0)
	global_load_dwordx2 v[2:3], v[0:1], off offset:16
	s_waitcnt vmcnt(0)
	v_cmp_eq_u64_e32 vcc, 0, v[2:3]
	s_cbranch_vccnz .LBB6_1314
; %bb.1313:
	global_load_dword v0, v[0:1], off offset:24
	v_mov_b32_e32 v1, 0
	s_waitcnt vmcnt(0)
	global_store_dwordx2 v[2:3], v[0:1], off
	v_and_b32_e32 v0, 0xffffff, v0
	v_readfirstlane_b32 m0, v0
	s_sendmsg sendmsg(MSG_INTERRUPT)
.LBB6_1314:
	s_or_b64 exec, exec, s[18:19]
	s_branch .LBB6_1318
.LBB6_1315:                             ;   in Loop: Header=BB6_1318 Depth=1
	s_or_b64 exec, exec, s[18:19]
	v_readfirstlane_b32 s15, v0
	s_cmp_eq_u32 s15, 0
	s_cbranch_scc1 .LBB6_1317
; %bb.1316:                             ;   in Loop: Header=BB6_1318 Depth=1
	s_sleep 1
	s_cbranch_execnz .LBB6_1318
	s_branch .LBB6_1320
.LBB6_1317:
	s_branch .LBB6_1320
.LBB6_1318:                             ; =>This Inner Loop Header: Depth=1
	v_mov_b32_e32 v0, 1
	s_and_saveexec_b64 s[18:19], s[4:5]
	s_cbranch_execz .LBB6_1315
; %bb.1319:                             ;   in Loop: Header=BB6_1318 Depth=1
	global_load_dword v0, v[10:11], off offset:20 glc
	s_waitcnt vmcnt(0)
	buffer_wbinvl1_vol
	v_and_b32_e32 v0, 1, v0
	s_branch .LBB6_1315
.LBB6_1320:
	s_and_saveexec_b64 s[18:19], s[4:5]
	s_cbranch_execz .LBB6_1323
; %bb.1321:
	v_mov_b32_e32 v6, 0
	global_load_dwordx2 v[2:3], v6, s[6:7] offset:40
	global_load_dwordx2 v[7:8], v6, s[6:7] offset:24 glc
	global_load_dwordx2 v[4:5], v6, s[6:7]
	v_mov_b32_e32 v1, s17
	s_mov_b64 s[4:5], 0
	s_waitcnt vmcnt(2)
	v_add_co_u32_e32 v9, vcc, 1, v2
	v_addc_co_u32_e32 v10, vcc, 0, v3, vcc
	v_add_co_u32_e32 v0, vcc, s16, v9
	v_addc_co_u32_e32 v1, vcc, v10, v1, vcc
	v_cmp_eq_u64_e32 vcc, 0, v[0:1]
	v_cndmask_b32_e32 v1, v1, v10, vcc
	v_cndmask_b32_e32 v0, v0, v9, vcc
	v_and_b32_e32 v3, v1, v3
	v_and_b32_e32 v2, v0, v2
	v_mul_lo_u32 v3, v3, 24
	v_mul_hi_u32 v9, v2, 24
	v_mul_lo_u32 v10, v2, 24
	s_waitcnt vmcnt(1)
	v_mov_b32_e32 v2, v7
	v_add_u32_e32 v3, v9, v3
	s_waitcnt vmcnt(0)
	v_add_co_u32_e32 v4, vcc, v4, v10
	v_addc_co_u32_e32 v5, vcc, v5, v3, vcc
	global_store_dwordx2 v[4:5], v[7:8], off
	v_mov_b32_e32 v3, v8
	s_waitcnt vmcnt(0)
	global_atomic_cmpswap_x2 v[2:3], v6, v[0:3], s[6:7] offset:24 glc
	s_waitcnt vmcnt(0)
	v_cmp_ne_u64_e32 vcc, v[2:3], v[7:8]
	s_and_b64 exec, exec, vcc
	s_cbranch_execz .LBB6_1323
.LBB6_1322:                             ; =>This Inner Loop Header: Depth=1
	s_sleep 1
	global_store_dwordx2 v[4:5], v[2:3], off
	s_waitcnt vmcnt(0)
	global_atomic_cmpswap_x2 v[7:8], v6, v[0:3], s[6:7] offset:24 glc
	s_waitcnt vmcnt(0)
	v_cmp_eq_u64_e32 vcc, v[7:8], v[2:3]
	v_mov_b32_e32 v2, v7
	s_or_b64 s[4:5], vcc, s[4:5]
	v_mov_b32_e32 v3, v8
	s_andn2_b64 exec, exec, s[4:5]
	s_cbranch_execnz .LBB6_1322
.LBB6_1323:
	s_or_b64 exec, exec, s[18:19]
	v_readfirstlane_b32 s4, v32
	v_mov_b32_e32 v5, 0
	v_mov_b32_e32 v6, 0
	v_cmp_eq_u32_e64 s[4:5], s4, v32
	s_and_saveexec_b64 s[16:17], s[4:5]
	s_cbranch_execz .LBB6_1329
; %bb.1324:
	v_mov_b32_e32 v0, 0
	global_load_dwordx2 v[3:4], v0, s[6:7] offset:24 glc
	s_waitcnt vmcnt(0)
	buffer_wbinvl1_vol
	global_load_dwordx2 v[1:2], v0, s[6:7] offset:40
	global_load_dwordx2 v[5:6], v0, s[6:7]
	s_waitcnt vmcnt(1)
	v_and_b32_e32 v1, v1, v3
	v_and_b32_e32 v2, v2, v4
	v_mul_lo_u32 v2, v2, 24
	v_mul_hi_u32 v7, v1, 24
	v_mul_lo_u32 v1, v1, 24
	v_add_u32_e32 v2, v7, v2
	s_waitcnt vmcnt(0)
	v_add_co_u32_e32 v1, vcc, v5, v1
	v_addc_co_u32_e32 v2, vcc, v6, v2, vcc
	global_load_dwordx2 v[1:2], v[1:2], off glc
	s_waitcnt vmcnt(0)
	global_atomic_cmpswap_x2 v[5:6], v0, v[1:4], s[6:7] offset:24 glc
	s_waitcnt vmcnt(0)
	buffer_wbinvl1_vol
	v_cmp_ne_u64_e32 vcc, v[5:6], v[3:4]
	s_and_saveexec_b64 s[18:19], vcc
	s_cbranch_execz .LBB6_1328
; %bb.1325:
	s_mov_b64 s[20:21], 0
.LBB6_1326:                             ; =>This Inner Loop Header: Depth=1
	s_sleep 1
	global_load_dwordx2 v[1:2], v0, s[6:7] offset:40
	global_load_dwordx2 v[7:8], v0, s[6:7]
	v_mov_b32_e32 v3, v5
	v_mov_b32_e32 v4, v6
	s_waitcnt vmcnt(1)
	v_and_b32_e32 v1, v1, v3
	s_waitcnt vmcnt(0)
	v_mad_u64_u32 v[5:6], s[22:23], v1, 24, v[7:8]
	v_and_b32_e32 v2, v2, v4
	v_mov_b32_e32 v1, v6
	v_mad_u64_u32 v[1:2], s[22:23], v2, 24, v[1:2]
	v_mov_b32_e32 v6, v1
	global_load_dwordx2 v[1:2], v[5:6], off glc
	s_waitcnt vmcnt(0)
	global_atomic_cmpswap_x2 v[5:6], v0, v[1:4], s[6:7] offset:24 glc
	s_waitcnt vmcnt(0)
	buffer_wbinvl1_vol
	v_cmp_eq_u64_e32 vcc, v[5:6], v[3:4]
	s_or_b64 s[20:21], vcc, s[20:21]
	s_andn2_b64 exec, exec, s[20:21]
	s_cbranch_execnz .LBB6_1326
; %bb.1327:
	s_or_b64 exec, exec, s[20:21]
.LBB6_1328:
	s_or_b64 exec, exec, s[18:19]
.LBB6_1329:
	s_or_b64 exec, exec, s[16:17]
	v_mov_b32_e32 v4, 0
	global_load_dwordx2 v[7:8], v4, s[6:7] offset:40
	global_load_dwordx4 v[0:3], v4, s[6:7]
	v_readfirstlane_b32 s16, v5
	v_readfirstlane_b32 s17, v6
	s_mov_b64 s[18:19], exec
	s_waitcnt vmcnt(1)
	v_readfirstlane_b32 s20, v7
	v_readfirstlane_b32 s21, v8
	s_and_b64 s[20:21], s[16:17], s[20:21]
	s_mul_i32 s15, s21, 24
	s_mul_hi_u32 s22, s20, 24
	s_mul_i32 s23, s20, 24
	s_add_i32 s15, s22, s15
	v_mov_b32_e32 v5, s15
	s_waitcnt vmcnt(0)
	v_add_co_u32_e32 v7, vcc, s23, v0
	v_addc_co_u32_e32 v8, vcc, v1, v5, vcc
	s_and_saveexec_b64 s[22:23], s[4:5]
	s_cbranch_execz .LBB6_1331
; %bb.1330:
	v_mov_b32_e32 v9, s18
	v_mov_b32_e32 v10, s19
	;; [unrolled: 1-line block ×4, first 2 shown]
	global_store_dwordx4 v[7:8], v[9:12], off offset:8
.LBB6_1331:
	s_or_b64 exec, exec, s[22:23]
	s_lshl_b64 s[18:19], s[20:21], 12
	v_mov_b32_e32 v5, s19
	v_add_co_u32_e32 v2, vcc, s18, v2
	v_addc_co_u32_e32 v11, vcc, v3, v5, vcc
	s_mov_b32 s20, 0
	v_mov_b32_e32 v3, 33
	v_mov_b32_e32 v5, v4
	;; [unrolled: 1-line block ×3, first 2 shown]
	v_readfirstlane_b32 s18, v2
	v_readfirstlane_b32 s19, v11
	v_add_co_u32_e32 v9, vcc, v2, v31
	s_mov_b32 s21, s20
	s_mov_b32 s22, s20
	;; [unrolled: 1-line block ×3, first 2 shown]
	s_nop 0
	global_store_dwordx4 v31, v[3:6], s[18:19]
	v_mov_b32_e32 v2, s20
	v_addc_co_u32_e32 v10, vcc, 0, v11, vcc
	v_mov_b32_e32 v3, s21
	v_mov_b32_e32 v4, s22
	;; [unrolled: 1-line block ×3, first 2 shown]
	global_store_dwordx4 v31, v[2:5], s[18:19] offset:16
	global_store_dwordx4 v31, v[2:5], s[18:19] offset:32
	;; [unrolled: 1-line block ×3, first 2 shown]
	s_and_saveexec_b64 s[18:19], s[4:5]
	s_cbranch_execz .LBB6_1339
; %bb.1332:
	v_mov_b32_e32 v6, 0
	global_load_dwordx2 v[13:14], v6, s[6:7] offset:32 glc
	global_load_dwordx2 v[2:3], v6, s[6:7] offset:40
	v_mov_b32_e32 v11, s16
	v_mov_b32_e32 v12, s17
	s_waitcnt vmcnt(0)
	v_readfirstlane_b32 s20, v2
	v_readfirstlane_b32 s21, v3
	s_and_b64 s[20:21], s[20:21], s[16:17]
	s_mul_i32 s15, s21, 24
	s_mul_hi_u32 s21, s20, 24
	s_mul_i32 s20, s20, 24
	s_add_i32 s15, s21, s15
	v_mov_b32_e32 v2, s15
	v_add_co_u32_e32 v4, vcc, s20, v0
	v_addc_co_u32_e32 v5, vcc, v1, v2, vcc
	global_store_dwordx2 v[4:5], v[13:14], off
	s_waitcnt vmcnt(0)
	global_atomic_cmpswap_x2 v[2:3], v6, v[11:14], s[6:7] offset:32 glc
	s_waitcnt vmcnt(0)
	v_cmp_ne_u64_e32 vcc, v[2:3], v[13:14]
	s_and_saveexec_b64 s[20:21], vcc
	s_cbranch_execz .LBB6_1335
; %bb.1333:
	s_mov_b64 s[22:23], 0
.LBB6_1334:                             ; =>This Inner Loop Header: Depth=1
	s_sleep 1
	global_store_dwordx2 v[4:5], v[2:3], off
	v_mov_b32_e32 v0, s16
	v_mov_b32_e32 v1, s17
	s_waitcnt vmcnt(0)
	global_atomic_cmpswap_x2 v[0:1], v6, v[0:3], s[6:7] offset:32 glc
	s_waitcnt vmcnt(0)
	v_cmp_eq_u64_e32 vcc, v[0:1], v[2:3]
	v_mov_b32_e32 v3, v1
	s_or_b64 s[22:23], vcc, s[22:23]
	v_mov_b32_e32 v2, v0
	s_andn2_b64 exec, exec, s[22:23]
	s_cbranch_execnz .LBB6_1334
.LBB6_1335:
	s_or_b64 exec, exec, s[20:21]
	v_mov_b32_e32 v3, 0
	global_load_dwordx2 v[0:1], v3, s[6:7] offset:16
	s_mov_b64 s[20:21], exec
	v_mbcnt_lo_u32_b32 v2, s20, 0
	v_mbcnt_hi_u32_b32 v2, s21, v2
	v_cmp_eq_u32_e32 vcc, 0, v2
	s_and_saveexec_b64 s[22:23], vcc
	s_cbranch_execz .LBB6_1337
; %bb.1336:
	s_bcnt1_i32_b64 s15, s[20:21]
	v_mov_b32_e32 v2, s15
	s_waitcnt vmcnt(0)
	global_atomic_add_x2 v[0:1], v[2:3], off offset:8
.LBB6_1337:
	s_or_b64 exec, exec, s[22:23]
	s_waitcnt vmcnt(0)
	global_load_dwordx2 v[2:3], v[0:1], off offset:16
	s_waitcnt vmcnt(0)
	v_cmp_eq_u64_e32 vcc, 0, v[2:3]
	s_cbranch_vccnz .LBB6_1339
; %bb.1338:
	global_load_dword v0, v[0:1], off offset:24
	v_mov_b32_e32 v1, 0
	s_waitcnt vmcnt(0)
	global_store_dwordx2 v[2:3], v[0:1], off
	v_and_b32_e32 v0, 0xffffff, v0
	v_readfirstlane_b32 m0, v0
	s_sendmsg sendmsg(MSG_INTERRUPT)
.LBB6_1339:
	s_or_b64 exec, exec, s[18:19]
	s_branch .LBB6_1343
.LBB6_1340:                             ;   in Loop: Header=BB6_1343 Depth=1
	s_or_b64 exec, exec, s[18:19]
	v_readfirstlane_b32 s15, v0
	s_cmp_eq_u32 s15, 0
	s_cbranch_scc1 .LBB6_1342
; %bb.1341:                             ;   in Loop: Header=BB6_1343 Depth=1
	s_sleep 1
	s_cbranch_execnz .LBB6_1343
	s_branch .LBB6_1345
.LBB6_1342:
	s_branch .LBB6_1345
.LBB6_1343:                             ; =>This Inner Loop Header: Depth=1
	v_mov_b32_e32 v0, 1
	s_and_saveexec_b64 s[18:19], s[4:5]
	s_cbranch_execz .LBB6_1340
; %bb.1344:                             ;   in Loop: Header=BB6_1343 Depth=1
	global_load_dword v0, v[7:8], off offset:20 glc
	s_waitcnt vmcnt(0)
	buffer_wbinvl1_vol
	v_and_b32_e32 v0, 1, v0
	s_branch .LBB6_1340
.LBB6_1345:
	global_load_dwordx2 v[4:5], v[9:10], off
	s_and_saveexec_b64 s[18:19], s[4:5]
	s_cbranch_execz .LBB6_1348
; %bb.1346:
	v_mov_b32_e32 v8, 0
	global_load_dwordx2 v[2:3], v8, s[6:7] offset:40
	global_load_dwordx2 v[9:10], v8, s[6:7] offset:24 glc
	global_load_dwordx2 v[6:7], v8, s[6:7]
	v_mov_b32_e32 v1, s17
	s_mov_b64 s[4:5], 0
	s_waitcnt vmcnt(2)
	v_add_co_u32_e32 v11, vcc, 1, v2
	v_addc_co_u32_e32 v12, vcc, 0, v3, vcc
	v_add_co_u32_e32 v0, vcc, s16, v11
	v_addc_co_u32_e32 v1, vcc, v12, v1, vcc
	v_cmp_eq_u64_e32 vcc, 0, v[0:1]
	v_cndmask_b32_e32 v1, v1, v12, vcc
	v_cndmask_b32_e32 v0, v0, v11, vcc
	v_and_b32_e32 v3, v1, v3
	v_and_b32_e32 v2, v0, v2
	v_mul_lo_u32 v3, v3, 24
	v_mul_hi_u32 v11, v2, 24
	v_mul_lo_u32 v12, v2, 24
	s_waitcnt vmcnt(1)
	v_mov_b32_e32 v2, v9
	v_add_u32_e32 v3, v11, v3
	s_waitcnt vmcnt(0)
	v_add_co_u32_e32 v6, vcc, v6, v12
	v_addc_co_u32_e32 v7, vcc, v7, v3, vcc
	global_store_dwordx2 v[6:7], v[9:10], off
	v_mov_b32_e32 v3, v10
	s_waitcnt vmcnt(0)
	global_atomic_cmpswap_x2 v[2:3], v8, v[0:3], s[6:7] offset:24 glc
	s_waitcnt vmcnt(0)
	v_cmp_ne_u64_e32 vcc, v[2:3], v[9:10]
	s_and_b64 exec, exec, vcc
	s_cbranch_execz .LBB6_1348
.LBB6_1347:                             ; =>This Inner Loop Header: Depth=1
	s_sleep 1
	global_store_dwordx2 v[6:7], v[2:3], off
	s_waitcnt vmcnt(0)
	global_atomic_cmpswap_x2 v[9:10], v8, v[0:3], s[6:7] offset:24 glc
	s_waitcnt vmcnt(0)
	v_cmp_eq_u64_e32 vcc, v[9:10], v[2:3]
	v_mov_b32_e32 v2, v9
	s_or_b64 s[4:5], vcc, s[4:5]
	v_mov_b32_e32 v3, v10
	s_andn2_b64 exec, exec, s[4:5]
	s_cbranch_execnz .LBB6_1347
.LBB6_1348:
	s_or_b64 exec, exec, s[18:19]
	s_and_b64 vcc, exec, s[10:11]
	s_cbranch_vccz .LBB6_1433
; %bb.1349:
	s_waitcnt vmcnt(0)
	v_and_b32_e32 v29, 2, v4
	v_mov_b32_e32 v26, 0
	v_and_b32_e32 v0, -3, v4
	v_mov_b32_e32 v1, v5
	s_mov_b64 s[16:17], 3
	v_mov_b32_e32 v8, 2
	v_mov_b32_e32 v9, 1
	s_getpc_b64 s[10:11]
	s_add_u32 s10, s10, .str.5@rel32@lo+4
	s_addc_u32 s11, s11, .str.5@rel32@hi+12
	s_branch .LBB6_1351
.LBB6_1350:                             ;   in Loop: Header=BB6_1351 Depth=1
	s_or_b64 exec, exec, s[22:23]
	s_sub_u32 s16, s16, s18
	s_subb_u32 s17, s17, s19
	s_add_u32 s10, s10, s18
	s_addc_u32 s11, s11, s19
	s_cmp_lg_u64 s[16:17], 0
	s_cbranch_scc0 .LBB6_1432
.LBB6_1351:                             ; =>This Loop Header: Depth=1
                                        ;     Child Loop BB6_1354 Depth 2
                                        ;     Child Loop BB6_1361 Depth 2
	;; [unrolled: 1-line block ×11, first 2 shown]
	v_cmp_lt_u64_e64 s[4:5], s[16:17], 56
	v_cmp_gt_u64_e64 s[20:21], s[16:17], 7
	s_and_b64 s[4:5], s[4:5], exec
	s_cselect_b32 s19, s17, 0
	s_cselect_b32 s18, s16, 56
	s_and_b64 vcc, exec, s[20:21]
	s_cbranch_vccnz .LBB6_1356
; %bb.1352:                             ;   in Loop: Header=BB6_1351 Depth=1
	s_waitcnt vmcnt(0)
	v_mov_b32_e32 v2, 0
	s_cmp_eq_u64 s[16:17], 0
	v_mov_b32_e32 v3, 0
	s_mov_b64 s[4:5], 0
	s_cbranch_scc1 .LBB6_1355
; %bb.1353:                             ;   in Loop: Header=BB6_1351 Depth=1
	v_mov_b32_e32 v2, 0
	s_lshl_b64 s[20:21], s[18:19], 3
	s_mov_b64 s[22:23], 0
	v_mov_b32_e32 v3, 0
	s_mov_b64 s[24:25], s[10:11]
.LBB6_1354:                             ;   Parent Loop BB6_1351 Depth=1
                                        ; =>  This Inner Loop Header: Depth=2
	global_load_ubyte v6, v26, s[24:25]
	s_waitcnt vmcnt(0)
	v_and_b32_e32 v25, 0xffff, v6
	v_lshlrev_b64 v[6:7], s22, v[25:26]
	s_add_u32 s22, s22, 8
	s_addc_u32 s23, s23, 0
	s_add_u32 s24, s24, 1
	s_addc_u32 s25, s25, 0
	v_or_b32_e32 v2, v6, v2
	s_cmp_lg_u32 s20, s22
	v_or_b32_e32 v3, v7, v3
	s_cbranch_scc1 .LBB6_1354
.LBB6_1355:                             ;   in Loop: Header=BB6_1351 Depth=1
	s_mov_b32 s15, 0
	s_andn2_b64 vcc, exec, s[4:5]
	s_mov_b64 s[4:5], s[10:11]
	s_cbranch_vccz .LBB6_1357
	s_branch .LBB6_1358
.LBB6_1356:                             ;   in Loop: Header=BB6_1351 Depth=1
                                        ; implicit-def: $vgpr2_vgpr3
                                        ; implicit-def: $sgpr15
	s_mov_b64 s[4:5], s[10:11]
.LBB6_1357:                             ;   in Loop: Header=BB6_1351 Depth=1
	global_load_dwordx2 v[2:3], v26, s[10:11]
	s_add_i32 s15, s18, -8
	s_add_u32 s4, s10, 8
	s_addc_u32 s5, s11, 0
.LBB6_1358:                             ;   in Loop: Header=BB6_1351 Depth=1
	s_cmp_gt_u32 s15, 7
	s_cbranch_scc1 .LBB6_1362
; %bb.1359:                             ;   in Loop: Header=BB6_1351 Depth=1
	s_cmp_eq_u32 s15, 0
	s_cbranch_scc1 .LBB6_1363
; %bb.1360:                             ;   in Loop: Header=BB6_1351 Depth=1
	v_mov_b32_e32 v10, 0
	s_mov_b64 s[20:21], 0
	v_mov_b32_e32 v11, 0
	s_mov_b64 s[22:23], 0
.LBB6_1361:                             ;   Parent Loop BB6_1351 Depth=1
                                        ; =>  This Inner Loop Header: Depth=2
	s_add_u32 s24, s4, s22
	s_addc_u32 s25, s5, s23
	global_load_ubyte v6, v26, s[24:25]
	s_add_u32 s22, s22, 1
	s_addc_u32 s23, s23, 0
	s_waitcnt vmcnt(0)
	v_and_b32_e32 v25, 0xffff, v6
	v_lshlrev_b64 v[6:7], s20, v[25:26]
	s_add_u32 s20, s20, 8
	s_addc_u32 s21, s21, 0
	v_or_b32_e32 v10, v6, v10
	s_cmp_lg_u32 s15, s22
	v_or_b32_e32 v11, v7, v11
	s_cbranch_scc1 .LBB6_1361
	s_branch .LBB6_1364
.LBB6_1362:                             ;   in Loop: Header=BB6_1351 Depth=1
                                        ; implicit-def: $vgpr10_vgpr11
                                        ; implicit-def: $sgpr24
	s_branch .LBB6_1365
.LBB6_1363:                             ;   in Loop: Header=BB6_1351 Depth=1
	v_mov_b32_e32 v10, 0
	v_mov_b32_e32 v11, 0
.LBB6_1364:                             ;   in Loop: Header=BB6_1351 Depth=1
	s_mov_b32 s24, 0
	s_cbranch_execnz .LBB6_1366
.LBB6_1365:                             ;   in Loop: Header=BB6_1351 Depth=1
	global_load_dwordx2 v[10:11], v26, s[4:5]
	s_add_i32 s24, s15, -8
	s_add_u32 s4, s4, 8
	s_addc_u32 s5, s5, 0
.LBB6_1366:                             ;   in Loop: Header=BB6_1351 Depth=1
	s_cmp_gt_u32 s24, 7
	s_cbranch_scc1 .LBB6_1370
; %bb.1367:                             ;   in Loop: Header=BB6_1351 Depth=1
	s_cmp_eq_u32 s24, 0
	s_cbranch_scc1 .LBB6_1371
; %bb.1368:                             ;   in Loop: Header=BB6_1351 Depth=1
	v_mov_b32_e32 v12, 0
	s_mov_b64 s[20:21], 0
	v_mov_b32_e32 v13, 0
	s_mov_b64 s[22:23], 0
.LBB6_1369:                             ;   Parent Loop BB6_1351 Depth=1
                                        ; =>  This Inner Loop Header: Depth=2
	s_add_u32 s26, s4, s22
	s_addc_u32 s27, s5, s23
	global_load_ubyte v6, v26, s[26:27]
	s_add_u32 s22, s22, 1
	s_addc_u32 s23, s23, 0
	s_waitcnt vmcnt(0)
	v_and_b32_e32 v25, 0xffff, v6
	v_lshlrev_b64 v[6:7], s20, v[25:26]
	s_add_u32 s20, s20, 8
	s_addc_u32 s21, s21, 0
	v_or_b32_e32 v12, v6, v12
	s_cmp_lg_u32 s24, s22
	v_or_b32_e32 v13, v7, v13
	s_cbranch_scc1 .LBB6_1369
	s_branch .LBB6_1372
.LBB6_1370:                             ;   in Loop: Header=BB6_1351 Depth=1
                                        ; implicit-def: $sgpr15
	s_branch .LBB6_1373
.LBB6_1371:                             ;   in Loop: Header=BB6_1351 Depth=1
	v_mov_b32_e32 v12, 0
	v_mov_b32_e32 v13, 0
.LBB6_1372:                             ;   in Loop: Header=BB6_1351 Depth=1
	s_mov_b32 s15, 0
	s_cbranch_execnz .LBB6_1374
.LBB6_1373:                             ;   in Loop: Header=BB6_1351 Depth=1
	global_load_dwordx2 v[12:13], v26, s[4:5]
	s_add_i32 s15, s24, -8
	s_add_u32 s4, s4, 8
	s_addc_u32 s5, s5, 0
.LBB6_1374:                             ;   in Loop: Header=BB6_1351 Depth=1
	s_cmp_gt_u32 s15, 7
	s_cbranch_scc1 .LBB6_1378
; %bb.1375:                             ;   in Loop: Header=BB6_1351 Depth=1
	s_cmp_eq_u32 s15, 0
	s_cbranch_scc1 .LBB6_1379
; %bb.1376:                             ;   in Loop: Header=BB6_1351 Depth=1
	v_mov_b32_e32 v14, 0
	s_mov_b64 s[20:21], 0
	v_mov_b32_e32 v15, 0
	s_mov_b64 s[22:23], 0
.LBB6_1377:                             ;   Parent Loop BB6_1351 Depth=1
                                        ; =>  This Inner Loop Header: Depth=2
	s_add_u32 s24, s4, s22
	s_addc_u32 s25, s5, s23
	global_load_ubyte v6, v26, s[24:25]
	s_add_u32 s22, s22, 1
	s_addc_u32 s23, s23, 0
	s_waitcnt vmcnt(0)
	v_and_b32_e32 v25, 0xffff, v6
	v_lshlrev_b64 v[6:7], s20, v[25:26]
	s_add_u32 s20, s20, 8
	s_addc_u32 s21, s21, 0
	v_or_b32_e32 v14, v6, v14
	s_cmp_lg_u32 s15, s22
	v_or_b32_e32 v15, v7, v15
	s_cbranch_scc1 .LBB6_1377
	s_branch .LBB6_1380
.LBB6_1378:                             ;   in Loop: Header=BB6_1351 Depth=1
                                        ; implicit-def: $vgpr14_vgpr15
                                        ; implicit-def: $sgpr24
	s_branch .LBB6_1381
.LBB6_1379:                             ;   in Loop: Header=BB6_1351 Depth=1
	v_mov_b32_e32 v14, 0
	v_mov_b32_e32 v15, 0
.LBB6_1380:                             ;   in Loop: Header=BB6_1351 Depth=1
	s_mov_b32 s24, 0
	s_cbranch_execnz .LBB6_1382
.LBB6_1381:                             ;   in Loop: Header=BB6_1351 Depth=1
	global_load_dwordx2 v[14:15], v26, s[4:5]
	s_add_i32 s24, s15, -8
	s_add_u32 s4, s4, 8
	s_addc_u32 s5, s5, 0
.LBB6_1382:                             ;   in Loop: Header=BB6_1351 Depth=1
	s_cmp_gt_u32 s24, 7
	s_cbranch_scc1 .LBB6_1386
; %bb.1383:                             ;   in Loop: Header=BB6_1351 Depth=1
	s_cmp_eq_u32 s24, 0
	s_cbranch_scc1 .LBB6_1387
; %bb.1384:                             ;   in Loop: Header=BB6_1351 Depth=1
	v_mov_b32_e32 v16, 0
	s_mov_b64 s[20:21], 0
	v_mov_b32_e32 v17, 0
	s_mov_b64 s[22:23], 0
.LBB6_1385:                             ;   Parent Loop BB6_1351 Depth=1
                                        ; =>  This Inner Loop Header: Depth=2
	s_add_u32 s26, s4, s22
	s_addc_u32 s27, s5, s23
	global_load_ubyte v6, v26, s[26:27]
	s_add_u32 s22, s22, 1
	s_addc_u32 s23, s23, 0
	s_waitcnt vmcnt(0)
	v_and_b32_e32 v25, 0xffff, v6
	v_lshlrev_b64 v[6:7], s20, v[25:26]
	s_add_u32 s20, s20, 8
	s_addc_u32 s21, s21, 0
	v_or_b32_e32 v16, v6, v16
	s_cmp_lg_u32 s24, s22
	v_or_b32_e32 v17, v7, v17
	s_cbranch_scc1 .LBB6_1385
	s_branch .LBB6_1388
.LBB6_1386:                             ;   in Loop: Header=BB6_1351 Depth=1
                                        ; implicit-def: $sgpr15
	s_branch .LBB6_1389
.LBB6_1387:                             ;   in Loop: Header=BB6_1351 Depth=1
	v_mov_b32_e32 v16, 0
	v_mov_b32_e32 v17, 0
.LBB6_1388:                             ;   in Loop: Header=BB6_1351 Depth=1
	s_mov_b32 s15, 0
	s_cbranch_execnz .LBB6_1390
.LBB6_1389:                             ;   in Loop: Header=BB6_1351 Depth=1
	global_load_dwordx2 v[16:17], v26, s[4:5]
	s_add_i32 s15, s24, -8
	s_add_u32 s4, s4, 8
	s_addc_u32 s5, s5, 0
.LBB6_1390:                             ;   in Loop: Header=BB6_1351 Depth=1
	s_cmp_gt_u32 s15, 7
	s_cbranch_scc1 .LBB6_1394
; %bb.1391:                             ;   in Loop: Header=BB6_1351 Depth=1
	s_cmp_eq_u32 s15, 0
	s_cbranch_scc1 .LBB6_1395
; %bb.1392:                             ;   in Loop: Header=BB6_1351 Depth=1
	v_mov_b32_e32 v18, 0
	s_mov_b64 s[20:21], 0
	v_mov_b32_e32 v19, 0
	s_mov_b64 s[22:23], 0
.LBB6_1393:                             ;   Parent Loop BB6_1351 Depth=1
                                        ; =>  This Inner Loop Header: Depth=2
	s_add_u32 s24, s4, s22
	s_addc_u32 s25, s5, s23
	global_load_ubyte v6, v26, s[24:25]
	s_add_u32 s22, s22, 1
	s_addc_u32 s23, s23, 0
	s_waitcnt vmcnt(0)
	v_and_b32_e32 v25, 0xffff, v6
	v_lshlrev_b64 v[6:7], s20, v[25:26]
	s_add_u32 s20, s20, 8
	s_addc_u32 s21, s21, 0
	v_or_b32_e32 v18, v6, v18
	s_cmp_lg_u32 s15, s22
	v_or_b32_e32 v19, v7, v19
	s_cbranch_scc1 .LBB6_1393
	s_branch .LBB6_1396
.LBB6_1394:                             ;   in Loop: Header=BB6_1351 Depth=1
                                        ; implicit-def: $vgpr18_vgpr19
                                        ; implicit-def: $sgpr24
	s_branch .LBB6_1397
.LBB6_1395:                             ;   in Loop: Header=BB6_1351 Depth=1
	v_mov_b32_e32 v18, 0
	v_mov_b32_e32 v19, 0
.LBB6_1396:                             ;   in Loop: Header=BB6_1351 Depth=1
	s_mov_b32 s24, 0
	s_cbranch_execnz .LBB6_1398
.LBB6_1397:                             ;   in Loop: Header=BB6_1351 Depth=1
	global_load_dwordx2 v[18:19], v26, s[4:5]
	s_add_i32 s24, s15, -8
	s_add_u32 s4, s4, 8
	s_addc_u32 s5, s5, 0
.LBB6_1398:                             ;   in Loop: Header=BB6_1351 Depth=1
	s_cmp_gt_u32 s24, 7
	s_cbranch_scc1 .LBB6_1402
; %bb.1399:                             ;   in Loop: Header=BB6_1351 Depth=1
	s_cmp_eq_u32 s24, 0
	s_cbranch_scc1 .LBB6_1403
; %bb.1400:                             ;   in Loop: Header=BB6_1351 Depth=1
	v_mov_b32_e32 v20, 0
	s_mov_b64 s[20:21], 0
	v_mov_b32_e32 v21, 0
	s_mov_b64 s[22:23], s[4:5]
.LBB6_1401:                             ;   Parent Loop BB6_1351 Depth=1
                                        ; =>  This Inner Loop Header: Depth=2
	global_load_ubyte v6, v26, s[22:23]
	s_add_i32 s24, s24, -1
	s_waitcnt vmcnt(0)
	v_and_b32_e32 v25, 0xffff, v6
	v_lshlrev_b64 v[6:7], s20, v[25:26]
	s_add_u32 s20, s20, 8
	s_addc_u32 s21, s21, 0
	s_add_u32 s22, s22, 1
	s_addc_u32 s23, s23, 0
	v_or_b32_e32 v20, v6, v20
	s_cmp_lg_u32 s24, 0
	v_or_b32_e32 v21, v7, v21
	s_cbranch_scc1 .LBB6_1401
	s_branch .LBB6_1404
.LBB6_1402:                             ;   in Loop: Header=BB6_1351 Depth=1
	s_branch .LBB6_1405
.LBB6_1403:                             ;   in Loop: Header=BB6_1351 Depth=1
	v_mov_b32_e32 v20, 0
	v_mov_b32_e32 v21, 0
.LBB6_1404:                             ;   in Loop: Header=BB6_1351 Depth=1
	s_cbranch_execnz .LBB6_1406
.LBB6_1405:                             ;   in Loop: Header=BB6_1351 Depth=1
	global_load_dwordx2 v[20:21], v26, s[4:5]
.LBB6_1406:                             ;   in Loop: Header=BB6_1351 Depth=1
	v_readfirstlane_b32 s4, v32
	v_mov_b32_e32 v6, 0
	v_mov_b32_e32 v7, 0
	v_cmp_eq_u32_e64 s[4:5], s4, v32
	s_and_saveexec_b64 s[20:21], s[4:5]
	s_cbranch_execz .LBB6_1412
; %bb.1407:                             ;   in Loop: Header=BB6_1351 Depth=1
	global_load_dwordx2 v[24:25], v26, s[6:7] offset:24 glc
	s_waitcnt vmcnt(0)
	buffer_wbinvl1_vol
	global_load_dwordx2 v[6:7], v26, s[6:7] offset:40
	global_load_dwordx2 v[22:23], v26, s[6:7]
	s_waitcnt vmcnt(1)
	v_and_b32_e32 v6, v6, v24
	v_and_b32_e32 v7, v7, v25
	v_mul_lo_u32 v7, v7, 24
	v_mul_hi_u32 v27, v6, 24
	v_mul_lo_u32 v6, v6, 24
	v_add_u32_e32 v7, v27, v7
	s_waitcnt vmcnt(0)
	v_add_co_u32_e32 v6, vcc, v22, v6
	v_addc_co_u32_e32 v7, vcc, v23, v7, vcc
	global_load_dwordx2 v[22:23], v[6:7], off glc
	s_waitcnt vmcnt(0)
	global_atomic_cmpswap_x2 v[6:7], v26, v[22:25], s[6:7] offset:24 glc
	s_waitcnt vmcnt(0)
	buffer_wbinvl1_vol
	v_cmp_ne_u64_e32 vcc, v[6:7], v[24:25]
	s_and_saveexec_b64 s[22:23], vcc
	s_cbranch_execz .LBB6_1411
; %bb.1408:                             ;   in Loop: Header=BB6_1351 Depth=1
	s_mov_b64 s[24:25], 0
.LBB6_1409:                             ;   Parent Loop BB6_1351 Depth=1
                                        ; =>  This Inner Loop Header: Depth=2
	s_sleep 1
	global_load_dwordx2 v[22:23], v26, s[6:7] offset:40
	global_load_dwordx2 v[27:28], v26, s[6:7]
	v_mov_b32_e32 v25, v7
	v_mov_b32_e32 v24, v6
	s_waitcnt vmcnt(1)
	v_and_b32_e32 v6, v22, v24
	s_waitcnt vmcnt(0)
	v_mad_u64_u32 v[6:7], s[26:27], v6, 24, v[27:28]
	v_and_b32_e32 v22, v23, v25
	v_mad_u64_u32 v[22:23], s[26:27], v22, 24, v[7:8]
	v_mov_b32_e32 v7, v22
	global_load_dwordx2 v[22:23], v[6:7], off glc
	s_waitcnt vmcnt(0)
	global_atomic_cmpswap_x2 v[6:7], v26, v[22:25], s[6:7] offset:24 glc
	s_waitcnt vmcnt(0)
	buffer_wbinvl1_vol
	v_cmp_eq_u64_e32 vcc, v[6:7], v[24:25]
	s_or_b64 s[24:25], vcc, s[24:25]
	s_andn2_b64 exec, exec, s[24:25]
	s_cbranch_execnz .LBB6_1409
; %bb.1410:                             ;   in Loop: Header=BB6_1351 Depth=1
	s_or_b64 exec, exec, s[24:25]
.LBB6_1411:                             ;   in Loop: Header=BB6_1351 Depth=1
	s_or_b64 exec, exec, s[22:23]
.LBB6_1412:                             ;   in Loop: Header=BB6_1351 Depth=1
	s_or_b64 exec, exec, s[20:21]
	global_load_dwordx2 v[27:28], v26, s[6:7] offset:40
	global_load_dwordx4 v[22:25], v26, s[6:7]
	v_readfirstlane_b32 s20, v6
	v_readfirstlane_b32 s21, v7
	s_mov_b64 s[22:23], exec
	s_waitcnt vmcnt(1)
	v_readfirstlane_b32 s24, v27
	v_readfirstlane_b32 s25, v28
	s_and_b64 s[24:25], s[20:21], s[24:25]
	s_mul_i32 s15, s25, 24
	s_mul_hi_u32 s26, s24, 24
	s_mul_i32 s27, s24, 24
	s_add_i32 s15, s26, s15
	v_mov_b32_e32 v6, s15
	s_waitcnt vmcnt(0)
	v_add_co_u32_e32 v27, vcc, s27, v22
	v_addc_co_u32_e32 v28, vcc, v23, v6, vcc
	s_and_saveexec_b64 s[26:27], s[4:5]
	s_cbranch_execz .LBB6_1414
; %bb.1413:                             ;   in Loop: Header=BB6_1351 Depth=1
	v_mov_b32_e32 v6, s22
	v_mov_b32_e32 v7, s23
	global_store_dwordx4 v[27:28], v[6:9], off offset:8
.LBB6_1414:                             ;   in Loop: Header=BB6_1351 Depth=1
	s_or_b64 exec, exec, s[26:27]
	s_lshl_b64 s[22:23], s[24:25], 12
	v_mov_b32_e32 v6, s23
	v_add_co_u32_e32 v24, vcc, s22, v24
	v_addc_co_u32_e32 v30, vcc, v25, v6, vcc
	v_cmp_gt_u64_e64 vcc, s[16:17], 56
	v_or_b32_e32 v7, v0, v29
	s_lshl_b32 s15, s18, 2
	v_cndmask_b32_e32 v0, v7, v0, vcc
	s_add_i32 s15, s15, 28
	v_or_b32_e32 v6, 0, v1
	s_and_b32 s15, s15, 0x1e0
	v_and_b32_e32 v0, 0xffffff1f, v0
	v_cndmask_b32_e32 v1, v6, v1, vcc
	v_or_b32_e32 v0, s15, v0
	v_readfirstlane_b32 s22, v24
	v_readfirstlane_b32 s23, v30
	s_nop 4
	global_store_dwordx4 v31, v[0:3], s[22:23]
	global_store_dwordx4 v31, v[10:13], s[22:23] offset:16
	global_store_dwordx4 v31, v[14:17], s[22:23] offset:32
	;; [unrolled: 1-line block ×3, first 2 shown]
	s_and_saveexec_b64 s[22:23], s[4:5]
	s_cbranch_execz .LBB6_1422
; %bb.1415:                             ;   in Loop: Header=BB6_1351 Depth=1
	global_load_dwordx2 v[12:13], v26, s[6:7] offset:32 glc
	global_load_dwordx2 v[0:1], v26, s[6:7] offset:40
	v_mov_b32_e32 v10, s20
	v_mov_b32_e32 v11, s21
	s_waitcnt vmcnt(0)
	v_readfirstlane_b32 s24, v0
	v_readfirstlane_b32 s25, v1
	s_and_b64 s[24:25], s[24:25], s[20:21]
	s_mul_i32 s15, s25, 24
	s_mul_hi_u32 s25, s24, 24
	s_mul_i32 s24, s24, 24
	s_add_i32 s15, s25, s15
	v_mov_b32_e32 v0, s15
	v_add_co_u32_e32 v6, vcc, s24, v22
	v_addc_co_u32_e32 v7, vcc, v23, v0, vcc
	global_store_dwordx2 v[6:7], v[12:13], off
	s_waitcnt vmcnt(0)
	global_atomic_cmpswap_x2 v[2:3], v26, v[10:13], s[6:7] offset:32 glc
	s_waitcnt vmcnt(0)
	v_cmp_ne_u64_e32 vcc, v[2:3], v[12:13]
	s_and_saveexec_b64 s[24:25], vcc
	s_cbranch_execz .LBB6_1418
; %bb.1416:                             ;   in Loop: Header=BB6_1351 Depth=1
	s_mov_b64 s[26:27], 0
.LBB6_1417:                             ;   Parent Loop BB6_1351 Depth=1
                                        ; =>  This Inner Loop Header: Depth=2
	s_sleep 1
	global_store_dwordx2 v[6:7], v[2:3], off
	v_mov_b32_e32 v0, s20
	v_mov_b32_e32 v1, s21
	s_waitcnt vmcnt(0)
	global_atomic_cmpswap_x2 v[0:1], v26, v[0:3], s[6:7] offset:32 glc
	s_waitcnt vmcnt(0)
	v_cmp_eq_u64_e32 vcc, v[0:1], v[2:3]
	v_mov_b32_e32 v3, v1
	s_or_b64 s[26:27], vcc, s[26:27]
	v_mov_b32_e32 v2, v0
	s_andn2_b64 exec, exec, s[26:27]
	s_cbranch_execnz .LBB6_1417
.LBB6_1418:                             ;   in Loop: Header=BB6_1351 Depth=1
	s_or_b64 exec, exec, s[24:25]
	global_load_dwordx2 v[0:1], v26, s[6:7] offset:16
	s_mov_b64 s[26:27], exec
	v_mbcnt_lo_u32_b32 v2, s26, 0
	v_mbcnt_hi_u32_b32 v2, s27, v2
	v_cmp_eq_u32_e32 vcc, 0, v2
	s_and_saveexec_b64 s[24:25], vcc
	s_cbranch_execz .LBB6_1420
; %bb.1419:                             ;   in Loop: Header=BB6_1351 Depth=1
	s_bcnt1_i32_b64 s15, s[26:27]
	v_mov_b32_e32 v25, s15
	s_waitcnt vmcnt(0)
	global_atomic_add_x2 v[0:1], v[25:26], off offset:8
.LBB6_1420:                             ;   in Loop: Header=BB6_1351 Depth=1
	s_or_b64 exec, exec, s[24:25]
	s_waitcnt vmcnt(0)
	global_load_dwordx2 v[2:3], v[0:1], off offset:16
	s_waitcnt vmcnt(0)
	v_cmp_eq_u64_e32 vcc, 0, v[2:3]
	s_cbranch_vccnz .LBB6_1422
; %bb.1421:                             ;   in Loop: Header=BB6_1351 Depth=1
	global_load_dword v25, v[0:1], off offset:24
	s_waitcnt vmcnt(0)
	v_and_b32_e32 v0, 0xffffff, v25
	v_readfirstlane_b32 m0, v0
	global_store_dwordx2 v[2:3], v[25:26], off
	s_sendmsg sendmsg(MSG_INTERRUPT)
.LBB6_1422:                             ;   in Loop: Header=BB6_1351 Depth=1
	s_or_b64 exec, exec, s[22:23]
	v_add_co_u32_e32 v0, vcc, v24, v31
	v_addc_co_u32_e32 v1, vcc, 0, v30, vcc
	s_branch .LBB6_1426
.LBB6_1423:                             ;   in Loop: Header=BB6_1426 Depth=2
	s_or_b64 exec, exec, s[22:23]
	v_readfirstlane_b32 s15, v2
	s_cmp_eq_u32 s15, 0
	s_cbranch_scc1 .LBB6_1425
; %bb.1424:                             ;   in Loop: Header=BB6_1426 Depth=2
	s_sleep 1
	s_cbranch_execnz .LBB6_1426
	s_branch .LBB6_1428
.LBB6_1425:                             ;   in Loop: Header=BB6_1351 Depth=1
	s_branch .LBB6_1428
.LBB6_1426:                             ;   Parent Loop BB6_1351 Depth=1
                                        ; =>  This Inner Loop Header: Depth=2
	v_mov_b32_e32 v2, 1
	s_and_saveexec_b64 s[22:23], s[4:5]
	s_cbranch_execz .LBB6_1423
; %bb.1427:                             ;   in Loop: Header=BB6_1426 Depth=2
	global_load_dword v2, v[27:28], off offset:20 glc
	s_waitcnt vmcnt(0)
	buffer_wbinvl1_vol
	v_and_b32_e32 v2, 1, v2
	s_branch .LBB6_1423
.LBB6_1428:                             ;   in Loop: Header=BB6_1351 Depth=1
	global_load_dwordx4 v[0:3], v[0:1], off
	s_and_saveexec_b64 s[22:23], s[4:5]
	s_cbranch_execz .LBB6_1350
; %bb.1429:                             ;   in Loop: Header=BB6_1351 Depth=1
	global_load_dwordx2 v[2:3], v26, s[6:7] offset:40
	global_load_dwordx2 v[6:7], v26, s[6:7] offset:24 glc
	global_load_dwordx2 v[13:14], v26, s[6:7]
	v_mov_b32_e32 v11, s21
	s_waitcnt vmcnt(2)
	v_add_co_u32_e32 v12, vcc, 1, v2
	v_addc_co_u32_e32 v15, vcc, 0, v3, vcc
	v_add_co_u32_e32 v10, vcc, s20, v12
	v_addc_co_u32_e32 v11, vcc, v15, v11, vcc
	v_cmp_eq_u64_e32 vcc, 0, v[10:11]
	v_cndmask_b32_e32 v11, v11, v15, vcc
	v_cndmask_b32_e32 v10, v10, v12, vcc
	v_and_b32_e32 v3, v11, v3
	v_and_b32_e32 v2, v10, v2
	v_mul_lo_u32 v3, v3, 24
	v_mul_hi_u32 v15, v2, 24
	v_mul_lo_u32 v2, v2, 24
	s_waitcnt vmcnt(1)
	v_mov_b32_e32 v12, v6
	v_add_u32_e32 v3, v15, v3
	s_waitcnt vmcnt(0)
	v_add_co_u32_e32 v2, vcc, v13, v2
	v_addc_co_u32_e32 v3, vcc, v14, v3, vcc
	global_store_dwordx2 v[2:3], v[6:7], off
	v_mov_b32_e32 v13, v7
	s_waitcnt vmcnt(0)
	global_atomic_cmpswap_x2 v[12:13], v26, v[10:13], s[6:7] offset:24 glc
	s_waitcnt vmcnt(0)
	v_cmp_ne_u64_e32 vcc, v[12:13], v[6:7]
	s_and_b64 exec, exec, vcc
	s_cbranch_execz .LBB6_1350
; %bb.1430:                             ;   in Loop: Header=BB6_1351 Depth=1
	s_mov_b64 s[4:5], 0
.LBB6_1431:                             ;   Parent Loop BB6_1351 Depth=1
                                        ; =>  This Inner Loop Header: Depth=2
	s_sleep 1
	global_store_dwordx2 v[2:3], v[12:13], off
	s_waitcnt vmcnt(0)
	global_atomic_cmpswap_x2 v[6:7], v26, v[10:13], s[6:7] offset:24 glc
	s_waitcnt vmcnt(0)
	v_cmp_eq_u64_e32 vcc, v[6:7], v[12:13]
	v_mov_b32_e32 v13, v7
	s_or_b64 s[4:5], vcc, s[4:5]
	v_mov_b32_e32 v12, v6
	s_andn2_b64 exec, exec, s[4:5]
	s_cbranch_execnz .LBB6_1431
	s_branch .LBB6_1350
.LBB6_1432:
	s_branch .LBB6_1460
.LBB6_1433:
                                        ; implicit-def: $vgpr0_vgpr1
	s_cbranch_execz .LBB6_1460
; %bb.1434:
	v_readfirstlane_b32 s4, v32
	v_mov_b32_e32 v7, 0
	v_mov_b32_e32 v8, 0
	v_cmp_eq_u32_e64 s[4:5], s4, v32
	s_and_saveexec_b64 s[10:11], s[4:5]
	s_cbranch_execz .LBB6_1440
; %bb.1435:
	s_waitcnt vmcnt(0)
	v_mov_b32_e32 v0, 0
	global_load_dwordx2 v[9:10], v0, s[6:7] offset:24 glc
	s_waitcnt vmcnt(0)
	buffer_wbinvl1_vol
	global_load_dwordx2 v[1:2], v0, s[6:7] offset:40
	global_load_dwordx2 v[6:7], v0, s[6:7]
	s_waitcnt vmcnt(1)
	v_and_b32_e32 v1, v1, v9
	v_and_b32_e32 v2, v2, v10
	v_mul_lo_u32 v2, v2, 24
	v_mul_hi_u32 v3, v1, 24
	v_mul_lo_u32 v1, v1, 24
	v_add_u32_e32 v2, v3, v2
	s_waitcnt vmcnt(0)
	v_add_co_u32_e32 v1, vcc, v6, v1
	v_addc_co_u32_e32 v2, vcc, v7, v2, vcc
	global_load_dwordx2 v[7:8], v[1:2], off glc
	s_waitcnt vmcnt(0)
	global_atomic_cmpswap_x2 v[7:8], v0, v[7:10], s[6:7] offset:24 glc
	s_waitcnt vmcnt(0)
	buffer_wbinvl1_vol
	v_cmp_ne_u64_e32 vcc, v[7:8], v[9:10]
	s_and_saveexec_b64 s[16:17], vcc
	s_cbranch_execz .LBB6_1439
; %bb.1436:
	s_mov_b64 s[18:19], 0
.LBB6_1437:                             ; =>This Inner Loop Header: Depth=1
	s_sleep 1
	global_load_dwordx2 v[1:2], v0, s[6:7] offset:40
	global_load_dwordx2 v[11:12], v0, s[6:7]
	v_mov_b32_e32 v10, v8
	v_mov_b32_e32 v9, v7
	s_waitcnt vmcnt(1)
	v_and_b32_e32 v1, v1, v9
	s_waitcnt vmcnt(0)
	v_mad_u64_u32 v[6:7], s[20:21], v1, 24, v[11:12]
	v_and_b32_e32 v2, v2, v10
	v_mov_b32_e32 v1, v7
	v_mad_u64_u32 v[1:2], s[20:21], v2, 24, v[1:2]
	v_mov_b32_e32 v7, v1
	global_load_dwordx2 v[7:8], v[6:7], off glc
	s_waitcnt vmcnt(0)
	global_atomic_cmpswap_x2 v[7:8], v0, v[7:10], s[6:7] offset:24 glc
	s_waitcnt vmcnt(0)
	buffer_wbinvl1_vol
	v_cmp_eq_u64_e32 vcc, v[7:8], v[9:10]
	s_or_b64 s[18:19], vcc, s[18:19]
	s_andn2_b64 exec, exec, s[18:19]
	s_cbranch_execnz .LBB6_1437
; %bb.1438:
	s_or_b64 exec, exec, s[18:19]
.LBB6_1439:
	s_or_b64 exec, exec, s[16:17]
.LBB6_1440:
	s_or_b64 exec, exec, s[10:11]
	v_mov_b32_e32 v6, 0
	global_load_dwordx2 v[9:10], v6, s[6:7] offset:40
	global_load_dwordx4 v[0:3], v6, s[6:7]
	v_readfirstlane_b32 s10, v7
	v_readfirstlane_b32 s11, v8
	s_mov_b64 s[16:17], exec
	s_waitcnt vmcnt(1)
	v_readfirstlane_b32 s18, v9
	v_readfirstlane_b32 s19, v10
	s_and_b64 s[18:19], s[10:11], s[18:19]
	s_mul_i32 s15, s19, 24
	s_mul_hi_u32 s20, s18, 24
	s_mul_i32 s21, s18, 24
	s_add_i32 s15, s20, s15
	v_mov_b32_e32 v7, s15
	s_waitcnt vmcnt(0)
	v_add_co_u32_e32 v8, vcc, s21, v0
	v_addc_co_u32_e32 v9, vcc, v1, v7, vcc
	s_and_saveexec_b64 s[20:21], s[4:5]
	s_cbranch_execz .LBB6_1442
; %bb.1441:
	v_mov_b32_e32 v10, s16
	v_mov_b32_e32 v11, s17
	;; [unrolled: 1-line block ×4, first 2 shown]
	global_store_dwordx4 v[8:9], v[10:13], off offset:8
.LBB6_1442:
	s_or_b64 exec, exec, s[20:21]
	s_lshl_b64 s[16:17], s[18:19], 12
	v_mov_b32_e32 v7, s17
	v_add_co_u32_e32 v2, vcc, s16, v2
	v_addc_co_u32_e32 v3, vcc, v3, v7, vcc
	s_movk_i32 s15, 0xff1f
	v_and_or_b32 v4, v4, s15, 32
	v_add_co_u32_e32 v10, vcc, v2, v31
	s_mov_b32 s16, 0
	v_mov_b32_e32 v7, v6
	v_readfirstlane_b32 s20, v2
	v_readfirstlane_b32 s21, v3
	v_addc_co_u32_e32 v11, vcc, 0, v3, vcc
	s_mov_b32 s17, s16
	s_mov_b32 s18, s16
	;; [unrolled: 1-line block ×3, first 2 shown]
	s_nop 0
	global_store_dwordx4 v31, v[4:7], s[20:21]
	v_mov_b32_e32 v2, s16
	v_mov_b32_e32 v3, s17
	;; [unrolled: 1-line block ×4, first 2 shown]
	global_store_dwordx4 v31, v[2:5], s[20:21] offset:16
	global_store_dwordx4 v31, v[2:5], s[20:21] offset:32
	;; [unrolled: 1-line block ×3, first 2 shown]
	s_and_saveexec_b64 s[16:17], s[4:5]
	s_cbranch_execz .LBB6_1450
; %bb.1443:
	v_mov_b32_e32 v6, 0
	global_load_dwordx2 v[14:15], v6, s[6:7] offset:32 glc
	global_load_dwordx2 v[2:3], v6, s[6:7] offset:40
	v_mov_b32_e32 v12, s10
	v_mov_b32_e32 v13, s11
	s_waitcnt vmcnt(0)
	v_readfirstlane_b32 s18, v2
	v_readfirstlane_b32 s19, v3
	s_and_b64 s[18:19], s[18:19], s[10:11]
	s_mul_i32 s15, s19, 24
	s_mul_hi_u32 s19, s18, 24
	s_mul_i32 s18, s18, 24
	s_add_i32 s15, s19, s15
	v_mov_b32_e32 v2, s15
	v_add_co_u32_e32 v4, vcc, s18, v0
	v_addc_co_u32_e32 v5, vcc, v1, v2, vcc
	global_store_dwordx2 v[4:5], v[14:15], off
	s_waitcnt vmcnt(0)
	global_atomic_cmpswap_x2 v[2:3], v6, v[12:15], s[6:7] offset:32 glc
	s_waitcnt vmcnt(0)
	v_cmp_ne_u64_e32 vcc, v[2:3], v[14:15]
	s_and_saveexec_b64 s[18:19], vcc
	s_cbranch_execz .LBB6_1446
; %bb.1444:
	s_mov_b64 s[20:21], 0
.LBB6_1445:                             ; =>This Inner Loop Header: Depth=1
	s_sleep 1
	global_store_dwordx2 v[4:5], v[2:3], off
	v_mov_b32_e32 v0, s10
	v_mov_b32_e32 v1, s11
	s_waitcnt vmcnt(0)
	global_atomic_cmpswap_x2 v[0:1], v6, v[0:3], s[6:7] offset:32 glc
	s_waitcnt vmcnt(0)
	v_cmp_eq_u64_e32 vcc, v[0:1], v[2:3]
	v_mov_b32_e32 v3, v1
	s_or_b64 s[20:21], vcc, s[20:21]
	v_mov_b32_e32 v2, v0
	s_andn2_b64 exec, exec, s[20:21]
	s_cbranch_execnz .LBB6_1445
.LBB6_1446:
	s_or_b64 exec, exec, s[18:19]
	v_mov_b32_e32 v3, 0
	global_load_dwordx2 v[0:1], v3, s[6:7] offset:16
	s_mov_b64 s[18:19], exec
	v_mbcnt_lo_u32_b32 v2, s18, 0
	v_mbcnt_hi_u32_b32 v2, s19, v2
	v_cmp_eq_u32_e32 vcc, 0, v2
	s_and_saveexec_b64 s[20:21], vcc
	s_cbranch_execz .LBB6_1448
; %bb.1447:
	s_bcnt1_i32_b64 s15, s[18:19]
	v_mov_b32_e32 v2, s15
	s_waitcnt vmcnt(0)
	global_atomic_add_x2 v[0:1], v[2:3], off offset:8
.LBB6_1448:
	s_or_b64 exec, exec, s[20:21]
	s_waitcnt vmcnt(0)
	global_load_dwordx2 v[2:3], v[0:1], off offset:16
	s_waitcnt vmcnt(0)
	v_cmp_eq_u64_e32 vcc, 0, v[2:3]
	s_cbranch_vccnz .LBB6_1450
; %bb.1449:
	global_load_dword v0, v[0:1], off offset:24
	v_mov_b32_e32 v1, 0
	s_waitcnt vmcnt(0)
	global_store_dwordx2 v[2:3], v[0:1], off
	v_and_b32_e32 v0, 0xffffff, v0
	v_readfirstlane_b32 m0, v0
	s_sendmsg sendmsg(MSG_INTERRUPT)
.LBB6_1450:
	s_or_b64 exec, exec, s[16:17]
	s_branch .LBB6_1454
.LBB6_1451:                             ;   in Loop: Header=BB6_1454 Depth=1
	s_or_b64 exec, exec, s[16:17]
	v_readfirstlane_b32 s15, v0
	s_cmp_eq_u32 s15, 0
	s_cbranch_scc1 .LBB6_1453
; %bb.1452:                             ;   in Loop: Header=BB6_1454 Depth=1
	s_sleep 1
	s_cbranch_execnz .LBB6_1454
	s_branch .LBB6_1456
.LBB6_1453:
	s_branch .LBB6_1456
.LBB6_1454:                             ; =>This Inner Loop Header: Depth=1
	v_mov_b32_e32 v0, 1
	s_and_saveexec_b64 s[16:17], s[4:5]
	s_cbranch_execz .LBB6_1451
; %bb.1455:                             ;   in Loop: Header=BB6_1454 Depth=1
	global_load_dword v0, v[8:9], off offset:20 glc
	s_waitcnt vmcnt(0)
	buffer_wbinvl1_vol
	v_and_b32_e32 v0, 1, v0
	s_branch .LBB6_1451
.LBB6_1456:
	global_load_dwordx2 v[0:1], v[10:11], off
	s_and_saveexec_b64 s[16:17], s[4:5]
	s_cbranch_execz .LBB6_1459
; %bb.1457:
	v_mov_b32_e32 v8, 0
	global_load_dwordx2 v[4:5], v8, s[6:7] offset:40
	global_load_dwordx2 v[9:10], v8, s[6:7] offset:24 glc
	global_load_dwordx2 v[6:7], v8, s[6:7]
	v_mov_b32_e32 v3, s11
	s_mov_b64 s[4:5], 0
	s_waitcnt vmcnt(2)
	v_add_co_u32_e32 v11, vcc, 1, v4
	v_addc_co_u32_e32 v12, vcc, 0, v5, vcc
	v_add_co_u32_e32 v2, vcc, s10, v11
	v_addc_co_u32_e32 v3, vcc, v12, v3, vcc
	v_cmp_eq_u64_e32 vcc, 0, v[2:3]
	v_cndmask_b32_e32 v3, v3, v12, vcc
	v_cndmask_b32_e32 v2, v2, v11, vcc
	v_and_b32_e32 v5, v3, v5
	v_and_b32_e32 v4, v2, v4
	v_mul_lo_u32 v5, v5, 24
	v_mul_hi_u32 v11, v4, 24
	v_mul_lo_u32 v12, v4, 24
	s_waitcnt vmcnt(1)
	v_mov_b32_e32 v4, v9
	v_add_u32_e32 v5, v11, v5
	s_waitcnt vmcnt(0)
	v_add_co_u32_e32 v6, vcc, v6, v12
	v_addc_co_u32_e32 v7, vcc, v7, v5, vcc
	global_store_dwordx2 v[6:7], v[9:10], off
	v_mov_b32_e32 v5, v10
	s_waitcnt vmcnt(0)
	global_atomic_cmpswap_x2 v[4:5], v8, v[2:5], s[6:7] offset:24 glc
	s_waitcnt vmcnt(0)
	v_cmp_ne_u64_e32 vcc, v[4:5], v[9:10]
	s_and_b64 exec, exec, vcc
	s_cbranch_execz .LBB6_1459
.LBB6_1458:                             ; =>This Inner Loop Header: Depth=1
	s_sleep 1
	global_store_dwordx2 v[6:7], v[4:5], off
	s_waitcnt vmcnt(0)
	global_atomic_cmpswap_x2 v[9:10], v8, v[2:5], s[6:7] offset:24 glc
	s_waitcnt vmcnt(0)
	v_cmp_eq_u64_e32 vcc, v[9:10], v[4:5]
	v_mov_b32_e32 v4, v9
	s_or_b64 s[4:5], vcc, s[4:5]
	v_mov_b32_e32 v5, v10
	s_andn2_b64 exec, exec, s[4:5]
	s_cbranch_execnz .LBB6_1458
.LBB6_1459:
	s_or_b64 exec, exec, s[16:17]
.LBB6_1460:
	s_getpc_b64 s[10:11]
	s_add_u32 s10, s10, .str.2@rel32@lo+4
	s_addc_u32 s11, s11, .str.2@rel32@hi+12
	s_cmp_lg_u64 s[10:11], 0
	s_cbranch_scc0 .LBB6_1545
; %bb.1461:
	s_waitcnt vmcnt(0)
	v_and_b32_e32 v6, -3, v0
	v_mov_b32_e32 v7, v1
	s_mov_b64 s[16:17], 13
	v_mov_b32_e32 v26, 0
	v_mov_b32_e32 v4, 2
	;; [unrolled: 1-line block ×3, first 2 shown]
	s_branch .LBB6_1463
.LBB6_1462:                             ;   in Loop: Header=BB6_1463 Depth=1
	s_or_b64 exec, exec, s[22:23]
	s_sub_u32 s16, s16, s18
	s_subb_u32 s17, s17, s19
	s_add_u32 s10, s10, s18
	s_addc_u32 s11, s11, s19
	s_cmp_lg_u64 s[16:17], 0
	s_cbranch_scc0 .LBB6_1544
.LBB6_1463:                             ; =>This Loop Header: Depth=1
                                        ;     Child Loop BB6_1466 Depth 2
                                        ;     Child Loop BB6_1473 Depth 2
	;; [unrolled: 1-line block ×11, first 2 shown]
	v_cmp_lt_u64_e64 s[4:5], s[16:17], 56
	v_cmp_gt_u64_e64 s[20:21], s[16:17], 7
	s_and_b64 s[4:5], s[4:5], exec
	s_cselect_b32 s19, s17, 0
	s_cselect_b32 s18, s16, 56
	s_and_b64 vcc, exec, s[20:21]
	s_cbranch_vccnz .LBB6_1468
; %bb.1464:                             ;   in Loop: Header=BB6_1463 Depth=1
	s_waitcnt vmcnt(0)
	v_mov_b32_e32 v8, 0
	s_cmp_eq_u64 s[16:17], 0
	v_mov_b32_e32 v9, 0
	s_mov_b64 s[4:5], 0
	s_cbranch_scc1 .LBB6_1467
; %bb.1465:                             ;   in Loop: Header=BB6_1463 Depth=1
	v_mov_b32_e32 v8, 0
	s_lshl_b64 s[20:21], s[18:19], 3
	s_mov_b64 s[22:23], 0
	v_mov_b32_e32 v9, 0
	s_mov_b64 s[24:25], s[10:11]
.LBB6_1466:                             ;   Parent Loop BB6_1463 Depth=1
                                        ; =>  This Inner Loop Header: Depth=2
	global_load_ubyte v2, v26, s[24:25]
	s_waitcnt vmcnt(0)
	v_and_b32_e32 v25, 0xffff, v2
	v_lshlrev_b64 v[2:3], s22, v[25:26]
	s_add_u32 s22, s22, 8
	s_addc_u32 s23, s23, 0
	s_add_u32 s24, s24, 1
	s_addc_u32 s25, s25, 0
	v_or_b32_e32 v8, v2, v8
	s_cmp_lg_u32 s20, s22
	v_or_b32_e32 v9, v3, v9
	s_cbranch_scc1 .LBB6_1466
.LBB6_1467:                             ;   in Loop: Header=BB6_1463 Depth=1
	s_mov_b32 s15, 0
	s_andn2_b64 vcc, exec, s[4:5]
	s_mov_b64 s[4:5], s[10:11]
	s_cbranch_vccz .LBB6_1469
	s_branch .LBB6_1470
.LBB6_1468:                             ;   in Loop: Header=BB6_1463 Depth=1
                                        ; implicit-def: $sgpr15
	s_mov_b64 s[4:5], s[10:11]
.LBB6_1469:                             ;   in Loop: Header=BB6_1463 Depth=1
	global_load_dwordx2 v[8:9], v26, s[10:11]
	s_add_i32 s15, s18, -8
	s_add_u32 s4, s10, 8
	s_addc_u32 s5, s11, 0
.LBB6_1470:                             ;   in Loop: Header=BB6_1463 Depth=1
	s_cmp_gt_u32 s15, 7
	s_cbranch_scc1 .LBB6_1474
; %bb.1471:                             ;   in Loop: Header=BB6_1463 Depth=1
	s_cmp_eq_u32 s15, 0
	s_cbranch_scc1 .LBB6_1475
; %bb.1472:                             ;   in Loop: Header=BB6_1463 Depth=1
	v_mov_b32_e32 v10, 0
	s_mov_b64 s[20:21], 0
	v_mov_b32_e32 v11, 0
	s_mov_b64 s[22:23], 0
.LBB6_1473:                             ;   Parent Loop BB6_1463 Depth=1
                                        ; =>  This Inner Loop Header: Depth=2
	s_add_u32 s24, s4, s22
	s_addc_u32 s25, s5, s23
	global_load_ubyte v2, v26, s[24:25]
	s_add_u32 s22, s22, 1
	s_addc_u32 s23, s23, 0
	s_waitcnt vmcnt(0)
	v_and_b32_e32 v25, 0xffff, v2
	v_lshlrev_b64 v[2:3], s20, v[25:26]
	s_add_u32 s20, s20, 8
	s_addc_u32 s21, s21, 0
	v_or_b32_e32 v10, v2, v10
	s_cmp_lg_u32 s15, s22
	v_or_b32_e32 v11, v3, v11
	s_cbranch_scc1 .LBB6_1473
	s_branch .LBB6_1476
.LBB6_1474:                             ;   in Loop: Header=BB6_1463 Depth=1
                                        ; implicit-def: $vgpr10_vgpr11
                                        ; implicit-def: $sgpr24
	s_branch .LBB6_1477
.LBB6_1475:                             ;   in Loop: Header=BB6_1463 Depth=1
	v_mov_b32_e32 v10, 0
	v_mov_b32_e32 v11, 0
.LBB6_1476:                             ;   in Loop: Header=BB6_1463 Depth=1
	s_mov_b32 s24, 0
	s_cbranch_execnz .LBB6_1478
.LBB6_1477:                             ;   in Loop: Header=BB6_1463 Depth=1
	global_load_dwordx2 v[10:11], v26, s[4:5]
	s_add_i32 s24, s15, -8
	s_add_u32 s4, s4, 8
	s_addc_u32 s5, s5, 0
.LBB6_1478:                             ;   in Loop: Header=BB6_1463 Depth=1
	s_cmp_gt_u32 s24, 7
	s_cbranch_scc1 .LBB6_1482
; %bb.1479:                             ;   in Loop: Header=BB6_1463 Depth=1
	s_cmp_eq_u32 s24, 0
	s_cbranch_scc1 .LBB6_1483
; %bb.1480:                             ;   in Loop: Header=BB6_1463 Depth=1
	v_mov_b32_e32 v12, 0
	s_mov_b64 s[20:21], 0
	v_mov_b32_e32 v13, 0
	s_mov_b64 s[22:23], 0
.LBB6_1481:                             ;   Parent Loop BB6_1463 Depth=1
                                        ; =>  This Inner Loop Header: Depth=2
	s_add_u32 s26, s4, s22
	s_addc_u32 s27, s5, s23
	global_load_ubyte v2, v26, s[26:27]
	s_add_u32 s22, s22, 1
	s_addc_u32 s23, s23, 0
	s_waitcnt vmcnt(0)
	v_and_b32_e32 v25, 0xffff, v2
	v_lshlrev_b64 v[2:3], s20, v[25:26]
	s_add_u32 s20, s20, 8
	s_addc_u32 s21, s21, 0
	v_or_b32_e32 v12, v2, v12
	s_cmp_lg_u32 s24, s22
	v_or_b32_e32 v13, v3, v13
	s_cbranch_scc1 .LBB6_1481
	s_branch .LBB6_1484
.LBB6_1482:                             ;   in Loop: Header=BB6_1463 Depth=1
                                        ; implicit-def: $sgpr15
	s_branch .LBB6_1485
.LBB6_1483:                             ;   in Loop: Header=BB6_1463 Depth=1
	v_mov_b32_e32 v12, 0
	v_mov_b32_e32 v13, 0
.LBB6_1484:                             ;   in Loop: Header=BB6_1463 Depth=1
	s_mov_b32 s15, 0
	s_cbranch_execnz .LBB6_1486
.LBB6_1485:                             ;   in Loop: Header=BB6_1463 Depth=1
	global_load_dwordx2 v[12:13], v26, s[4:5]
	s_add_i32 s15, s24, -8
	s_add_u32 s4, s4, 8
	s_addc_u32 s5, s5, 0
.LBB6_1486:                             ;   in Loop: Header=BB6_1463 Depth=1
	s_cmp_gt_u32 s15, 7
	s_cbranch_scc1 .LBB6_1490
; %bb.1487:                             ;   in Loop: Header=BB6_1463 Depth=1
	s_cmp_eq_u32 s15, 0
	s_cbranch_scc1 .LBB6_1491
; %bb.1488:                             ;   in Loop: Header=BB6_1463 Depth=1
	v_mov_b32_e32 v14, 0
	s_mov_b64 s[20:21], 0
	v_mov_b32_e32 v15, 0
	s_mov_b64 s[22:23], 0
.LBB6_1489:                             ;   Parent Loop BB6_1463 Depth=1
                                        ; =>  This Inner Loop Header: Depth=2
	s_add_u32 s24, s4, s22
	s_addc_u32 s25, s5, s23
	global_load_ubyte v2, v26, s[24:25]
	s_add_u32 s22, s22, 1
	s_addc_u32 s23, s23, 0
	s_waitcnt vmcnt(0)
	v_and_b32_e32 v25, 0xffff, v2
	v_lshlrev_b64 v[2:3], s20, v[25:26]
	s_add_u32 s20, s20, 8
	s_addc_u32 s21, s21, 0
	v_or_b32_e32 v14, v2, v14
	s_cmp_lg_u32 s15, s22
	v_or_b32_e32 v15, v3, v15
	s_cbranch_scc1 .LBB6_1489
	s_branch .LBB6_1492
.LBB6_1490:                             ;   in Loop: Header=BB6_1463 Depth=1
                                        ; implicit-def: $vgpr14_vgpr15
                                        ; implicit-def: $sgpr24
	s_branch .LBB6_1493
.LBB6_1491:                             ;   in Loop: Header=BB6_1463 Depth=1
	v_mov_b32_e32 v14, 0
	v_mov_b32_e32 v15, 0
.LBB6_1492:                             ;   in Loop: Header=BB6_1463 Depth=1
	s_mov_b32 s24, 0
	s_cbranch_execnz .LBB6_1494
.LBB6_1493:                             ;   in Loop: Header=BB6_1463 Depth=1
	global_load_dwordx2 v[14:15], v26, s[4:5]
	s_add_i32 s24, s15, -8
	s_add_u32 s4, s4, 8
	s_addc_u32 s5, s5, 0
.LBB6_1494:                             ;   in Loop: Header=BB6_1463 Depth=1
	s_cmp_gt_u32 s24, 7
	s_cbranch_scc1 .LBB6_1498
; %bb.1495:                             ;   in Loop: Header=BB6_1463 Depth=1
	s_cmp_eq_u32 s24, 0
	s_cbranch_scc1 .LBB6_1499
; %bb.1496:                             ;   in Loop: Header=BB6_1463 Depth=1
	v_mov_b32_e32 v16, 0
	s_mov_b64 s[20:21], 0
	v_mov_b32_e32 v17, 0
	s_mov_b64 s[22:23], 0
.LBB6_1497:                             ;   Parent Loop BB6_1463 Depth=1
                                        ; =>  This Inner Loop Header: Depth=2
	s_add_u32 s26, s4, s22
	s_addc_u32 s27, s5, s23
	global_load_ubyte v2, v26, s[26:27]
	s_add_u32 s22, s22, 1
	s_addc_u32 s23, s23, 0
	s_waitcnt vmcnt(0)
	v_and_b32_e32 v25, 0xffff, v2
	v_lshlrev_b64 v[2:3], s20, v[25:26]
	s_add_u32 s20, s20, 8
	s_addc_u32 s21, s21, 0
	v_or_b32_e32 v16, v2, v16
	s_cmp_lg_u32 s24, s22
	v_or_b32_e32 v17, v3, v17
	s_cbranch_scc1 .LBB6_1497
	s_branch .LBB6_1500
.LBB6_1498:                             ;   in Loop: Header=BB6_1463 Depth=1
                                        ; implicit-def: $sgpr15
	s_branch .LBB6_1501
.LBB6_1499:                             ;   in Loop: Header=BB6_1463 Depth=1
	v_mov_b32_e32 v16, 0
	v_mov_b32_e32 v17, 0
.LBB6_1500:                             ;   in Loop: Header=BB6_1463 Depth=1
	s_mov_b32 s15, 0
	s_cbranch_execnz .LBB6_1502
.LBB6_1501:                             ;   in Loop: Header=BB6_1463 Depth=1
	global_load_dwordx2 v[16:17], v26, s[4:5]
	s_add_i32 s15, s24, -8
	s_add_u32 s4, s4, 8
	s_addc_u32 s5, s5, 0
.LBB6_1502:                             ;   in Loop: Header=BB6_1463 Depth=1
	s_cmp_gt_u32 s15, 7
	s_cbranch_scc1 .LBB6_1506
; %bb.1503:                             ;   in Loop: Header=BB6_1463 Depth=1
	s_cmp_eq_u32 s15, 0
	s_cbranch_scc1 .LBB6_1507
; %bb.1504:                             ;   in Loop: Header=BB6_1463 Depth=1
	v_mov_b32_e32 v18, 0
	s_mov_b64 s[20:21], 0
	v_mov_b32_e32 v19, 0
	s_mov_b64 s[22:23], 0
.LBB6_1505:                             ;   Parent Loop BB6_1463 Depth=1
                                        ; =>  This Inner Loop Header: Depth=2
	s_add_u32 s24, s4, s22
	s_addc_u32 s25, s5, s23
	global_load_ubyte v2, v26, s[24:25]
	s_add_u32 s22, s22, 1
	s_addc_u32 s23, s23, 0
	s_waitcnt vmcnt(0)
	v_and_b32_e32 v25, 0xffff, v2
	v_lshlrev_b64 v[2:3], s20, v[25:26]
	s_add_u32 s20, s20, 8
	s_addc_u32 s21, s21, 0
	v_or_b32_e32 v18, v2, v18
	s_cmp_lg_u32 s15, s22
	v_or_b32_e32 v19, v3, v19
	s_cbranch_scc1 .LBB6_1505
	s_branch .LBB6_1508
.LBB6_1506:                             ;   in Loop: Header=BB6_1463 Depth=1
                                        ; implicit-def: $vgpr18_vgpr19
                                        ; implicit-def: $sgpr24
	s_branch .LBB6_1509
.LBB6_1507:                             ;   in Loop: Header=BB6_1463 Depth=1
	v_mov_b32_e32 v18, 0
	v_mov_b32_e32 v19, 0
.LBB6_1508:                             ;   in Loop: Header=BB6_1463 Depth=1
	s_mov_b32 s24, 0
	s_cbranch_execnz .LBB6_1510
.LBB6_1509:                             ;   in Loop: Header=BB6_1463 Depth=1
	global_load_dwordx2 v[18:19], v26, s[4:5]
	s_add_i32 s24, s15, -8
	s_add_u32 s4, s4, 8
	s_addc_u32 s5, s5, 0
.LBB6_1510:                             ;   in Loop: Header=BB6_1463 Depth=1
	s_cmp_gt_u32 s24, 7
	s_cbranch_scc1 .LBB6_1514
; %bb.1511:                             ;   in Loop: Header=BB6_1463 Depth=1
	s_cmp_eq_u32 s24, 0
	s_cbranch_scc1 .LBB6_1515
; %bb.1512:                             ;   in Loop: Header=BB6_1463 Depth=1
	v_mov_b32_e32 v20, 0
	s_mov_b64 s[20:21], 0
	v_mov_b32_e32 v21, 0
	s_mov_b64 s[22:23], s[4:5]
.LBB6_1513:                             ;   Parent Loop BB6_1463 Depth=1
                                        ; =>  This Inner Loop Header: Depth=2
	global_load_ubyte v2, v26, s[22:23]
	s_add_i32 s24, s24, -1
	s_waitcnt vmcnt(0)
	v_and_b32_e32 v25, 0xffff, v2
	v_lshlrev_b64 v[2:3], s20, v[25:26]
	s_add_u32 s20, s20, 8
	s_addc_u32 s21, s21, 0
	s_add_u32 s22, s22, 1
	s_addc_u32 s23, s23, 0
	v_or_b32_e32 v20, v2, v20
	s_cmp_lg_u32 s24, 0
	v_or_b32_e32 v21, v3, v21
	s_cbranch_scc1 .LBB6_1513
	s_branch .LBB6_1516
.LBB6_1514:                             ;   in Loop: Header=BB6_1463 Depth=1
	s_branch .LBB6_1517
.LBB6_1515:                             ;   in Loop: Header=BB6_1463 Depth=1
	v_mov_b32_e32 v20, 0
	v_mov_b32_e32 v21, 0
.LBB6_1516:                             ;   in Loop: Header=BB6_1463 Depth=1
	s_cbranch_execnz .LBB6_1518
.LBB6_1517:                             ;   in Loop: Header=BB6_1463 Depth=1
	global_load_dwordx2 v[20:21], v26, s[4:5]
.LBB6_1518:                             ;   in Loop: Header=BB6_1463 Depth=1
	v_readfirstlane_b32 s4, v32
	v_mov_b32_e32 v2, 0
	v_mov_b32_e32 v3, 0
	v_cmp_eq_u32_e64 s[4:5], s4, v32
	s_and_saveexec_b64 s[20:21], s[4:5]
	s_cbranch_execz .LBB6_1524
; %bb.1519:                             ;   in Loop: Header=BB6_1463 Depth=1
	global_load_dwordx2 v[24:25], v26, s[6:7] offset:24 glc
	s_waitcnt vmcnt(0)
	buffer_wbinvl1_vol
	global_load_dwordx2 v[2:3], v26, s[6:7] offset:40
	global_load_dwordx2 v[22:23], v26, s[6:7]
	s_waitcnt vmcnt(1)
	v_and_b32_e32 v2, v2, v24
	v_and_b32_e32 v3, v3, v25
	v_mul_lo_u32 v3, v3, 24
	v_mul_hi_u32 v27, v2, 24
	v_mul_lo_u32 v2, v2, 24
	v_add_u32_e32 v3, v27, v3
	s_waitcnt vmcnt(0)
	v_add_co_u32_e32 v2, vcc, v22, v2
	v_addc_co_u32_e32 v3, vcc, v23, v3, vcc
	global_load_dwordx2 v[22:23], v[2:3], off glc
	s_waitcnt vmcnt(0)
	global_atomic_cmpswap_x2 v[2:3], v26, v[22:25], s[6:7] offset:24 glc
	s_waitcnt vmcnt(0)
	buffer_wbinvl1_vol
	v_cmp_ne_u64_e32 vcc, v[2:3], v[24:25]
	s_and_saveexec_b64 s[22:23], vcc
	s_cbranch_execz .LBB6_1523
; %bb.1520:                             ;   in Loop: Header=BB6_1463 Depth=1
	s_mov_b64 s[24:25], 0
.LBB6_1521:                             ;   Parent Loop BB6_1463 Depth=1
                                        ; =>  This Inner Loop Header: Depth=2
	s_sleep 1
	global_load_dwordx2 v[22:23], v26, s[6:7] offset:40
	global_load_dwordx2 v[27:28], v26, s[6:7]
	v_mov_b32_e32 v25, v3
	v_mov_b32_e32 v24, v2
	s_waitcnt vmcnt(1)
	v_and_b32_e32 v2, v22, v24
	s_waitcnt vmcnt(0)
	v_mad_u64_u32 v[2:3], s[26:27], v2, 24, v[27:28]
	v_and_b32_e32 v22, v23, v25
	v_mad_u64_u32 v[22:23], s[26:27], v22, 24, v[3:4]
	v_mov_b32_e32 v3, v22
	global_load_dwordx2 v[22:23], v[2:3], off glc
	s_waitcnt vmcnt(0)
	global_atomic_cmpswap_x2 v[2:3], v26, v[22:25], s[6:7] offset:24 glc
	s_waitcnt vmcnt(0)
	buffer_wbinvl1_vol
	v_cmp_eq_u64_e32 vcc, v[2:3], v[24:25]
	s_or_b64 s[24:25], vcc, s[24:25]
	s_andn2_b64 exec, exec, s[24:25]
	s_cbranch_execnz .LBB6_1521
; %bb.1522:                             ;   in Loop: Header=BB6_1463 Depth=1
	s_or_b64 exec, exec, s[24:25]
.LBB6_1523:                             ;   in Loop: Header=BB6_1463 Depth=1
	s_or_b64 exec, exec, s[22:23]
.LBB6_1524:                             ;   in Loop: Header=BB6_1463 Depth=1
	s_or_b64 exec, exec, s[20:21]
	global_load_dwordx2 v[27:28], v26, s[6:7] offset:40
	global_load_dwordx4 v[22:25], v26, s[6:7]
	v_readfirstlane_b32 s20, v2
	v_readfirstlane_b32 s21, v3
	s_mov_b64 s[22:23], exec
	s_waitcnt vmcnt(1)
	v_readfirstlane_b32 s24, v27
	v_readfirstlane_b32 s25, v28
	s_and_b64 s[24:25], s[20:21], s[24:25]
	s_mul_i32 s15, s25, 24
	s_mul_hi_u32 s26, s24, 24
	s_mul_i32 s27, s24, 24
	s_add_i32 s15, s26, s15
	v_mov_b32_e32 v2, s15
	s_waitcnt vmcnt(0)
	v_add_co_u32_e32 v27, vcc, s27, v22
	v_addc_co_u32_e32 v28, vcc, v23, v2, vcc
	s_and_saveexec_b64 s[26:27], s[4:5]
	s_cbranch_execz .LBB6_1526
; %bb.1525:                             ;   in Loop: Header=BB6_1463 Depth=1
	v_mov_b32_e32 v2, s22
	v_mov_b32_e32 v3, s23
	global_store_dwordx4 v[27:28], v[2:5], off offset:8
.LBB6_1526:                             ;   in Loop: Header=BB6_1463 Depth=1
	s_or_b64 exec, exec, s[26:27]
	s_lshl_b64 s[22:23], s[24:25], 12
	v_mov_b32_e32 v2, s23
	v_add_co_u32_e32 v24, vcc, s22, v24
	v_addc_co_u32_e32 v29, vcc, v25, v2, vcc
	v_cmp_gt_u64_e64 vcc, s[16:17], 56
	v_or_b32_e32 v2, 2, v6
	s_lshl_b32 s15, s18, 2
	v_cndmask_b32_e32 v2, v2, v6, vcc
	s_add_i32 s15, s15, 28
	s_and_b32 s15, s15, 0x1e0
	v_and_b32_e32 v2, 0xffffff1f, v2
	v_or_b32_e32 v6, s15, v2
	v_readfirstlane_b32 s22, v24
	v_readfirstlane_b32 s23, v29
	s_nop 4
	global_store_dwordx4 v31, v[6:9], s[22:23]
	global_store_dwordx4 v31, v[10:13], s[22:23] offset:16
	global_store_dwordx4 v31, v[14:17], s[22:23] offset:32
	;; [unrolled: 1-line block ×3, first 2 shown]
	s_and_saveexec_b64 s[22:23], s[4:5]
	s_cbranch_execz .LBB6_1534
; %bb.1527:                             ;   in Loop: Header=BB6_1463 Depth=1
	global_load_dwordx2 v[10:11], v26, s[6:7] offset:32 glc
	global_load_dwordx2 v[2:3], v26, s[6:7] offset:40
	v_mov_b32_e32 v8, s20
	v_mov_b32_e32 v9, s21
	s_waitcnt vmcnt(0)
	v_readfirstlane_b32 s24, v2
	v_readfirstlane_b32 s25, v3
	s_and_b64 s[24:25], s[24:25], s[20:21]
	s_mul_i32 s15, s25, 24
	s_mul_hi_u32 s25, s24, 24
	s_mul_i32 s24, s24, 24
	s_add_i32 s15, s25, s15
	v_mov_b32_e32 v3, s15
	v_add_co_u32_e32 v2, vcc, s24, v22
	v_addc_co_u32_e32 v3, vcc, v23, v3, vcc
	global_store_dwordx2 v[2:3], v[10:11], off
	s_waitcnt vmcnt(0)
	global_atomic_cmpswap_x2 v[8:9], v26, v[8:11], s[6:7] offset:32 glc
	s_waitcnt vmcnt(0)
	v_cmp_ne_u64_e32 vcc, v[8:9], v[10:11]
	s_and_saveexec_b64 s[24:25], vcc
	s_cbranch_execz .LBB6_1530
; %bb.1528:                             ;   in Loop: Header=BB6_1463 Depth=1
	s_mov_b64 s[26:27], 0
.LBB6_1529:                             ;   Parent Loop BB6_1463 Depth=1
                                        ; =>  This Inner Loop Header: Depth=2
	s_sleep 1
	global_store_dwordx2 v[2:3], v[8:9], off
	v_mov_b32_e32 v6, s20
	v_mov_b32_e32 v7, s21
	s_waitcnt vmcnt(0)
	global_atomic_cmpswap_x2 v[6:7], v26, v[6:9], s[6:7] offset:32 glc
	s_waitcnt vmcnt(0)
	v_cmp_eq_u64_e32 vcc, v[6:7], v[8:9]
	v_mov_b32_e32 v9, v7
	s_or_b64 s[26:27], vcc, s[26:27]
	v_mov_b32_e32 v8, v6
	s_andn2_b64 exec, exec, s[26:27]
	s_cbranch_execnz .LBB6_1529
.LBB6_1530:                             ;   in Loop: Header=BB6_1463 Depth=1
	s_or_b64 exec, exec, s[24:25]
	global_load_dwordx2 v[2:3], v26, s[6:7] offset:16
	s_mov_b64 s[26:27], exec
	v_mbcnt_lo_u32_b32 v6, s26, 0
	v_mbcnt_hi_u32_b32 v6, s27, v6
	v_cmp_eq_u32_e32 vcc, 0, v6
	s_and_saveexec_b64 s[24:25], vcc
	s_cbranch_execz .LBB6_1532
; %bb.1531:                             ;   in Loop: Header=BB6_1463 Depth=1
	s_bcnt1_i32_b64 s15, s[26:27]
	v_mov_b32_e32 v25, s15
	s_waitcnt vmcnt(0)
	global_atomic_add_x2 v[2:3], v[25:26], off offset:8
.LBB6_1532:                             ;   in Loop: Header=BB6_1463 Depth=1
	s_or_b64 exec, exec, s[24:25]
	s_waitcnt vmcnt(0)
	global_load_dwordx2 v[6:7], v[2:3], off offset:16
	s_waitcnt vmcnt(0)
	v_cmp_eq_u64_e32 vcc, 0, v[6:7]
	s_cbranch_vccnz .LBB6_1534
; %bb.1533:                             ;   in Loop: Header=BB6_1463 Depth=1
	global_load_dword v25, v[2:3], off offset:24
	s_waitcnt vmcnt(0)
	v_and_b32_e32 v2, 0xffffff, v25
	v_readfirstlane_b32 m0, v2
	global_store_dwordx2 v[6:7], v[25:26], off
	s_sendmsg sendmsg(MSG_INTERRUPT)
.LBB6_1534:                             ;   in Loop: Header=BB6_1463 Depth=1
	s_or_b64 exec, exec, s[22:23]
	v_add_co_u32_e32 v2, vcc, v24, v31
	v_addc_co_u32_e32 v3, vcc, 0, v29, vcc
	s_branch .LBB6_1538
.LBB6_1535:                             ;   in Loop: Header=BB6_1538 Depth=2
	s_or_b64 exec, exec, s[22:23]
	v_readfirstlane_b32 s15, v6
	s_cmp_eq_u32 s15, 0
	s_cbranch_scc1 .LBB6_1537
; %bb.1536:                             ;   in Loop: Header=BB6_1538 Depth=2
	s_sleep 1
	s_cbranch_execnz .LBB6_1538
	s_branch .LBB6_1540
.LBB6_1537:                             ;   in Loop: Header=BB6_1463 Depth=1
	s_branch .LBB6_1540
.LBB6_1538:                             ;   Parent Loop BB6_1463 Depth=1
                                        ; =>  This Inner Loop Header: Depth=2
	v_mov_b32_e32 v6, 1
	s_and_saveexec_b64 s[22:23], s[4:5]
	s_cbranch_execz .LBB6_1535
; %bb.1539:                             ;   in Loop: Header=BB6_1538 Depth=2
	global_load_dword v6, v[27:28], off offset:20 glc
	s_waitcnt vmcnt(0)
	buffer_wbinvl1_vol
	v_and_b32_e32 v6, 1, v6
	s_branch .LBB6_1535
.LBB6_1540:                             ;   in Loop: Header=BB6_1463 Depth=1
	global_load_dwordx4 v[6:9], v[2:3], off
	s_and_saveexec_b64 s[22:23], s[4:5]
	s_cbranch_execz .LBB6_1462
; %bb.1541:                             ;   in Loop: Header=BB6_1463 Depth=1
	global_load_dwordx2 v[2:3], v26, s[6:7] offset:40
	global_load_dwordx2 v[12:13], v26, s[6:7] offset:24 glc
	global_load_dwordx2 v[14:15], v26, s[6:7]
	s_waitcnt vmcnt(3)
	v_mov_b32_e32 v9, s21
	s_waitcnt vmcnt(2)
	v_add_co_u32_e32 v10, vcc, 1, v2
	v_addc_co_u32_e32 v11, vcc, 0, v3, vcc
	v_add_co_u32_e32 v8, vcc, s20, v10
	v_addc_co_u32_e32 v9, vcc, v11, v9, vcc
	v_cmp_eq_u64_e32 vcc, 0, v[8:9]
	v_cndmask_b32_e32 v9, v9, v11, vcc
	v_cndmask_b32_e32 v8, v8, v10, vcc
	v_and_b32_e32 v3, v9, v3
	v_and_b32_e32 v2, v8, v2
	v_mul_lo_u32 v3, v3, 24
	v_mul_hi_u32 v11, v2, 24
	v_mul_lo_u32 v2, v2, 24
	s_waitcnt vmcnt(1)
	v_mov_b32_e32 v10, v12
	v_add_u32_e32 v3, v11, v3
	s_waitcnt vmcnt(0)
	v_add_co_u32_e32 v2, vcc, v14, v2
	v_addc_co_u32_e32 v3, vcc, v15, v3, vcc
	global_store_dwordx2 v[2:3], v[12:13], off
	v_mov_b32_e32 v11, v13
	s_waitcnt vmcnt(0)
	global_atomic_cmpswap_x2 v[10:11], v26, v[8:11], s[6:7] offset:24 glc
	s_waitcnt vmcnt(0)
	v_cmp_ne_u64_e32 vcc, v[10:11], v[12:13]
	s_and_b64 exec, exec, vcc
	s_cbranch_execz .LBB6_1462
; %bb.1542:                             ;   in Loop: Header=BB6_1463 Depth=1
	s_mov_b64 s[4:5], 0
.LBB6_1543:                             ;   Parent Loop BB6_1463 Depth=1
                                        ; =>  This Inner Loop Header: Depth=2
	s_sleep 1
	global_store_dwordx2 v[2:3], v[10:11], off
	s_waitcnt vmcnt(0)
	global_atomic_cmpswap_x2 v[12:13], v26, v[8:11], s[6:7] offset:24 glc
	s_waitcnt vmcnt(0)
	v_cmp_eq_u64_e32 vcc, v[12:13], v[10:11]
	v_mov_b32_e32 v10, v12
	s_or_b64 s[4:5], vcc, s[4:5]
	v_mov_b32_e32 v11, v13
	s_andn2_b64 exec, exec, s[4:5]
	s_cbranch_execnz .LBB6_1543
	s_branch .LBB6_1462
.LBB6_1544:
	s_mov_b64 s[4:5], 0
	s_branch .LBB6_1546
.LBB6_1545:
	s_mov_b64 s[4:5], -1
.LBB6_1546:
	s_mov_b32 s41, s12
	s_mov_b32 s48, s13
	s_mov_b32 s49, s14
	s_and_b64 vcc, exec, s[4:5]
	s_cbranch_vccz .LBB6_1573
; %bb.1547:
	v_readfirstlane_b32 s4, v32
	s_waitcnt vmcnt(0)
	v_mov_b32_e32 v8, 0
	v_mov_b32_e32 v9, 0
	v_cmp_eq_u32_e64 s[4:5], s4, v32
	s_and_saveexec_b64 s[10:11], s[4:5]
	s_cbranch_execz .LBB6_1553
; %bb.1548:
	v_mov_b32_e32 v2, 0
	global_load_dwordx2 v[5:6], v2, s[6:7] offset:24 glc
	s_waitcnt vmcnt(0)
	buffer_wbinvl1_vol
	global_load_dwordx2 v[3:4], v2, s[6:7] offset:40
	global_load_dwordx2 v[7:8], v2, s[6:7]
	s_waitcnt vmcnt(1)
	v_and_b32_e32 v3, v3, v5
	v_and_b32_e32 v4, v4, v6
	v_mul_lo_u32 v4, v4, 24
	v_mul_hi_u32 v9, v3, 24
	v_mul_lo_u32 v3, v3, 24
	v_add_u32_e32 v4, v9, v4
	s_waitcnt vmcnt(0)
	v_add_co_u32_e32 v3, vcc, v7, v3
	v_addc_co_u32_e32 v4, vcc, v8, v4, vcc
	global_load_dwordx2 v[3:4], v[3:4], off glc
	s_waitcnt vmcnt(0)
	global_atomic_cmpswap_x2 v[8:9], v2, v[3:6], s[6:7] offset:24 glc
	s_waitcnt vmcnt(0)
	buffer_wbinvl1_vol
	v_cmp_ne_u64_e32 vcc, v[8:9], v[5:6]
	s_and_saveexec_b64 s[12:13], vcc
	s_cbranch_execz .LBB6_1552
; %bb.1549:
	s_mov_b64 s[14:15], 0
.LBB6_1550:                             ; =>This Inner Loop Header: Depth=1
	s_sleep 1
	global_load_dwordx2 v[3:4], v2, s[6:7] offset:40
	global_load_dwordx2 v[10:11], v2, s[6:7]
	v_mov_b32_e32 v5, v8
	v_mov_b32_e32 v6, v9
	s_waitcnt vmcnt(1)
	v_and_b32_e32 v3, v3, v5
	s_waitcnt vmcnt(0)
	v_mad_u64_u32 v[7:8], s[16:17], v3, 24, v[10:11]
	v_and_b32_e32 v4, v4, v6
	v_mov_b32_e32 v3, v8
	v_mad_u64_u32 v[3:4], s[16:17], v4, 24, v[3:4]
	v_mov_b32_e32 v8, v3
	global_load_dwordx2 v[3:4], v[7:8], off glc
	s_waitcnt vmcnt(0)
	global_atomic_cmpswap_x2 v[8:9], v2, v[3:6], s[6:7] offset:24 glc
	s_waitcnt vmcnt(0)
	buffer_wbinvl1_vol
	v_cmp_eq_u64_e32 vcc, v[8:9], v[5:6]
	s_or_b64 s[14:15], vcc, s[14:15]
	s_andn2_b64 exec, exec, s[14:15]
	s_cbranch_execnz .LBB6_1550
; %bb.1551:
	s_or_b64 exec, exec, s[14:15]
.LBB6_1552:
	s_or_b64 exec, exec, s[12:13]
.LBB6_1553:
	s_or_b64 exec, exec, s[10:11]
	v_mov_b32_e32 v2, 0
	global_load_dwordx2 v[10:11], v2, s[6:7] offset:40
	global_load_dwordx4 v[4:7], v2, s[6:7]
	v_readfirstlane_b32 s10, v8
	v_readfirstlane_b32 s11, v9
	s_mov_b64 s[12:13], exec
	s_waitcnt vmcnt(1)
	v_readfirstlane_b32 s14, v10
	v_readfirstlane_b32 s15, v11
	s_and_b64 s[14:15], s[10:11], s[14:15]
	s_mul_i32 s16, s15, 24
	s_mul_hi_u32 s17, s14, 24
	s_mul_i32 s18, s14, 24
	s_add_i32 s16, s17, s16
	v_mov_b32_e32 v3, s16
	s_waitcnt vmcnt(0)
	v_add_co_u32_e32 v8, vcc, s18, v4
	v_addc_co_u32_e32 v9, vcc, v5, v3, vcc
	s_and_saveexec_b64 s[16:17], s[4:5]
	s_cbranch_execz .LBB6_1555
; %bb.1554:
	v_mov_b32_e32 v10, s12
	v_mov_b32_e32 v11, s13
	;; [unrolled: 1-line block ×4, first 2 shown]
	global_store_dwordx4 v[8:9], v[10:13], off offset:8
.LBB6_1555:
	s_or_b64 exec, exec, s[16:17]
	s_lshl_b64 s[12:13], s[14:15], 12
	v_mov_b32_e32 v3, s13
	v_add_co_u32_e32 v6, vcc, s12, v6
	v_addc_co_u32_e32 v7, vcc, v7, v3, vcc
	s_movk_i32 s12, 0xff1d
	v_and_or_b32 v0, v0, s12, 34
	s_mov_b32 s12, 0
	v_mov_b32_e32 v3, v2
	v_readfirstlane_b32 s16, v6
	v_readfirstlane_b32 s17, v7
	s_mov_b32 s13, s12
	s_mov_b32 s14, s12
	;; [unrolled: 1-line block ×3, first 2 shown]
	s_nop 1
	global_store_dwordx4 v31, v[0:3], s[16:17]
	s_nop 0
	v_mov_b32_e32 v0, s12
	v_mov_b32_e32 v1, s13
	;; [unrolled: 1-line block ×4, first 2 shown]
	global_store_dwordx4 v31, v[0:3], s[16:17] offset:16
	global_store_dwordx4 v31, v[0:3], s[16:17] offset:32
	;; [unrolled: 1-line block ×3, first 2 shown]
	s_and_saveexec_b64 s[12:13], s[4:5]
	s_cbranch_execz .LBB6_1563
; %bb.1556:
	v_mov_b32_e32 v6, 0
	global_load_dwordx2 v[12:13], v6, s[6:7] offset:32 glc
	global_load_dwordx2 v[0:1], v6, s[6:7] offset:40
	v_mov_b32_e32 v10, s10
	v_mov_b32_e32 v11, s11
	s_waitcnt vmcnt(0)
	v_readfirstlane_b32 s14, v0
	v_readfirstlane_b32 s15, v1
	s_and_b64 s[14:15], s[14:15], s[10:11]
	s_mul_i32 s15, s15, 24
	s_mul_hi_u32 s16, s14, 24
	s_mul_i32 s14, s14, 24
	s_add_i32 s15, s16, s15
	v_mov_b32_e32 v0, s15
	v_add_co_u32_e32 v4, vcc, s14, v4
	v_addc_co_u32_e32 v5, vcc, v5, v0, vcc
	global_store_dwordx2 v[4:5], v[12:13], off
	s_waitcnt vmcnt(0)
	global_atomic_cmpswap_x2 v[2:3], v6, v[10:13], s[6:7] offset:32 glc
	s_waitcnt vmcnt(0)
	v_cmp_ne_u64_e32 vcc, v[2:3], v[12:13]
	s_and_saveexec_b64 s[14:15], vcc
	s_cbranch_execz .LBB6_1559
; %bb.1557:
	s_mov_b64 s[16:17], 0
.LBB6_1558:                             ; =>This Inner Loop Header: Depth=1
	s_sleep 1
	global_store_dwordx2 v[4:5], v[2:3], off
	v_mov_b32_e32 v0, s10
	v_mov_b32_e32 v1, s11
	s_waitcnt vmcnt(0)
	global_atomic_cmpswap_x2 v[0:1], v6, v[0:3], s[6:7] offset:32 glc
	s_waitcnt vmcnt(0)
	v_cmp_eq_u64_e32 vcc, v[0:1], v[2:3]
	v_mov_b32_e32 v3, v1
	s_or_b64 s[16:17], vcc, s[16:17]
	v_mov_b32_e32 v2, v0
	s_andn2_b64 exec, exec, s[16:17]
	s_cbranch_execnz .LBB6_1558
.LBB6_1559:
	s_or_b64 exec, exec, s[14:15]
	v_mov_b32_e32 v3, 0
	global_load_dwordx2 v[0:1], v3, s[6:7] offset:16
	s_mov_b64 s[14:15], exec
	v_mbcnt_lo_u32_b32 v2, s14, 0
	v_mbcnt_hi_u32_b32 v2, s15, v2
	v_cmp_eq_u32_e32 vcc, 0, v2
	s_and_saveexec_b64 s[16:17], vcc
	s_cbranch_execz .LBB6_1561
; %bb.1560:
	s_bcnt1_i32_b64 s14, s[14:15]
	v_mov_b32_e32 v2, s14
	s_waitcnt vmcnt(0)
	global_atomic_add_x2 v[0:1], v[2:3], off offset:8
.LBB6_1561:
	s_or_b64 exec, exec, s[16:17]
	s_waitcnt vmcnt(0)
	global_load_dwordx2 v[2:3], v[0:1], off offset:16
	s_waitcnt vmcnt(0)
	v_cmp_eq_u64_e32 vcc, 0, v[2:3]
	s_cbranch_vccnz .LBB6_1563
; %bb.1562:
	global_load_dword v0, v[0:1], off offset:24
	v_mov_b32_e32 v1, 0
	s_waitcnt vmcnt(0)
	global_store_dwordx2 v[2:3], v[0:1], off
	v_and_b32_e32 v0, 0xffffff, v0
	v_readfirstlane_b32 m0, v0
	s_sendmsg sendmsg(MSG_INTERRUPT)
.LBB6_1563:
	s_or_b64 exec, exec, s[12:13]
	s_branch .LBB6_1567
.LBB6_1564:                             ;   in Loop: Header=BB6_1567 Depth=1
	s_or_b64 exec, exec, s[12:13]
	v_readfirstlane_b32 s12, v0
	s_cmp_eq_u32 s12, 0
	s_cbranch_scc1 .LBB6_1566
; %bb.1565:                             ;   in Loop: Header=BB6_1567 Depth=1
	s_sleep 1
	s_cbranch_execnz .LBB6_1567
	s_branch .LBB6_1569
.LBB6_1566:
	s_branch .LBB6_1569
.LBB6_1567:                             ; =>This Inner Loop Header: Depth=1
	v_mov_b32_e32 v0, 1
	s_and_saveexec_b64 s[12:13], s[4:5]
	s_cbranch_execz .LBB6_1564
; %bb.1568:                             ;   in Loop: Header=BB6_1567 Depth=1
	global_load_dword v0, v[8:9], off offset:20 glc
	s_waitcnt vmcnt(0)
	buffer_wbinvl1_vol
	v_and_b32_e32 v0, 1, v0
	s_branch .LBB6_1564
.LBB6_1569:
	s_and_saveexec_b64 s[12:13], s[4:5]
	s_cbranch_execz .LBB6_1572
; %bb.1570:
	v_mov_b32_e32 v6, 0
	global_load_dwordx2 v[2:3], v6, s[6:7] offset:40
	global_load_dwordx2 v[7:8], v6, s[6:7] offset:24 glc
	global_load_dwordx2 v[4:5], v6, s[6:7]
	v_mov_b32_e32 v1, s11
	s_mov_b64 s[4:5], 0
	s_waitcnt vmcnt(2)
	v_add_co_u32_e32 v9, vcc, 1, v2
	v_addc_co_u32_e32 v10, vcc, 0, v3, vcc
	v_add_co_u32_e32 v0, vcc, s10, v9
	v_addc_co_u32_e32 v1, vcc, v10, v1, vcc
	v_cmp_eq_u64_e32 vcc, 0, v[0:1]
	v_cndmask_b32_e32 v1, v1, v10, vcc
	v_cndmask_b32_e32 v0, v0, v9, vcc
	v_and_b32_e32 v3, v1, v3
	v_and_b32_e32 v2, v0, v2
	v_mul_lo_u32 v3, v3, 24
	v_mul_hi_u32 v9, v2, 24
	v_mul_lo_u32 v10, v2, 24
	s_waitcnt vmcnt(1)
	v_mov_b32_e32 v2, v7
	v_add_u32_e32 v3, v9, v3
	s_waitcnt vmcnt(0)
	v_add_co_u32_e32 v4, vcc, v4, v10
	v_addc_co_u32_e32 v5, vcc, v5, v3, vcc
	global_store_dwordx2 v[4:5], v[7:8], off
	v_mov_b32_e32 v3, v8
	s_waitcnt vmcnt(0)
	global_atomic_cmpswap_x2 v[2:3], v6, v[0:3], s[6:7] offset:24 glc
	s_waitcnt vmcnt(0)
	v_cmp_ne_u64_e32 vcc, v[2:3], v[7:8]
	s_and_b64 exec, exec, vcc
	s_cbranch_execz .LBB6_1572
.LBB6_1571:                             ; =>This Inner Loop Header: Depth=1
	s_sleep 1
	global_store_dwordx2 v[4:5], v[2:3], off
	s_waitcnt vmcnt(0)
	global_atomic_cmpswap_x2 v[7:8], v6, v[0:3], s[6:7] offset:24 glc
	s_waitcnt vmcnt(0)
	v_cmp_eq_u64_e32 vcc, v[7:8], v[2:3]
	v_mov_b32_e32 v2, v7
	s_or_b64 s[4:5], vcc, s[4:5]
	v_mov_b32_e32 v3, v8
	s_andn2_b64 exec, exec, s[4:5]
	s_cbranch_execnz .LBB6_1571
.LBB6_1572:
	s_or_b64 exec, exec, s[12:13]
.LBB6_1573:
	s_getpc_b64 s[4:5]
	s_add_u32 s4, s4, .str@rel32@lo+4
	s_addc_u32 s5, s5, .str@rel32@hi+12
	s_waitcnt vmcnt(0)
	v_mov_b32_e32 v0, s4
	v_mov_b32_e32 v1, s5
	s_mov_b64 s[24:25], src_private_base
	s_getpc_b64 s[50:51]
	s_add_u32 s50, s50, _ZNK8migraphx13basic_printerIZNS_4coutEvEUlT_E_ElsEPKc@rel32@lo+4
	s_addc_u32 s51, s51, _ZNK8migraphx13basic_printerIZNS_4coutEvEUlT_E_ElsEPKc@rel32@hi+12
	s_mov_b64 s[42:43], s[8:9]
	s_swappc_b64 s[30:31], s[50:51]
	s_getpc_b64 s[4:5]
	s_add_u32 s4, s4, .str.3@rel32@lo+4
	s_addc_u32 s5, s5, .str.3@rel32@hi+12
	s_mov_b64 s[8:9], s[42:43]
	v_mov_b32_e32 v0, s4
	v_mov_b32_e32 v1, s5
	s_swappc_b64 s[30:31], s[50:51]
	v_lshrrev_b32_e64 v0, 6, s33
	s_mov_b64 s[8:9], s[42:43]
	v_add_u32_e32 v0, 0x48, v0
	v_mov_b32_e32 v1, s25
	s_getpc_b64 s[4:5]
	s_add_u32 s4, s4, _ZN8migraphx4testlsIKNS_13basic_printerIZNS_4coutEvEUlT_E_EEEERS3_S7_RKNS0_10expressionINS0_14lhs_expressionIRNS_5arrayIiLj6EEENS0_3nopEEESC_NS0_5equalEEE@rel32@lo+4
	s_addc_u32 s5, s5, _ZN8migraphx4testlsIKNS_13basic_printerIZNS_4coutEvEUlT_E_EEEERS3_S7_RKNS0_10expressionINS0_14lhs_expressionIRNS_5arrayIiLj6EEENS0_3nopEEESC_NS0_5equalEEE@rel32@hi+12
	s_swappc_b64 s[30:31], s[4:5]
	s_getpc_b64 s[4:5]
	s_add_u32 s4, s4, .str.4@rel32@lo+4
	s_addc_u32 s5, s5, .str.4@rel32@hi+12
	s_mov_b64 s[8:9], s[42:43]
	v_mov_b32_e32 v0, s4
	v_mov_b32_e32 v1, s5
	s_swappc_b64 s[30:31], s[50:51]
	s_mov_b64 s[8:9], s[42:43]
	v_mov_b32_e32 v0, 10
	s_getpc_b64 s[4:5]
	s_add_u32 s4, s4, _ZNK8migraphx13basic_printerIZNS_4coutEvEUlT_E_ElsEc@rel32@lo+4
	s_addc_u32 s5, s5, _ZNK8migraphx13basic_printerIZNS_4coutEvEUlT_E_ElsEc@rel32@hi+12
	s_swappc_b64 s[30:31], s[4:5]
	flat_load_dwordx2 v[0:1], v[42:43]
	s_mov_b64 s[8:9], s[42:43]
	s_mov_b32 s14, s49
	s_mov_b32 s13, s48
	;; [unrolled: 1-line block ×3, first 2 shown]
	s_waitcnt vmcnt(0) lgkmcnt(0)
	flat_load_dword v2, v[0:1]
	s_waitcnt vmcnt(0) lgkmcnt(0)
	v_add_u32_e32 v2, 1, v2
	flat_store_dword v[0:1], v2
.LBB6_1574:
	s_or_b64 exec, exec, s[46:47]
	s_getpc_b64 s[4:5]
	s_add_u32 s4, s4, _ZN8migraphx4test4failEv@rel32@lo+4
	s_addc_u32 s5, s5, _ZN8migraphx4test4failEv@rel32@hi+12
	s_swappc_b64 s[30:31], s[4:5]
	; divergent unreachable
.LBB6_1575:
	s_andn2_saveexec_b64 s[4:5], s[44:45]
	s_or_b64 exec, exec, s[4:5]
	v_readlane_b32 s30, v44, 0
	v_readlane_b32 s31, v44, 1
	;; [unrolled: 1-line block ×3, first 2 shown]
	s_or_saveexec_b64 s[6:7], -1
	buffer_load_dword v44, off, s[0:3], s33 offset:88 ; 4-byte Folded Reload
	s_mov_b64 exec, s[6:7]
	s_addk_i32 s32, 0xe800
	s_mov_b32 s33, s4
	s_waitcnt vmcnt(0)
	s_setpc_b64 s[30:31]
.Lfunc_end6:
	.size	_ZL22merge_negative_numbersRN8migraphx4test12test_managerE, .Lfunc_end6-_ZL22merge_negative_numbersRN8migraphx4test12test_managerE
                                        ; -- End function
	.section	.AMDGPU.csdata,"",@progbits
; Function info:
; codeLenInByte = 53964
; NumSgprs: 56
; NumVgprs: 56
; ScratchSize: 112
; MemoryBound: 0
	.text
	.p2align	2                               ; -- Begin function _ZL22merge_large_differenceRN8migraphx4test12test_managerE
	.type	_ZL22merge_large_differenceRN8migraphx4test12test_managerE,@function
_ZL22merge_large_differenceRN8migraphx4test12test_managerE: ; @_ZL22merge_large_differenceRN8migraphx4test12test_managerE
; %bb.0:
	s_waitcnt vmcnt(0) expcnt(0) lgkmcnt(0)
	s_mov_b32 s4, s33
	s_mov_b32 s33, s32
	s_or_saveexec_b64 s[6:7], -1
	buffer_store_dword v44, off, s[0:3], s33 offset:88 ; 4-byte Folded Spill
	s_mov_b64 exec, s[6:7]
	v_writelane_b32 v44, s4, 2
	v_writelane_b32 v44, s30, 0
	s_addk_i32 s32, 0x1800
	v_writelane_b32 v44, s31, 1
	v_mov_b32_e32 v42, v0
	v_mov_b32_e32 v0, 1
	buffer_store_dword v0, off, s[0:3], s33
	v_mov_b32_e32 v0, 0x3e8
	buffer_store_dword v0, off, s[0:3], s33 offset:4
	v_mov_b32_e32 v0, 0x7d0
	buffer_store_dword v0, off, s[0:3], s33 offset:8
	;; [unrolled: 2-line block ×3, first 2 shown]
	v_mov_b32_e32 v0, 0x1f4
	v_lshrrev_b32_e64 v3, 6, s33
	v_mov_b32_e32 v43, v1
	buffer_store_dword v0, off, s[0:3], s33 offset:16
	v_mov_b32_e32 v0, 0x5dc
	v_mov_b32_e32 v2, 0
	v_add_u32_e32 v3, 24, v3
	s_mov_b64 s[4:5], 0
	v_mov_b32_e32 v4, 0
	buffer_store_dword v0, off, s[0:3], s33 offset:20
	buffer_store_dword v2, off, s[0:3], s33 offset:24
	;; [unrolled: 1-line block ×7, first 2 shown]
                                        ; implicit-def: $sgpr6_sgpr7
                                        ; implicit-def: $sgpr16_sgpr17
                                        ; implicit-def: $sgpr10_sgpr11
	s_branch .LBB7_2
.LBB7_1:                                ;   in Loop: Header=BB7_2 Depth=1
	s_or_b64 exec, exec, s[18:19]
	s_and_b64 s[18:19], exec, s[16:17]
	s_or_b64 s[4:5], s[18:19], s[4:5]
	s_andn2_b64 s[6:7], s[6:7], exec
	s_and_b64 s[18:19], s[10:11], exec
	s_or_b64 s[6:7], s[6:7], s[18:19]
	s_andn2_b64 exec, exec, s[4:5]
	s_cbranch_execz .LBB7_4
.LBB7_2:                                ; =>This Inner Loop Header: Depth=1
	v_mov_b32_e32 v1, v4
	v_mov_b32_e32 v0, v3
	v_cmp_ne_u32_e32 vcc, 12, v2
	s_or_b64 s[10:11], s[10:11], exec
	s_or_b64 s[16:17], s[16:17], exec
                                        ; implicit-def: $vgpr4
                                        ; implicit-def: $vgpr3
	s_and_saveexec_b64 s[18:19], vcc
	s_cbranch_execz .LBB7_1
; %bb.3:                                ;   in Loop: Header=BB7_2 Depth=1
	v_lshrrev_b32_e64 v5, 6, s33
	v_lshrrev_b32_e64 v4, 6, s33
	v_add_u32_e32 v5, 12, v5
	v_add_u32_e32 v3, v4, v1
	;; [unrolled: 1-line block ×3, first 2 shown]
	buffer_load_dword v5, v4, s[0:3], 0 offen
	buffer_load_dword v6, v3, s[0:3], 0 offen
	s_andn2_b64 s[16:17], s[16:17], exec
	v_add_u32_e32 v3, 4, v0
	s_andn2_b64 s[10:11], s[10:11], exec
	s_waitcnt vmcnt(0)
	v_cmp_ge_i32_e32 vcc, v5, v6
	v_cndmask_b32_e64 v4, 0, 1, vcc
	v_cmp_lt_i32_e32 vcc, v5, v6
	v_lshl_add_u32 v4, v4, 2, v1
	v_min_i32_e32 v7, v5, v6
	v_cndmask_b32_e64 v5, 0, 1, vcc
	v_cmp_eq_u32_e32 vcc, 12, v4
	s_and_b64 s[20:21], vcc, exec
	v_lshl_add_u32 v2, v5, 2, v2
	s_or_b64 s[16:17], s[16:17], s[20:21]
	buffer_store_dword v7, v0, s[0:3], 0 offen
	s_branch .LBB7_1
.LBB7_4:
	s_or_b64 exec, exec, s[4:5]
	s_xor_b64 s[4:5], s[6:7], -1
	s_and_saveexec_b64 s[6:7], s[4:5]
	s_xor_b64 s[4:5], exec, s[6:7]
	s_cbranch_execz .LBB7_9
; %bb.5:
	v_cmp_ne_u32_e32 vcc, 12, v2
	s_and_saveexec_b64 s[6:7], vcc
	s_cbranch_execz .LBB7_8
; %bb.6:
	v_lshrrev_b32_e64 v5, 6, s33
	v_add_u32_e32 v5, 12, v5
	v_add_u32_e32 v4, v5, v2
	v_sub_u32_e32 v2, 12, v2
	s_mov_b32 s15, 0
	s_mov_b64 s[10:11], 0
.LBB7_7:                                ; =>This Inner Loop Header: Depth=1
	v_add_u32_e32 v5, s15, v4
	buffer_load_dword v5, v5, s[0:3], 0 offen
	v_add_u32_e32 v6, s15, v3
	s_add_i32 s15, s15, 4
	v_cmp_eq_u32_e32 vcc, s15, v2
	s_or_b64 s[10:11], vcc, s[10:11]
	s_waitcnt vmcnt(0)
	buffer_store_dword v5, v6, s[0:3], 0 offen
	s_andn2_b64 exec, exec, s[10:11]
	s_cbranch_execnz .LBB7_7
.LBB7_8:
	s_or_b64 exec, exec, s[6:7]
.LBB7_9:
	s_andn2_saveexec_b64 s[4:5], s[4:5]
	s_cbranch_execz .LBB7_13
; %bb.10:
	v_lshrrev_b32_e64 v3, 6, s33
	v_add_u32_e32 v2, v3, v1
	v_sub_u32_e32 v1, 12, v1
	s_mov_b32 s10, 0
	s_mov_b64 s[6:7], 0
.LBB7_11:                               ; =>This Inner Loop Header: Depth=1
	v_add_u32_e32 v3, s10, v2
	buffer_load_dword v3, v3, s[0:3], 0 offen
	v_add_u32_e32 v4, s10, v0
	s_add_i32 s10, s10, 4
	v_cmp_eq_u32_e32 vcc, s10, v1
	s_or_b64 s[6:7], vcc, s[6:7]
	s_waitcnt vmcnt(0)
	buffer_store_dword v3, v4, s[0:3], 0 offen
	s_andn2_b64 exec, exec, s[6:7]
	s_cbranch_execnz .LBB7_11
; %bb.12:
	s_or_b64 exec, exec, s[6:7]
.LBB7_13:
	s_or_b64 exec, exec, s[4:5]
	buffer_load_dword v0, off, s[0:3], s33 offset:40
	buffer_load_dword v1, off, s[0:3], s33 offset:44
	;; [unrolled: 1-line block ×6, first 2 shown]
	v_mov_b32_e32 v8, 0x1f4
	v_mov_b32_e32 v9, 0x3e8
	;; [unrolled: 1-line block ×3, first 2 shown]
	s_mov_b64 s[4:5], src_private_base
	v_mov_b32_e32 v6, 1
	v_mov_b32_e32 v11, 0x7d0
	v_mov_b32_e32 v7, 2
	buffer_store_dword v6, off, s[0:3], s33 offset:48
	buffer_store_dword v7, off, s[0:3], s33 offset:52
	;; [unrolled: 1-line block ×6, first 2 shown]
	v_mov_b32_e32 v6, s5
	v_lshrrev_b32_e64 v12, 6, s33
	v_add_u32_e32 v12, 24, v12
	v_lshrrev_b32_e64 v13, 6, s33
	v_add_u32_e32 v13, 48, v13
	buffer_store_dword v12, off, s[0:3], s33 offset:72
	buffer_store_dword v13, off, s[0:3], s33 offset:80
	;; [unrolled: 1-line block ×4, first 2 shown]
	s_waitcnt vmcnt(15)
	v_cmp_ne_u32_e32 vcc, v0, v10
	s_waitcnt vmcnt(14)
	v_cmp_ne_u32_e64 s[4:5], v1, v11
	s_waitcnt vmcnt(13)
	v_cmp_ne_u32_e64 s[6:7], v2, v8
	v_cndmask_b32_e64 v0, 0, 1, s[6:7]
	s_waitcnt vmcnt(12)
	v_cmp_ne_u32_e64 s[6:7], v3, v9
	v_cndmask_b32_e64 v1, 0, 1, s[6:7]
	;; [unrolled: 3-line block ×4, first 2 shown]
	v_lshlrev_b16_e32 v0, 2, v0
	v_lshlrev_b16_e32 v1, 3, v1
	;; [unrolled: 1-line block ×3, first 2 shown]
	v_or_b32_e32 v0, v1, v0
	v_or_b32_e32 v1, v3, v2
	v_and_b32_e32 v1, 3, v1
	v_or_b32_e32 v0, v1, v0
	v_and_b32_e32 v0, 15, v0
	v_cmp_ne_u16_e64 s[6:7], 0, v0
	s_or_b64 s[6:7], s[6:7], vcc
	s_or_b64 s[4:5], s[6:7], s[4:5]
	s_and_saveexec_b64 s[6:7], s[4:5]
	s_xor_b64 s[44:45], exec, s[6:7]
	s_cbranch_execz .LBB7_1575
; %bb.14:
	v_and_b32_e32 v0, 0x3ff, v31
	v_cmp_eq_u32_e32 vcc, 0, v0
	s_and_saveexec_b64 s[46:47], vcc
	s_cbranch_execz .LBB7_1574
; %bb.15:
	s_load_dwordx2 s[6:7], s[8:9], 0x50
	v_mbcnt_lo_u32_b32 v0, -1, 0
	v_mbcnt_hi_u32_b32 v32, -1, v0
	v_readfirstlane_b32 s4, v32
	v_mov_b32_e32 v5, 0
	v_mov_b32_e32 v6, 0
	v_cmp_eq_u32_e64 s[4:5], s4, v32
	s_and_saveexec_b64 s[10:11], s[4:5]
	s_cbranch_execz .LBB7_21
; %bb.16:
	v_mov_b32_e32 v0, 0
	s_waitcnt lgkmcnt(0)
	global_load_dwordx2 v[3:4], v0, s[6:7] offset:24 glc
	s_waitcnt vmcnt(0)
	buffer_wbinvl1_vol
	global_load_dwordx2 v[1:2], v0, s[6:7] offset:40
	global_load_dwordx2 v[5:6], v0, s[6:7]
	s_waitcnt vmcnt(1)
	v_and_b32_e32 v1, v1, v3
	v_and_b32_e32 v2, v2, v4
	v_mul_lo_u32 v2, v2, 24
	v_mul_hi_u32 v7, v1, 24
	v_mul_lo_u32 v1, v1, 24
	v_add_u32_e32 v2, v7, v2
	s_waitcnt vmcnt(0)
	v_add_co_u32_e32 v1, vcc, v5, v1
	v_addc_co_u32_e32 v2, vcc, v6, v2, vcc
	global_load_dwordx2 v[1:2], v[1:2], off glc
	s_waitcnt vmcnt(0)
	global_atomic_cmpswap_x2 v[5:6], v0, v[1:4], s[6:7] offset:24 glc
	s_waitcnt vmcnt(0)
	buffer_wbinvl1_vol
	v_cmp_ne_u64_e32 vcc, v[5:6], v[3:4]
	s_and_saveexec_b64 s[16:17], vcc
	s_cbranch_execz .LBB7_20
; %bb.17:
	s_mov_b64 s[18:19], 0
.LBB7_18:                               ; =>This Inner Loop Header: Depth=1
	s_sleep 1
	global_load_dwordx2 v[1:2], v0, s[6:7] offset:40
	global_load_dwordx2 v[7:8], v0, s[6:7]
	v_mov_b32_e32 v3, v5
	v_mov_b32_e32 v4, v6
	s_waitcnt vmcnt(1)
	v_and_b32_e32 v1, v1, v3
	s_waitcnt vmcnt(0)
	v_mad_u64_u32 v[5:6], s[20:21], v1, 24, v[7:8]
	v_and_b32_e32 v2, v2, v4
	v_mov_b32_e32 v1, v6
	v_mad_u64_u32 v[1:2], s[20:21], v2, 24, v[1:2]
	v_mov_b32_e32 v6, v1
	global_load_dwordx2 v[1:2], v[5:6], off glc
	s_waitcnt vmcnt(0)
	global_atomic_cmpswap_x2 v[5:6], v0, v[1:4], s[6:7] offset:24 glc
	s_waitcnt vmcnt(0)
	buffer_wbinvl1_vol
	v_cmp_eq_u64_e32 vcc, v[5:6], v[3:4]
	s_or_b64 s[18:19], vcc, s[18:19]
	s_andn2_b64 exec, exec, s[18:19]
	s_cbranch_execnz .LBB7_18
; %bb.19:
	s_or_b64 exec, exec, s[18:19]
.LBB7_20:
	s_or_b64 exec, exec, s[16:17]
.LBB7_21:
	s_or_b64 exec, exec, s[10:11]
	v_mov_b32_e32 v4, 0
	s_waitcnt lgkmcnt(0)
	global_load_dwordx2 v[7:8], v4, s[6:7] offset:40
	global_load_dwordx4 v[0:3], v4, s[6:7]
	v_readfirstlane_b32 s10, v5
	v_readfirstlane_b32 s11, v6
	s_mov_b64 s[16:17], exec
	s_waitcnt vmcnt(1)
	v_readfirstlane_b32 s18, v7
	v_readfirstlane_b32 s19, v8
	s_and_b64 s[18:19], s[10:11], s[18:19]
	s_mul_i32 s15, s19, 24
	s_mul_hi_u32 s20, s18, 24
	s_mul_i32 s21, s18, 24
	s_add_i32 s15, s20, s15
	v_mov_b32_e32 v5, s15
	s_waitcnt vmcnt(0)
	v_add_co_u32_e32 v7, vcc, s21, v0
	v_addc_co_u32_e32 v8, vcc, v1, v5, vcc
	s_and_saveexec_b64 s[20:21], s[4:5]
	s_cbranch_execz .LBB7_23
; %bb.22:
	v_mov_b32_e32 v9, s16
	v_mov_b32_e32 v10, s17
	;; [unrolled: 1-line block ×4, first 2 shown]
	global_store_dwordx4 v[7:8], v[9:12], off offset:8
.LBB7_23:
	s_or_b64 exec, exec, s[20:21]
	s_lshl_b64 s[16:17], s[18:19], 12
	v_mov_b32_e32 v5, s17
	v_add_co_u32_e32 v2, vcc, s16, v2
	v_addc_co_u32_e32 v11, vcc, v3, v5, vcc
	s_mov_b32 s16, 0
	v_lshlrev_b32_e32 v31, 6, v32
	v_mov_b32_e32 v3, 33
	v_mov_b32_e32 v5, v4
	;; [unrolled: 1-line block ×3, first 2 shown]
	v_readfirstlane_b32 s20, v2
	v_readfirstlane_b32 s21, v11
	v_add_co_u32_e32 v9, vcc, v2, v31
	s_mov_b32 s17, s16
	s_mov_b32 s18, s16
	;; [unrolled: 1-line block ×3, first 2 shown]
	s_nop 0
	global_store_dwordx4 v31, v[3:6], s[20:21]
	v_mov_b32_e32 v2, s16
	v_addc_co_u32_e32 v10, vcc, 0, v11, vcc
	v_mov_b32_e32 v3, s17
	v_mov_b32_e32 v4, s18
	;; [unrolled: 1-line block ×3, first 2 shown]
	global_store_dwordx4 v31, v[2:5], s[20:21] offset:16
	global_store_dwordx4 v31, v[2:5], s[20:21] offset:32
	;; [unrolled: 1-line block ×3, first 2 shown]
	s_and_saveexec_b64 s[16:17], s[4:5]
	s_cbranch_execz .LBB7_31
; %bb.24:
	v_mov_b32_e32 v6, 0
	global_load_dwordx2 v[13:14], v6, s[6:7] offset:32 glc
	global_load_dwordx2 v[2:3], v6, s[6:7] offset:40
	v_mov_b32_e32 v11, s10
	v_mov_b32_e32 v12, s11
	s_waitcnt vmcnt(0)
	v_and_b32_e32 v2, s10, v2
	v_and_b32_e32 v3, s11, v3
	v_mul_lo_u32 v3, v3, 24
	v_mul_hi_u32 v4, v2, 24
	v_mul_lo_u32 v2, v2, 24
	v_add_u32_e32 v3, v4, v3
	v_add_co_u32_e32 v4, vcc, v0, v2
	v_addc_co_u32_e32 v5, vcc, v1, v3, vcc
	global_store_dwordx2 v[4:5], v[13:14], off
	s_waitcnt vmcnt(0)
	global_atomic_cmpswap_x2 v[2:3], v6, v[11:14], s[6:7] offset:32 glc
	s_waitcnt vmcnt(0)
	v_cmp_ne_u64_e32 vcc, v[2:3], v[13:14]
	s_and_saveexec_b64 s[18:19], vcc
	s_cbranch_execz .LBB7_27
; %bb.25:
	s_mov_b64 s[20:21], 0
.LBB7_26:                               ; =>This Inner Loop Header: Depth=1
	s_sleep 1
	global_store_dwordx2 v[4:5], v[2:3], off
	v_mov_b32_e32 v0, s10
	v_mov_b32_e32 v1, s11
	s_waitcnt vmcnt(0)
	global_atomic_cmpswap_x2 v[0:1], v6, v[0:3], s[6:7] offset:32 glc
	s_waitcnt vmcnt(0)
	v_cmp_eq_u64_e32 vcc, v[0:1], v[2:3]
	v_mov_b32_e32 v3, v1
	s_or_b64 s[20:21], vcc, s[20:21]
	v_mov_b32_e32 v2, v0
	s_andn2_b64 exec, exec, s[20:21]
	s_cbranch_execnz .LBB7_26
.LBB7_27:
	s_or_b64 exec, exec, s[18:19]
	v_mov_b32_e32 v3, 0
	global_load_dwordx2 v[0:1], v3, s[6:7] offset:16
	s_mov_b64 s[18:19], exec
	v_mbcnt_lo_u32_b32 v2, s18, 0
	v_mbcnt_hi_u32_b32 v2, s19, v2
	v_cmp_eq_u32_e32 vcc, 0, v2
	s_and_saveexec_b64 s[20:21], vcc
	s_cbranch_execz .LBB7_29
; %bb.28:
	s_bcnt1_i32_b64 s15, s[18:19]
	v_mov_b32_e32 v2, s15
	s_waitcnt vmcnt(0)
	global_atomic_add_x2 v[0:1], v[2:3], off offset:8
.LBB7_29:
	s_or_b64 exec, exec, s[20:21]
	s_waitcnt vmcnt(0)
	global_load_dwordx2 v[2:3], v[0:1], off offset:16
	s_waitcnt vmcnt(0)
	v_cmp_eq_u64_e32 vcc, 0, v[2:3]
	s_cbranch_vccnz .LBB7_31
; %bb.30:
	global_load_dword v0, v[0:1], off offset:24
	v_mov_b32_e32 v1, 0
	s_waitcnt vmcnt(0)
	global_store_dwordx2 v[2:3], v[0:1], off
	v_and_b32_e32 v0, 0xffffff, v0
	v_readfirstlane_b32 m0, v0
	s_sendmsg sendmsg(MSG_INTERRUPT)
.LBB7_31:
	s_or_b64 exec, exec, s[16:17]
	s_branch .LBB7_35
.LBB7_32:                               ;   in Loop: Header=BB7_35 Depth=1
	s_or_b64 exec, exec, s[16:17]
	v_readfirstlane_b32 s15, v0
	s_cmp_eq_u32 s15, 0
	s_cbranch_scc1 .LBB7_34
; %bb.33:                               ;   in Loop: Header=BB7_35 Depth=1
	s_sleep 1
	s_cbranch_execnz .LBB7_35
	s_branch .LBB7_37
.LBB7_34:
	s_branch .LBB7_37
.LBB7_35:                               ; =>This Inner Loop Header: Depth=1
	v_mov_b32_e32 v0, 1
	s_and_saveexec_b64 s[16:17], s[4:5]
	s_cbranch_execz .LBB7_32
; %bb.36:                               ;   in Loop: Header=BB7_35 Depth=1
	global_load_dword v0, v[7:8], off offset:20 glc
	s_waitcnt vmcnt(0)
	buffer_wbinvl1_vol
	v_and_b32_e32 v0, 1, v0
	s_branch .LBB7_32
.LBB7_37:
	global_load_dwordx2 v[4:5], v[9:10], off
	s_and_saveexec_b64 s[16:17], s[4:5]
	s_cbranch_execz .LBB7_40
; %bb.38:
	v_mov_b32_e32 v8, 0
	global_load_dwordx2 v[2:3], v8, s[6:7] offset:40
	global_load_dwordx2 v[9:10], v8, s[6:7] offset:24 glc
	global_load_dwordx2 v[6:7], v8, s[6:7]
	v_mov_b32_e32 v1, s11
	s_mov_b64 s[4:5], 0
	s_waitcnt vmcnt(2)
	v_add_co_u32_e32 v11, vcc, 1, v2
	v_addc_co_u32_e32 v12, vcc, 0, v3, vcc
	v_add_co_u32_e32 v0, vcc, s10, v11
	v_addc_co_u32_e32 v1, vcc, v12, v1, vcc
	v_cmp_eq_u64_e32 vcc, 0, v[0:1]
	v_cndmask_b32_e32 v1, v1, v12, vcc
	v_cndmask_b32_e32 v0, v0, v11, vcc
	v_and_b32_e32 v3, v1, v3
	v_and_b32_e32 v2, v0, v2
	v_mul_lo_u32 v3, v3, 24
	v_mul_hi_u32 v11, v2, 24
	v_mul_lo_u32 v12, v2, 24
	s_waitcnt vmcnt(1)
	v_mov_b32_e32 v2, v9
	v_add_u32_e32 v3, v11, v3
	s_waitcnt vmcnt(0)
	v_add_co_u32_e32 v6, vcc, v6, v12
	v_addc_co_u32_e32 v7, vcc, v7, v3, vcc
	global_store_dwordx2 v[6:7], v[9:10], off
	v_mov_b32_e32 v3, v10
	s_waitcnt vmcnt(0)
	global_atomic_cmpswap_x2 v[2:3], v8, v[0:3], s[6:7] offset:24 glc
	s_waitcnt vmcnt(0)
	v_cmp_ne_u64_e32 vcc, v[2:3], v[9:10]
	s_and_b64 exec, exec, vcc
	s_cbranch_execz .LBB7_40
.LBB7_39:                               ; =>This Inner Loop Header: Depth=1
	s_sleep 1
	global_store_dwordx2 v[6:7], v[2:3], off
	s_waitcnt vmcnt(0)
	global_atomic_cmpswap_x2 v[9:10], v8, v[0:3], s[6:7] offset:24 glc
	s_waitcnt vmcnt(0)
	v_cmp_eq_u64_e32 vcc, v[9:10], v[2:3]
	v_mov_b32_e32 v2, v9
	s_or_b64 s[4:5], vcc, s[4:5]
	v_mov_b32_e32 v3, v10
	s_andn2_b64 exec, exec, s[4:5]
	s_cbranch_execnz .LBB7_39
.LBB7_40:
	s_or_b64 exec, exec, s[16:17]
	s_getpc_b64 s[16:17]
	s_add_u32 s16, s16, .str.5@rel32@lo+4
	s_addc_u32 s17, s17, .str.5@rel32@hi+12
	s_cmp_lg_u64 s[16:17], 0
	s_cselect_b64 s[10:11], -1, 0
	s_and_b64 vcc, exec, s[10:11]
	s_cbranch_vccz .LBB7_125
; %bb.41:
	s_waitcnt vmcnt(0)
	v_and_b32_e32 v29, 2, v4
	v_mov_b32_e32 v26, 0
	v_and_b32_e32 v0, -3, v4
	v_mov_b32_e32 v1, v5
	s_mov_b64 s[18:19], 3
	v_mov_b32_e32 v8, 2
	v_mov_b32_e32 v9, 1
	s_branch .LBB7_43
.LBB7_42:                               ;   in Loop: Header=BB7_43 Depth=1
	s_or_b64 exec, exec, s[24:25]
	s_sub_u32 s18, s18, s20
	s_subb_u32 s19, s19, s21
	s_add_u32 s16, s16, s20
	s_addc_u32 s17, s17, s21
	s_cmp_lg_u64 s[18:19], 0
	s_cbranch_scc0 .LBB7_124
.LBB7_43:                               ; =>This Loop Header: Depth=1
                                        ;     Child Loop BB7_46 Depth 2
                                        ;     Child Loop BB7_53 Depth 2
	;; [unrolled: 1-line block ×11, first 2 shown]
	v_cmp_lt_u64_e64 s[4:5], s[18:19], 56
	v_cmp_gt_u64_e64 s[22:23], s[18:19], 7
	s_and_b64 s[4:5], s[4:5], exec
	s_cselect_b32 s21, s19, 0
	s_cselect_b32 s20, s18, 56
	s_and_b64 vcc, exec, s[22:23]
	s_cbranch_vccnz .LBB7_48
; %bb.44:                               ;   in Loop: Header=BB7_43 Depth=1
	s_waitcnt vmcnt(0)
	v_mov_b32_e32 v2, 0
	s_cmp_eq_u64 s[18:19], 0
	v_mov_b32_e32 v3, 0
	s_mov_b64 s[4:5], 0
	s_cbranch_scc1 .LBB7_47
; %bb.45:                               ;   in Loop: Header=BB7_43 Depth=1
	v_mov_b32_e32 v2, 0
	s_lshl_b64 s[22:23], s[20:21], 3
	s_mov_b64 s[24:25], 0
	v_mov_b32_e32 v3, 0
	s_mov_b64 s[26:27], s[16:17]
.LBB7_46:                               ;   Parent Loop BB7_43 Depth=1
                                        ; =>  This Inner Loop Header: Depth=2
	global_load_ubyte v6, v26, s[26:27]
	s_waitcnt vmcnt(0)
	v_and_b32_e32 v25, 0xffff, v6
	v_lshlrev_b64 v[6:7], s24, v[25:26]
	s_add_u32 s24, s24, 8
	s_addc_u32 s25, s25, 0
	s_add_u32 s26, s26, 1
	s_addc_u32 s27, s27, 0
	v_or_b32_e32 v2, v6, v2
	s_cmp_lg_u32 s22, s24
	v_or_b32_e32 v3, v7, v3
	s_cbranch_scc1 .LBB7_46
.LBB7_47:                               ;   in Loop: Header=BB7_43 Depth=1
	s_mov_b32 s15, 0
	s_andn2_b64 vcc, exec, s[4:5]
	s_mov_b64 s[4:5], s[16:17]
	s_cbranch_vccz .LBB7_49
	s_branch .LBB7_50
.LBB7_48:                               ;   in Loop: Header=BB7_43 Depth=1
                                        ; implicit-def: $vgpr2_vgpr3
                                        ; implicit-def: $sgpr15
	s_mov_b64 s[4:5], s[16:17]
.LBB7_49:                               ;   in Loop: Header=BB7_43 Depth=1
	global_load_dwordx2 v[2:3], v26, s[16:17]
	s_add_i32 s15, s20, -8
	s_add_u32 s4, s16, 8
	s_addc_u32 s5, s17, 0
.LBB7_50:                               ;   in Loop: Header=BB7_43 Depth=1
	s_cmp_gt_u32 s15, 7
	s_cbranch_scc1 .LBB7_54
; %bb.51:                               ;   in Loop: Header=BB7_43 Depth=1
	s_cmp_eq_u32 s15, 0
	s_cbranch_scc1 .LBB7_55
; %bb.52:                               ;   in Loop: Header=BB7_43 Depth=1
	v_mov_b32_e32 v10, 0
	s_mov_b64 s[22:23], 0
	v_mov_b32_e32 v11, 0
	s_mov_b64 s[24:25], 0
.LBB7_53:                               ;   Parent Loop BB7_43 Depth=1
                                        ; =>  This Inner Loop Header: Depth=2
	s_add_u32 s26, s4, s24
	s_addc_u32 s27, s5, s25
	global_load_ubyte v6, v26, s[26:27]
	s_add_u32 s24, s24, 1
	s_addc_u32 s25, s25, 0
	s_waitcnt vmcnt(0)
	v_and_b32_e32 v25, 0xffff, v6
	v_lshlrev_b64 v[6:7], s22, v[25:26]
	s_add_u32 s22, s22, 8
	s_addc_u32 s23, s23, 0
	v_or_b32_e32 v10, v6, v10
	s_cmp_lg_u32 s15, s24
	v_or_b32_e32 v11, v7, v11
	s_cbranch_scc1 .LBB7_53
	s_branch .LBB7_56
.LBB7_54:                               ;   in Loop: Header=BB7_43 Depth=1
                                        ; implicit-def: $vgpr10_vgpr11
                                        ; implicit-def: $sgpr26
	s_branch .LBB7_57
.LBB7_55:                               ;   in Loop: Header=BB7_43 Depth=1
	v_mov_b32_e32 v10, 0
	v_mov_b32_e32 v11, 0
.LBB7_56:                               ;   in Loop: Header=BB7_43 Depth=1
	s_mov_b32 s26, 0
	s_cbranch_execnz .LBB7_58
.LBB7_57:                               ;   in Loop: Header=BB7_43 Depth=1
	global_load_dwordx2 v[10:11], v26, s[4:5]
	s_add_i32 s26, s15, -8
	s_add_u32 s4, s4, 8
	s_addc_u32 s5, s5, 0
.LBB7_58:                               ;   in Loop: Header=BB7_43 Depth=1
	s_cmp_gt_u32 s26, 7
	s_cbranch_scc1 .LBB7_62
; %bb.59:                               ;   in Loop: Header=BB7_43 Depth=1
	s_cmp_eq_u32 s26, 0
	s_cbranch_scc1 .LBB7_63
; %bb.60:                               ;   in Loop: Header=BB7_43 Depth=1
	v_mov_b32_e32 v12, 0
	s_mov_b64 s[22:23], 0
	v_mov_b32_e32 v13, 0
	s_mov_b64 s[24:25], 0
.LBB7_61:                               ;   Parent Loop BB7_43 Depth=1
                                        ; =>  This Inner Loop Header: Depth=2
	s_add_u32 s28, s4, s24
	s_addc_u32 s29, s5, s25
	global_load_ubyte v6, v26, s[28:29]
	s_add_u32 s24, s24, 1
	s_addc_u32 s25, s25, 0
	s_waitcnt vmcnt(0)
	v_and_b32_e32 v25, 0xffff, v6
	v_lshlrev_b64 v[6:7], s22, v[25:26]
	s_add_u32 s22, s22, 8
	s_addc_u32 s23, s23, 0
	v_or_b32_e32 v12, v6, v12
	s_cmp_lg_u32 s26, s24
	v_or_b32_e32 v13, v7, v13
	s_cbranch_scc1 .LBB7_61
	s_branch .LBB7_64
.LBB7_62:                               ;   in Loop: Header=BB7_43 Depth=1
                                        ; implicit-def: $sgpr15
	s_branch .LBB7_65
.LBB7_63:                               ;   in Loop: Header=BB7_43 Depth=1
	v_mov_b32_e32 v12, 0
	v_mov_b32_e32 v13, 0
.LBB7_64:                               ;   in Loop: Header=BB7_43 Depth=1
	s_mov_b32 s15, 0
	s_cbranch_execnz .LBB7_66
.LBB7_65:                               ;   in Loop: Header=BB7_43 Depth=1
	global_load_dwordx2 v[12:13], v26, s[4:5]
	s_add_i32 s15, s26, -8
	s_add_u32 s4, s4, 8
	s_addc_u32 s5, s5, 0
.LBB7_66:                               ;   in Loop: Header=BB7_43 Depth=1
	s_cmp_gt_u32 s15, 7
	s_cbranch_scc1 .LBB7_70
; %bb.67:                               ;   in Loop: Header=BB7_43 Depth=1
	s_cmp_eq_u32 s15, 0
	s_cbranch_scc1 .LBB7_71
; %bb.68:                               ;   in Loop: Header=BB7_43 Depth=1
	v_mov_b32_e32 v14, 0
	s_mov_b64 s[22:23], 0
	v_mov_b32_e32 v15, 0
	s_mov_b64 s[24:25], 0
.LBB7_69:                               ;   Parent Loop BB7_43 Depth=1
                                        ; =>  This Inner Loop Header: Depth=2
	s_add_u32 s26, s4, s24
	s_addc_u32 s27, s5, s25
	global_load_ubyte v6, v26, s[26:27]
	s_add_u32 s24, s24, 1
	s_addc_u32 s25, s25, 0
	s_waitcnt vmcnt(0)
	v_and_b32_e32 v25, 0xffff, v6
	v_lshlrev_b64 v[6:7], s22, v[25:26]
	s_add_u32 s22, s22, 8
	s_addc_u32 s23, s23, 0
	v_or_b32_e32 v14, v6, v14
	s_cmp_lg_u32 s15, s24
	v_or_b32_e32 v15, v7, v15
	s_cbranch_scc1 .LBB7_69
	s_branch .LBB7_72
.LBB7_70:                               ;   in Loop: Header=BB7_43 Depth=1
                                        ; implicit-def: $vgpr14_vgpr15
                                        ; implicit-def: $sgpr26
	s_branch .LBB7_73
.LBB7_71:                               ;   in Loop: Header=BB7_43 Depth=1
	v_mov_b32_e32 v14, 0
	v_mov_b32_e32 v15, 0
.LBB7_72:                               ;   in Loop: Header=BB7_43 Depth=1
	s_mov_b32 s26, 0
	s_cbranch_execnz .LBB7_74
.LBB7_73:                               ;   in Loop: Header=BB7_43 Depth=1
	global_load_dwordx2 v[14:15], v26, s[4:5]
	s_add_i32 s26, s15, -8
	s_add_u32 s4, s4, 8
	s_addc_u32 s5, s5, 0
.LBB7_74:                               ;   in Loop: Header=BB7_43 Depth=1
	s_cmp_gt_u32 s26, 7
	s_cbranch_scc1 .LBB7_78
; %bb.75:                               ;   in Loop: Header=BB7_43 Depth=1
	s_cmp_eq_u32 s26, 0
	s_cbranch_scc1 .LBB7_79
; %bb.76:                               ;   in Loop: Header=BB7_43 Depth=1
	v_mov_b32_e32 v16, 0
	s_mov_b64 s[22:23], 0
	v_mov_b32_e32 v17, 0
	s_mov_b64 s[24:25], 0
.LBB7_77:                               ;   Parent Loop BB7_43 Depth=1
                                        ; =>  This Inner Loop Header: Depth=2
	s_add_u32 s28, s4, s24
	s_addc_u32 s29, s5, s25
	global_load_ubyte v6, v26, s[28:29]
	s_add_u32 s24, s24, 1
	s_addc_u32 s25, s25, 0
	s_waitcnt vmcnt(0)
	v_and_b32_e32 v25, 0xffff, v6
	v_lshlrev_b64 v[6:7], s22, v[25:26]
	s_add_u32 s22, s22, 8
	s_addc_u32 s23, s23, 0
	v_or_b32_e32 v16, v6, v16
	s_cmp_lg_u32 s26, s24
	v_or_b32_e32 v17, v7, v17
	s_cbranch_scc1 .LBB7_77
	s_branch .LBB7_80
.LBB7_78:                               ;   in Loop: Header=BB7_43 Depth=1
                                        ; implicit-def: $sgpr15
	s_branch .LBB7_81
.LBB7_79:                               ;   in Loop: Header=BB7_43 Depth=1
	v_mov_b32_e32 v16, 0
	v_mov_b32_e32 v17, 0
.LBB7_80:                               ;   in Loop: Header=BB7_43 Depth=1
	s_mov_b32 s15, 0
	s_cbranch_execnz .LBB7_82
.LBB7_81:                               ;   in Loop: Header=BB7_43 Depth=1
	global_load_dwordx2 v[16:17], v26, s[4:5]
	s_add_i32 s15, s26, -8
	s_add_u32 s4, s4, 8
	s_addc_u32 s5, s5, 0
.LBB7_82:                               ;   in Loop: Header=BB7_43 Depth=1
	s_cmp_gt_u32 s15, 7
	s_cbranch_scc1 .LBB7_86
; %bb.83:                               ;   in Loop: Header=BB7_43 Depth=1
	s_cmp_eq_u32 s15, 0
	s_cbranch_scc1 .LBB7_87
; %bb.84:                               ;   in Loop: Header=BB7_43 Depth=1
	v_mov_b32_e32 v18, 0
	s_mov_b64 s[22:23], 0
	v_mov_b32_e32 v19, 0
	s_mov_b64 s[24:25], 0
.LBB7_85:                               ;   Parent Loop BB7_43 Depth=1
                                        ; =>  This Inner Loop Header: Depth=2
	s_add_u32 s26, s4, s24
	s_addc_u32 s27, s5, s25
	global_load_ubyte v6, v26, s[26:27]
	s_add_u32 s24, s24, 1
	s_addc_u32 s25, s25, 0
	s_waitcnt vmcnt(0)
	v_and_b32_e32 v25, 0xffff, v6
	v_lshlrev_b64 v[6:7], s22, v[25:26]
	s_add_u32 s22, s22, 8
	s_addc_u32 s23, s23, 0
	v_or_b32_e32 v18, v6, v18
	s_cmp_lg_u32 s15, s24
	v_or_b32_e32 v19, v7, v19
	s_cbranch_scc1 .LBB7_85
	s_branch .LBB7_88
.LBB7_86:                               ;   in Loop: Header=BB7_43 Depth=1
                                        ; implicit-def: $vgpr18_vgpr19
                                        ; implicit-def: $sgpr26
	s_branch .LBB7_89
.LBB7_87:                               ;   in Loop: Header=BB7_43 Depth=1
	v_mov_b32_e32 v18, 0
	v_mov_b32_e32 v19, 0
.LBB7_88:                               ;   in Loop: Header=BB7_43 Depth=1
	s_mov_b32 s26, 0
	s_cbranch_execnz .LBB7_90
.LBB7_89:                               ;   in Loop: Header=BB7_43 Depth=1
	global_load_dwordx2 v[18:19], v26, s[4:5]
	s_add_i32 s26, s15, -8
	s_add_u32 s4, s4, 8
	s_addc_u32 s5, s5, 0
.LBB7_90:                               ;   in Loop: Header=BB7_43 Depth=1
	s_cmp_gt_u32 s26, 7
	s_cbranch_scc1 .LBB7_94
; %bb.91:                               ;   in Loop: Header=BB7_43 Depth=1
	s_cmp_eq_u32 s26, 0
	s_cbranch_scc1 .LBB7_95
; %bb.92:                               ;   in Loop: Header=BB7_43 Depth=1
	v_mov_b32_e32 v20, 0
	s_mov_b64 s[22:23], 0
	v_mov_b32_e32 v21, 0
	s_mov_b64 s[24:25], s[4:5]
.LBB7_93:                               ;   Parent Loop BB7_43 Depth=1
                                        ; =>  This Inner Loop Header: Depth=2
	global_load_ubyte v6, v26, s[24:25]
	s_add_i32 s26, s26, -1
	s_waitcnt vmcnt(0)
	v_and_b32_e32 v25, 0xffff, v6
	v_lshlrev_b64 v[6:7], s22, v[25:26]
	s_add_u32 s22, s22, 8
	s_addc_u32 s23, s23, 0
	s_add_u32 s24, s24, 1
	s_addc_u32 s25, s25, 0
	v_or_b32_e32 v20, v6, v20
	s_cmp_lg_u32 s26, 0
	v_or_b32_e32 v21, v7, v21
	s_cbranch_scc1 .LBB7_93
	s_branch .LBB7_96
.LBB7_94:                               ;   in Loop: Header=BB7_43 Depth=1
	s_branch .LBB7_97
.LBB7_95:                               ;   in Loop: Header=BB7_43 Depth=1
	v_mov_b32_e32 v20, 0
	v_mov_b32_e32 v21, 0
.LBB7_96:                               ;   in Loop: Header=BB7_43 Depth=1
	s_cbranch_execnz .LBB7_98
.LBB7_97:                               ;   in Loop: Header=BB7_43 Depth=1
	global_load_dwordx2 v[20:21], v26, s[4:5]
.LBB7_98:                               ;   in Loop: Header=BB7_43 Depth=1
	v_readfirstlane_b32 s4, v32
	v_mov_b32_e32 v6, 0
	v_mov_b32_e32 v7, 0
	v_cmp_eq_u32_e64 s[4:5], s4, v32
	s_and_saveexec_b64 s[22:23], s[4:5]
	s_cbranch_execz .LBB7_104
; %bb.99:                               ;   in Loop: Header=BB7_43 Depth=1
	global_load_dwordx2 v[24:25], v26, s[6:7] offset:24 glc
	s_waitcnt vmcnt(0)
	buffer_wbinvl1_vol
	global_load_dwordx2 v[6:7], v26, s[6:7] offset:40
	global_load_dwordx2 v[22:23], v26, s[6:7]
	s_waitcnt vmcnt(1)
	v_and_b32_e32 v6, v6, v24
	v_and_b32_e32 v7, v7, v25
	v_mul_lo_u32 v7, v7, 24
	v_mul_hi_u32 v27, v6, 24
	v_mul_lo_u32 v6, v6, 24
	v_add_u32_e32 v7, v27, v7
	s_waitcnt vmcnt(0)
	v_add_co_u32_e32 v6, vcc, v22, v6
	v_addc_co_u32_e32 v7, vcc, v23, v7, vcc
	global_load_dwordx2 v[22:23], v[6:7], off glc
	s_waitcnt vmcnt(0)
	global_atomic_cmpswap_x2 v[6:7], v26, v[22:25], s[6:7] offset:24 glc
	s_waitcnt vmcnt(0)
	buffer_wbinvl1_vol
	v_cmp_ne_u64_e32 vcc, v[6:7], v[24:25]
	s_and_saveexec_b64 s[24:25], vcc
	s_cbranch_execz .LBB7_103
; %bb.100:                              ;   in Loop: Header=BB7_43 Depth=1
	s_mov_b64 s[26:27], 0
.LBB7_101:                              ;   Parent Loop BB7_43 Depth=1
                                        ; =>  This Inner Loop Header: Depth=2
	s_sleep 1
	global_load_dwordx2 v[22:23], v26, s[6:7] offset:40
	global_load_dwordx2 v[27:28], v26, s[6:7]
	v_mov_b32_e32 v25, v7
	v_mov_b32_e32 v24, v6
	s_waitcnt vmcnt(1)
	v_and_b32_e32 v6, v22, v24
	s_waitcnt vmcnt(0)
	v_mad_u64_u32 v[6:7], s[28:29], v6, 24, v[27:28]
	v_and_b32_e32 v22, v23, v25
	v_mad_u64_u32 v[22:23], s[28:29], v22, 24, v[7:8]
	v_mov_b32_e32 v7, v22
	global_load_dwordx2 v[22:23], v[6:7], off glc
	s_waitcnt vmcnt(0)
	global_atomic_cmpswap_x2 v[6:7], v26, v[22:25], s[6:7] offset:24 glc
	s_waitcnt vmcnt(0)
	buffer_wbinvl1_vol
	v_cmp_eq_u64_e32 vcc, v[6:7], v[24:25]
	s_or_b64 s[26:27], vcc, s[26:27]
	s_andn2_b64 exec, exec, s[26:27]
	s_cbranch_execnz .LBB7_101
; %bb.102:                              ;   in Loop: Header=BB7_43 Depth=1
	s_or_b64 exec, exec, s[26:27]
.LBB7_103:                              ;   in Loop: Header=BB7_43 Depth=1
	s_or_b64 exec, exec, s[24:25]
.LBB7_104:                              ;   in Loop: Header=BB7_43 Depth=1
	s_or_b64 exec, exec, s[22:23]
	global_load_dwordx2 v[27:28], v26, s[6:7] offset:40
	global_load_dwordx4 v[22:25], v26, s[6:7]
	v_readfirstlane_b32 s22, v6
	v_readfirstlane_b32 s23, v7
	s_mov_b64 s[24:25], exec
	s_waitcnt vmcnt(1)
	v_readfirstlane_b32 s26, v27
	v_readfirstlane_b32 s27, v28
	s_and_b64 s[26:27], s[22:23], s[26:27]
	s_mul_i32 s15, s27, 24
	s_mul_hi_u32 s28, s26, 24
	s_mul_i32 s29, s26, 24
	s_add_i32 s15, s28, s15
	v_mov_b32_e32 v6, s15
	s_waitcnt vmcnt(0)
	v_add_co_u32_e32 v27, vcc, s29, v22
	v_addc_co_u32_e32 v28, vcc, v23, v6, vcc
	s_and_saveexec_b64 s[28:29], s[4:5]
	s_cbranch_execz .LBB7_106
; %bb.105:                              ;   in Loop: Header=BB7_43 Depth=1
	v_mov_b32_e32 v6, s24
	v_mov_b32_e32 v7, s25
	global_store_dwordx4 v[27:28], v[6:9], off offset:8
.LBB7_106:                              ;   in Loop: Header=BB7_43 Depth=1
	s_or_b64 exec, exec, s[28:29]
	s_lshl_b64 s[24:25], s[26:27], 12
	v_mov_b32_e32 v6, s25
	v_add_co_u32_e32 v24, vcc, s24, v24
	v_addc_co_u32_e32 v30, vcc, v25, v6, vcc
	v_cmp_gt_u64_e64 vcc, s[18:19], 56
	v_or_b32_e32 v7, v0, v29
	s_lshl_b32 s15, s20, 2
	v_cndmask_b32_e32 v0, v7, v0, vcc
	s_add_i32 s15, s15, 28
	v_or_b32_e32 v6, 0, v1
	s_and_b32 s15, s15, 0x1e0
	v_and_b32_e32 v0, 0xffffff1f, v0
	v_cndmask_b32_e32 v1, v6, v1, vcc
	v_or_b32_e32 v0, s15, v0
	v_readfirstlane_b32 s24, v24
	v_readfirstlane_b32 s25, v30
	s_nop 4
	global_store_dwordx4 v31, v[0:3], s[24:25]
	global_store_dwordx4 v31, v[10:13], s[24:25] offset:16
	global_store_dwordx4 v31, v[14:17], s[24:25] offset:32
	;; [unrolled: 1-line block ×3, first 2 shown]
	s_and_saveexec_b64 s[24:25], s[4:5]
	s_cbranch_execz .LBB7_114
; %bb.107:                              ;   in Loop: Header=BB7_43 Depth=1
	global_load_dwordx2 v[12:13], v26, s[6:7] offset:32 glc
	global_load_dwordx2 v[0:1], v26, s[6:7] offset:40
	v_mov_b32_e32 v10, s22
	v_mov_b32_e32 v11, s23
	s_waitcnt vmcnt(0)
	v_readfirstlane_b32 s26, v0
	v_readfirstlane_b32 s27, v1
	s_and_b64 s[26:27], s[26:27], s[22:23]
	s_mul_i32 s15, s27, 24
	s_mul_hi_u32 s27, s26, 24
	s_mul_i32 s26, s26, 24
	s_add_i32 s15, s27, s15
	v_mov_b32_e32 v0, s15
	v_add_co_u32_e32 v6, vcc, s26, v22
	v_addc_co_u32_e32 v7, vcc, v23, v0, vcc
	global_store_dwordx2 v[6:7], v[12:13], off
	s_waitcnt vmcnt(0)
	global_atomic_cmpswap_x2 v[2:3], v26, v[10:13], s[6:7] offset:32 glc
	s_waitcnt vmcnt(0)
	v_cmp_ne_u64_e32 vcc, v[2:3], v[12:13]
	s_and_saveexec_b64 s[26:27], vcc
	s_cbranch_execz .LBB7_110
; %bb.108:                              ;   in Loop: Header=BB7_43 Depth=1
	s_mov_b64 s[28:29], 0
.LBB7_109:                              ;   Parent Loop BB7_43 Depth=1
                                        ; =>  This Inner Loop Header: Depth=2
	s_sleep 1
	global_store_dwordx2 v[6:7], v[2:3], off
	v_mov_b32_e32 v0, s22
	v_mov_b32_e32 v1, s23
	s_waitcnt vmcnt(0)
	global_atomic_cmpswap_x2 v[0:1], v26, v[0:3], s[6:7] offset:32 glc
	s_waitcnt vmcnt(0)
	v_cmp_eq_u64_e32 vcc, v[0:1], v[2:3]
	v_mov_b32_e32 v3, v1
	s_or_b64 s[28:29], vcc, s[28:29]
	v_mov_b32_e32 v2, v0
	s_andn2_b64 exec, exec, s[28:29]
	s_cbranch_execnz .LBB7_109
.LBB7_110:                              ;   in Loop: Header=BB7_43 Depth=1
	s_or_b64 exec, exec, s[26:27]
	global_load_dwordx2 v[0:1], v26, s[6:7] offset:16
	s_mov_b64 s[28:29], exec
	v_mbcnt_lo_u32_b32 v2, s28, 0
	v_mbcnt_hi_u32_b32 v2, s29, v2
	v_cmp_eq_u32_e32 vcc, 0, v2
	s_and_saveexec_b64 s[26:27], vcc
	s_cbranch_execz .LBB7_112
; %bb.111:                              ;   in Loop: Header=BB7_43 Depth=1
	s_bcnt1_i32_b64 s15, s[28:29]
	v_mov_b32_e32 v25, s15
	s_waitcnt vmcnt(0)
	global_atomic_add_x2 v[0:1], v[25:26], off offset:8
.LBB7_112:                              ;   in Loop: Header=BB7_43 Depth=1
	s_or_b64 exec, exec, s[26:27]
	s_waitcnt vmcnt(0)
	global_load_dwordx2 v[2:3], v[0:1], off offset:16
	s_waitcnt vmcnt(0)
	v_cmp_eq_u64_e32 vcc, 0, v[2:3]
	s_cbranch_vccnz .LBB7_114
; %bb.113:                              ;   in Loop: Header=BB7_43 Depth=1
	global_load_dword v25, v[0:1], off offset:24
	s_waitcnt vmcnt(0)
	v_and_b32_e32 v0, 0xffffff, v25
	v_readfirstlane_b32 m0, v0
	global_store_dwordx2 v[2:3], v[25:26], off
	s_sendmsg sendmsg(MSG_INTERRUPT)
.LBB7_114:                              ;   in Loop: Header=BB7_43 Depth=1
	s_or_b64 exec, exec, s[24:25]
	v_add_co_u32_e32 v0, vcc, v24, v31
	v_addc_co_u32_e32 v1, vcc, 0, v30, vcc
	s_branch .LBB7_118
.LBB7_115:                              ;   in Loop: Header=BB7_118 Depth=2
	s_or_b64 exec, exec, s[24:25]
	v_readfirstlane_b32 s15, v2
	s_cmp_eq_u32 s15, 0
	s_cbranch_scc1 .LBB7_117
; %bb.116:                              ;   in Loop: Header=BB7_118 Depth=2
	s_sleep 1
	s_cbranch_execnz .LBB7_118
	s_branch .LBB7_120
.LBB7_117:                              ;   in Loop: Header=BB7_43 Depth=1
	s_branch .LBB7_120
.LBB7_118:                              ;   Parent Loop BB7_43 Depth=1
                                        ; =>  This Inner Loop Header: Depth=2
	v_mov_b32_e32 v2, 1
	s_and_saveexec_b64 s[24:25], s[4:5]
	s_cbranch_execz .LBB7_115
; %bb.119:                              ;   in Loop: Header=BB7_118 Depth=2
	global_load_dword v2, v[27:28], off offset:20 glc
	s_waitcnt vmcnt(0)
	buffer_wbinvl1_vol
	v_and_b32_e32 v2, 1, v2
	s_branch .LBB7_115
.LBB7_120:                              ;   in Loop: Header=BB7_43 Depth=1
	global_load_dwordx4 v[0:3], v[0:1], off
	s_and_saveexec_b64 s[24:25], s[4:5]
	s_cbranch_execz .LBB7_42
; %bb.121:                              ;   in Loop: Header=BB7_43 Depth=1
	global_load_dwordx2 v[2:3], v26, s[6:7] offset:40
	global_load_dwordx2 v[6:7], v26, s[6:7] offset:24 glc
	global_load_dwordx2 v[13:14], v26, s[6:7]
	v_mov_b32_e32 v11, s23
	s_waitcnt vmcnt(2)
	v_add_co_u32_e32 v12, vcc, 1, v2
	v_addc_co_u32_e32 v15, vcc, 0, v3, vcc
	v_add_co_u32_e32 v10, vcc, s22, v12
	v_addc_co_u32_e32 v11, vcc, v15, v11, vcc
	v_cmp_eq_u64_e32 vcc, 0, v[10:11]
	v_cndmask_b32_e32 v11, v11, v15, vcc
	v_cndmask_b32_e32 v10, v10, v12, vcc
	v_and_b32_e32 v3, v11, v3
	v_and_b32_e32 v2, v10, v2
	v_mul_lo_u32 v3, v3, 24
	v_mul_hi_u32 v15, v2, 24
	v_mul_lo_u32 v2, v2, 24
	s_waitcnt vmcnt(1)
	v_mov_b32_e32 v12, v6
	v_add_u32_e32 v3, v15, v3
	s_waitcnt vmcnt(0)
	v_add_co_u32_e32 v2, vcc, v13, v2
	v_addc_co_u32_e32 v3, vcc, v14, v3, vcc
	global_store_dwordx2 v[2:3], v[6:7], off
	v_mov_b32_e32 v13, v7
	s_waitcnt vmcnt(0)
	global_atomic_cmpswap_x2 v[12:13], v26, v[10:13], s[6:7] offset:24 glc
	s_waitcnt vmcnt(0)
	v_cmp_ne_u64_e32 vcc, v[12:13], v[6:7]
	s_and_b64 exec, exec, vcc
	s_cbranch_execz .LBB7_42
; %bb.122:                              ;   in Loop: Header=BB7_43 Depth=1
	s_mov_b64 s[4:5], 0
.LBB7_123:                              ;   Parent Loop BB7_43 Depth=1
                                        ; =>  This Inner Loop Header: Depth=2
	s_sleep 1
	global_store_dwordx2 v[2:3], v[12:13], off
	s_waitcnt vmcnt(0)
	global_atomic_cmpswap_x2 v[6:7], v26, v[10:13], s[6:7] offset:24 glc
	s_waitcnt vmcnt(0)
	v_cmp_eq_u64_e32 vcc, v[6:7], v[12:13]
	v_mov_b32_e32 v13, v7
	s_or_b64 s[4:5], vcc, s[4:5]
	v_mov_b32_e32 v12, v6
	s_andn2_b64 exec, exec, s[4:5]
	s_cbranch_execnz .LBB7_123
	s_branch .LBB7_42
.LBB7_124:
	s_branch .LBB7_152
.LBB7_125:
                                        ; implicit-def: $vgpr0_vgpr1
	s_cbranch_execz .LBB7_152
; %bb.126:
	v_readfirstlane_b32 s4, v32
	v_mov_b32_e32 v7, 0
	v_mov_b32_e32 v8, 0
	v_cmp_eq_u32_e64 s[4:5], s4, v32
	s_and_saveexec_b64 s[16:17], s[4:5]
	s_cbranch_execz .LBB7_132
; %bb.127:
	s_waitcnt vmcnt(0)
	v_mov_b32_e32 v0, 0
	global_load_dwordx2 v[9:10], v0, s[6:7] offset:24 glc
	s_waitcnt vmcnt(0)
	buffer_wbinvl1_vol
	global_load_dwordx2 v[1:2], v0, s[6:7] offset:40
	global_load_dwordx2 v[6:7], v0, s[6:7]
	s_waitcnt vmcnt(1)
	v_and_b32_e32 v1, v1, v9
	v_and_b32_e32 v2, v2, v10
	v_mul_lo_u32 v2, v2, 24
	v_mul_hi_u32 v3, v1, 24
	v_mul_lo_u32 v1, v1, 24
	v_add_u32_e32 v2, v3, v2
	s_waitcnt vmcnt(0)
	v_add_co_u32_e32 v1, vcc, v6, v1
	v_addc_co_u32_e32 v2, vcc, v7, v2, vcc
	global_load_dwordx2 v[7:8], v[1:2], off glc
	s_waitcnt vmcnt(0)
	global_atomic_cmpswap_x2 v[7:8], v0, v[7:10], s[6:7] offset:24 glc
	s_waitcnt vmcnt(0)
	buffer_wbinvl1_vol
	v_cmp_ne_u64_e32 vcc, v[7:8], v[9:10]
	s_and_saveexec_b64 s[18:19], vcc
	s_cbranch_execz .LBB7_131
; %bb.128:
	s_mov_b64 s[20:21], 0
.LBB7_129:                              ; =>This Inner Loop Header: Depth=1
	s_sleep 1
	global_load_dwordx2 v[1:2], v0, s[6:7] offset:40
	global_load_dwordx2 v[11:12], v0, s[6:7]
	v_mov_b32_e32 v10, v8
	v_mov_b32_e32 v9, v7
	s_waitcnt vmcnt(1)
	v_and_b32_e32 v1, v1, v9
	s_waitcnt vmcnt(0)
	v_mad_u64_u32 v[6:7], s[22:23], v1, 24, v[11:12]
	v_and_b32_e32 v2, v2, v10
	v_mov_b32_e32 v1, v7
	v_mad_u64_u32 v[1:2], s[22:23], v2, 24, v[1:2]
	v_mov_b32_e32 v7, v1
	global_load_dwordx2 v[7:8], v[6:7], off glc
	s_waitcnt vmcnt(0)
	global_atomic_cmpswap_x2 v[7:8], v0, v[7:10], s[6:7] offset:24 glc
	s_waitcnt vmcnt(0)
	buffer_wbinvl1_vol
	v_cmp_eq_u64_e32 vcc, v[7:8], v[9:10]
	s_or_b64 s[20:21], vcc, s[20:21]
	s_andn2_b64 exec, exec, s[20:21]
	s_cbranch_execnz .LBB7_129
; %bb.130:
	s_or_b64 exec, exec, s[20:21]
.LBB7_131:
	s_or_b64 exec, exec, s[18:19]
.LBB7_132:
	s_or_b64 exec, exec, s[16:17]
	v_mov_b32_e32 v6, 0
	global_load_dwordx2 v[9:10], v6, s[6:7] offset:40
	global_load_dwordx4 v[0:3], v6, s[6:7]
	v_readfirstlane_b32 s16, v7
	v_readfirstlane_b32 s17, v8
	s_mov_b64 s[18:19], exec
	s_waitcnt vmcnt(1)
	v_readfirstlane_b32 s20, v9
	v_readfirstlane_b32 s21, v10
	s_and_b64 s[20:21], s[16:17], s[20:21]
	s_mul_i32 s15, s21, 24
	s_mul_hi_u32 s22, s20, 24
	s_mul_i32 s23, s20, 24
	s_add_i32 s15, s22, s15
	v_mov_b32_e32 v7, s15
	s_waitcnt vmcnt(0)
	v_add_co_u32_e32 v8, vcc, s23, v0
	v_addc_co_u32_e32 v9, vcc, v1, v7, vcc
	s_and_saveexec_b64 s[22:23], s[4:5]
	s_cbranch_execz .LBB7_134
; %bb.133:
	v_mov_b32_e32 v10, s18
	v_mov_b32_e32 v11, s19
	;; [unrolled: 1-line block ×4, first 2 shown]
	global_store_dwordx4 v[8:9], v[10:13], off offset:8
.LBB7_134:
	s_or_b64 exec, exec, s[22:23]
	s_lshl_b64 s[18:19], s[20:21], 12
	v_mov_b32_e32 v7, s19
	v_add_co_u32_e32 v2, vcc, s18, v2
	v_addc_co_u32_e32 v3, vcc, v3, v7, vcc
	s_movk_i32 s15, 0xff1f
	v_and_or_b32 v4, v4, s15, 32
	v_add_co_u32_e32 v10, vcc, v2, v31
	s_mov_b32 s20, 0
	v_mov_b32_e32 v7, v6
	v_readfirstlane_b32 s18, v2
	v_readfirstlane_b32 s19, v3
	v_addc_co_u32_e32 v11, vcc, 0, v3, vcc
	s_mov_b32 s21, s20
	s_mov_b32 s22, s20
	;; [unrolled: 1-line block ×3, first 2 shown]
	s_nop 0
	global_store_dwordx4 v31, v[4:7], s[18:19]
	v_mov_b32_e32 v2, s20
	v_mov_b32_e32 v3, s21
	;; [unrolled: 1-line block ×4, first 2 shown]
	global_store_dwordx4 v31, v[2:5], s[18:19] offset:16
	global_store_dwordx4 v31, v[2:5], s[18:19] offset:32
	;; [unrolled: 1-line block ×3, first 2 shown]
	s_and_saveexec_b64 s[18:19], s[4:5]
	s_cbranch_execz .LBB7_142
; %bb.135:
	v_mov_b32_e32 v6, 0
	global_load_dwordx2 v[14:15], v6, s[6:7] offset:32 glc
	global_load_dwordx2 v[2:3], v6, s[6:7] offset:40
	v_mov_b32_e32 v12, s16
	v_mov_b32_e32 v13, s17
	s_waitcnt vmcnt(0)
	v_readfirstlane_b32 s20, v2
	v_readfirstlane_b32 s21, v3
	s_and_b64 s[20:21], s[20:21], s[16:17]
	s_mul_i32 s15, s21, 24
	s_mul_hi_u32 s21, s20, 24
	s_mul_i32 s20, s20, 24
	s_add_i32 s15, s21, s15
	v_mov_b32_e32 v2, s15
	v_add_co_u32_e32 v4, vcc, s20, v0
	v_addc_co_u32_e32 v5, vcc, v1, v2, vcc
	global_store_dwordx2 v[4:5], v[14:15], off
	s_waitcnt vmcnt(0)
	global_atomic_cmpswap_x2 v[2:3], v6, v[12:15], s[6:7] offset:32 glc
	s_waitcnt vmcnt(0)
	v_cmp_ne_u64_e32 vcc, v[2:3], v[14:15]
	s_and_saveexec_b64 s[20:21], vcc
	s_cbranch_execz .LBB7_138
; %bb.136:
	s_mov_b64 s[22:23], 0
.LBB7_137:                              ; =>This Inner Loop Header: Depth=1
	s_sleep 1
	global_store_dwordx2 v[4:5], v[2:3], off
	v_mov_b32_e32 v0, s16
	v_mov_b32_e32 v1, s17
	s_waitcnt vmcnt(0)
	global_atomic_cmpswap_x2 v[0:1], v6, v[0:3], s[6:7] offset:32 glc
	s_waitcnt vmcnt(0)
	v_cmp_eq_u64_e32 vcc, v[0:1], v[2:3]
	v_mov_b32_e32 v3, v1
	s_or_b64 s[22:23], vcc, s[22:23]
	v_mov_b32_e32 v2, v0
	s_andn2_b64 exec, exec, s[22:23]
	s_cbranch_execnz .LBB7_137
.LBB7_138:
	s_or_b64 exec, exec, s[20:21]
	v_mov_b32_e32 v3, 0
	global_load_dwordx2 v[0:1], v3, s[6:7] offset:16
	s_mov_b64 s[20:21], exec
	v_mbcnt_lo_u32_b32 v2, s20, 0
	v_mbcnt_hi_u32_b32 v2, s21, v2
	v_cmp_eq_u32_e32 vcc, 0, v2
	s_and_saveexec_b64 s[22:23], vcc
	s_cbranch_execz .LBB7_140
; %bb.139:
	s_bcnt1_i32_b64 s15, s[20:21]
	v_mov_b32_e32 v2, s15
	s_waitcnt vmcnt(0)
	global_atomic_add_x2 v[0:1], v[2:3], off offset:8
.LBB7_140:
	s_or_b64 exec, exec, s[22:23]
	s_waitcnt vmcnt(0)
	global_load_dwordx2 v[2:3], v[0:1], off offset:16
	s_waitcnt vmcnt(0)
	v_cmp_eq_u64_e32 vcc, 0, v[2:3]
	s_cbranch_vccnz .LBB7_142
; %bb.141:
	global_load_dword v0, v[0:1], off offset:24
	v_mov_b32_e32 v1, 0
	s_waitcnt vmcnt(0)
	global_store_dwordx2 v[2:3], v[0:1], off
	v_and_b32_e32 v0, 0xffffff, v0
	v_readfirstlane_b32 m0, v0
	s_sendmsg sendmsg(MSG_INTERRUPT)
.LBB7_142:
	s_or_b64 exec, exec, s[18:19]
	s_branch .LBB7_146
.LBB7_143:                              ;   in Loop: Header=BB7_146 Depth=1
	s_or_b64 exec, exec, s[18:19]
	v_readfirstlane_b32 s15, v0
	s_cmp_eq_u32 s15, 0
	s_cbranch_scc1 .LBB7_145
; %bb.144:                              ;   in Loop: Header=BB7_146 Depth=1
	s_sleep 1
	s_cbranch_execnz .LBB7_146
	s_branch .LBB7_148
.LBB7_145:
	s_branch .LBB7_148
.LBB7_146:                              ; =>This Inner Loop Header: Depth=1
	v_mov_b32_e32 v0, 1
	s_and_saveexec_b64 s[18:19], s[4:5]
	s_cbranch_execz .LBB7_143
; %bb.147:                              ;   in Loop: Header=BB7_146 Depth=1
	global_load_dword v0, v[8:9], off offset:20 glc
	s_waitcnt vmcnt(0)
	buffer_wbinvl1_vol
	v_and_b32_e32 v0, 1, v0
	s_branch .LBB7_143
.LBB7_148:
	global_load_dwordx2 v[0:1], v[10:11], off
	s_and_saveexec_b64 s[18:19], s[4:5]
	s_cbranch_execz .LBB7_151
; %bb.149:
	v_mov_b32_e32 v8, 0
	global_load_dwordx2 v[4:5], v8, s[6:7] offset:40
	global_load_dwordx2 v[9:10], v8, s[6:7] offset:24 glc
	global_load_dwordx2 v[6:7], v8, s[6:7]
	v_mov_b32_e32 v3, s17
	s_mov_b64 s[4:5], 0
	s_waitcnt vmcnt(2)
	v_add_co_u32_e32 v11, vcc, 1, v4
	v_addc_co_u32_e32 v12, vcc, 0, v5, vcc
	v_add_co_u32_e32 v2, vcc, s16, v11
	v_addc_co_u32_e32 v3, vcc, v12, v3, vcc
	v_cmp_eq_u64_e32 vcc, 0, v[2:3]
	v_cndmask_b32_e32 v3, v3, v12, vcc
	v_cndmask_b32_e32 v2, v2, v11, vcc
	v_and_b32_e32 v5, v3, v5
	v_and_b32_e32 v4, v2, v4
	v_mul_lo_u32 v5, v5, 24
	v_mul_hi_u32 v11, v4, 24
	v_mul_lo_u32 v12, v4, 24
	s_waitcnt vmcnt(1)
	v_mov_b32_e32 v4, v9
	v_add_u32_e32 v5, v11, v5
	s_waitcnt vmcnt(0)
	v_add_co_u32_e32 v6, vcc, v6, v12
	v_addc_co_u32_e32 v7, vcc, v7, v5, vcc
	global_store_dwordx2 v[6:7], v[9:10], off
	v_mov_b32_e32 v5, v10
	s_waitcnt vmcnt(0)
	global_atomic_cmpswap_x2 v[4:5], v8, v[2:5], s[6:7] offset:24 glc
	s_waitcnt vmcnt(0)
	v_cmp_ne_u64_e32 vcc, v[4:5], v[9:10]
	s_and_b64 exec, exec, vcc
	s_cbranch_execz .LBB7_151
.LBB7_150:                              ; =>This Inner Loop Header: Depth=1
	s_sleep 1
	global_store_dwordx2 v[6:7], v[4:5], off
	s_waitcnt vmcnt(0)
	global_atomic_cmpswap_x2 v[9:10], v8, v[2:5], s[6:7] offset:24 glc
	s_waitcnt vmcnt(0)
	v_cmp_eq_u64_e32 vcc, v[9:10], v[4:5]
	v_mov_b32_e32 v4, v9
	s_or_b64 s[4:5], vcc, s[4:5]
	v_mov_b32_e32 v5, v10
	s_andn2_b64 exec, exec, s[4:5]
	s_cbranch_execnz .LBB7_150
.LBB7_151:
	s_or_b64 exec, exec, s[18:19]
.LBB7_152:
	s_getpc_b64 s[16:17]
	s_add_u32 s16, s16, __PRETTY_FUNCTION__._ZL22merge_large_differenceRN8migraphx4test12test_managerE@rel32@lo+4
	s_addc_u32 s17, s17, __PRETTY_FUNCTION__._ZL22merge_large_differenceRN8migraphx4test12test_managerE@rel32@hi+12
	s_cmp_lg_u64 s[16:17], 0
	s_cbranch_scc0 .LBB7_237
; %bb.153:
	s_waitcnt vmcnt(0)
	v_and_b32_e32 v6, -3, v0
	v_mov_b32_e32 v7, v1
	s_mov_b64 s[18:19], 60
	v_mov_b32_e32 v26, 0
	v_mov_b32_e32 v4, 2
	;; [unrolled: 1-line block ×3, first 2 shown]
	s_branch .LBB7_155
.LBB7_154:                              ;   in Loop: Header=BB7_155 Depth=1
	s_or_b64 exec, exec, s[24:25]
	s_sub_u32 s18, s18, s20
	s_subb_u32 s19, s19, s21
	s_add_u32 s16, s16, s20
	s_addc_u32 s17, s17, s21
	s_cmp_lg_u64 s[18:19], 0
	s_cbranch_scc0 .LBB7_236
.LBB7_155:                              ; =>This Loop Header: Depth=1
                                        ;     Child Loop BB7_158 Depth 2
                                        ;     Child Loop BB7_165 Depth 2
	;; [unrolled: 1-line block ×11, first 2 shown]
	v_cmp_lt_u64_e64 s[4:5], s[18:19], 56
	v_cmp_gt_u64_e64 s[22:23], s[18:19], 7
	s_and_b64 s[4:5], s[4:5], exec
	s_cselect_b32 s21, s19, 0
	s_cselect_b32 s20, s18, 56
	s_and_b64 vcc, exec, s[22:23]
	s_cbranch_vccnz .LBB7_160
; %bb.156:                              ;   in Loop: Header=BB7_155 Depth=1
	s_waitcnt vmcnt(0)
	v_mov_b32_e32 v8, 0
	s_cmp_eq_u64 s[18:19], 0
	v_mov_b32_e32 v9, 0
	s_mov_b64 s[4:5], 0
	s_cbranch_scc1 .LBB7_159
; %bb.157:                              ;   in Loop: Header=BB7_155 Depth=1
	v_mov_b32_e32 v8, 0
	s_lshl_b64 s[22:23], s[20:21], 3
	s_mov_b64 s[24:25], 0
	v_mov_b32_e32 v9, 0
	s_mov_b64 s[26:27], s[16:17]
.LBB7_158:                              ;   Parent Loop BB7_155 Depth=1
                                        ; =>  This Inner Loop Header: Depth=2
	global_load_ubyte v2, v26, s[26:27]
	s_waitcnt vmcnt(0)
	v_and_b32_e32 v25, 0xffff, v2
	v_lshlrev_b64 v[2:3], s24, v[25:26]
	s_add_u32 s24, s24, 8
	s_addc_u32 s25, s25, 0
	s_add_u32 s26, s26, 1
	s_addc_u32 s27, s27, 0
	v_or_b32_e32 v8, v2, v8
	s_cmp_lg_u32 s22, s24
	v_or_b32_e32 v9, v3, v9
	s_cbranch_scc1 .LBB7_158
.LBB7_159:                              ;   in Loop: Header=BB7_155 Depth=1
	s_mov_b32 s15, 0
	s_andn2_b64 vcc, exec, s[4:5]
	s_mov_b64 s[4:5], s[16:17]
	s_cbranch_vccz .LBB7_161
	s_branch .LBB7_162
.LBB7_160:                              ;   in Loop: Header=BB7_155 Depth=1
                                        ; implicit-def: $sgpr15
	s_mov_b64 s[4:5], s[16:17]
.LBB7_161:                              ;   in Loop: Header=BB7_155 Depth=1
	global_load_dwordx2 v[8:9], v26, s[16:17]
	s_add_i32 s15, s20, -8
	s_add_u32 s4, s16, 8
	s_addc_u32 s5, s17, 0
.LBB7_162:                              ;   in Loop: Header=BB7_155 Depth=1
	s_cmp_gt_u32 s15, 7
	s_cbranch_scc1 .LBB7_166
; %bb.163:                              ;   in Loop: Header=BB7_155 Depth=1
	s_cmp_eq_u32 s15, 0
	s_cbranch_scc1 .LBB7_167
; %bb.164:                              ;   in Loop: Header=BB7_155 Depth=1
	v_mov_b32_e32 v10, 0
	s_mov_b64 s[22:23], 0
	v_mov_b32_e32 v11, 0
	s_mov_b64 s[24:25], 0
.LBB7_165:                              ;   Parent Loop BB7_155 Depth=1
                                        ; =>  This Inner Loop Header: Depth=2
	s_add_u32 s26, s4, s24
	s_addc_u32 s27, s5, s25
	global_load_ubyte v2, v26, s[26:27]
	s_add_u32 s24, s24, 1
	s_addc_u32 s25, s25, 0
	s_waitcnt vmcnt(0)
	v_and_b32_e32 v25, 0xffff, v2
	v_lshlrev_b64 v[2:3], s22, v[25:26]
	s_add_u32 s22, s22, 8
	s_addc_u32 s23, s23, 0
	v_or_b32_e32 v10, v2, v10
	s_cmp_lg_u32 s15, s24
	v_or_b32_e32 v11, v3, v11
	s_cbranch_scc1 .LBB7_165
	s_branch .LBB7_168
.LBB7_166:                              ;   in Loop: Header=BB7_155 Depth=1
                                        ; implicit-def: $vgpr10_vgpr11
                                        ; implicit-def: $sgpr26
	s_branch .LBB7_169
.LBB7_167:                              ;   in Loop: Header=BB7_155 Depth=1
	v_mov_b32_e32 v10, 0
	v_mov_b32_e32 v11, 0
.LBB7_168:                              ;   in Loop: Header=BB7_155 Depth=1
	s_mov_b32 s26, 0
	s_cbranch_execnz .LBB7_170
.LBB7_169:                              ;   in Loop: Header=BB7_155 Depth=1
	global_load_dwordx2 v[10:11], v26, s[4:5]
	s_add_i32 s26, s15, -8
	s_add_u32 s4, s4, 8
	s_addc_u32 s5, s5, 0
.LBB7_170:                              ;   in Loop: Header=BB7_155 Depth=1
	s_cmp_gt_u32 s26, 7
	s_cbranch_scc1 .LBB7_174
; %bb.171:                              ;   in Loop: Header=BB7_155 Depth=1
	s_cmp_eq_u32 s26, 0
	s_cbranch_scc1 .LBB7_175
; %bb.172:                              ;   in Loop: Header=BB7_155 Depth=1
	v_mov_b32_e32 v12, 0
	s_mov_b64 s[22:23], 0
	v_mov_b32_e32 v13, 0
	s_mov_b64 s[24:25], 0
.LBB7_173:                              ;   Parent Loop BB7_155 Depth=1
                                        ; =>  This Inner Loop Header: Depth=2
	s_add_u32 s28, s4, s24
	s_addc_u32 s29, s5, s25
	global_load_ubyte v2, v26, s[28:29]
	s_add_u32 s24, s24, 1
	s_addc_u32 s25, s25, 0
	s_waitcnt vmcnt(0)
	v_and_b32_e32 v25, 0xffff, v2
	v_lshlrev_b64 v[2:3], s22, v[25:26]
	s_add_u32 s22, s22, 8
	s_addc_u32 s23, s23, 0
	v_or_b32_e32 v12, v2, v12
	s_cmp_lg_u32 s26, s24
	v_or_b32_e32 v13, v3, v13
	s_cbranch_scc1 .LBB7_173
	s_branch .LBB7_176
.LBB7_174:                              ;   in Loop: Header=BB7_155 Depth=1
                                        ; implicit-def: $sgpr15
	s_branch .LBB7_177
.LBB7_175:                              ;   in Loop: Header=BB7_155 Depth=1
	v_mov_b32_e32 v12, 0
	v_mov_b32_e32 v13, 0
.LBB7_176:                              ;   in Loop: Header=BB7_155 Depth=1
	s_mov_b32 s15, 0
	s_cbranch_execnz .LBB7_178
.LBB7_177:                              ;   in Loop: Header=BB7_155 Depth=1
	global_load_dwordx2 v[12:13], v26, s[4:5]
	s_add_i32 s15, s26, -8
	s_add_u32 s4, s4, 8
	s_addc_u32 s5, s5, 0
.LBB7_178:                              ;   in Loop: Header=BB7_155 Depth=1
	s_cmp_gt_u32 s15, 7
	s_cbranch_scc1 .LBB7_182
; %bb.179:                              ;   in Loop: Header=BB7_155 Depth=1
	s_cmp_eq_u32 s15, 0
	s_cbranch_scc1 .LBB7_183
; %bb.180:                              ;   in Loop: Header=BB7_155 Depth=1
	v_mov_b32_e32 v14, 0
	s_mov_b64 s[22:23], 0
	v_mov_b32_e32 v15, 0
	s_mov_b64 s[24:25], 0
.LBB7_181:                              ;   Parent Loop BB7_155 Depth=1
                                        ; =>  This Inner Loop Header: Depth=2
	s_add_u32 s26, s4, s24
	s_addc_u32 s27, s5, s25
	global_load_ubyte v2, v26, s[26:27]
	s_add_u32 s24, s24, 1
	s_addc_u32 s25, s25, 0
	s_waitcnt vmcnt(0)
	v_and_b32_e32 v25, 0xffff, v2
	v_lshlrev_b64 v[2:3], s22, v[25:26]
	s_add_u32 s22, s22, 8
	s_addc_u32 s23, s23, 0
	v_or_b32_e32 v14, v2, v14
	s_cmp_lg_u32 s15, s24
	v_or_b32_e32 v15, v3, v15
	s_cbranch_scc1 .LBB7_181
	s_branch .LBB7_184
.LBB7_182:                              ;   in Loop: Header=BB7_155 Depth=1
                                        ; implicit-def: $vgpr14_vgpr15
                                        ; implicit-def: $sgpr26
	s_branch .LBB7_185
.LBB7_183:                              ;   in Loop: Header=BB7_155 Depth=1
	v_mov_b32_e32 v14, 0
	v_mov_b32_e32 v15, 0
.LBB7_184:                              ;   in Loop: Header=BB7_155 Depth=1
	s_mov_b32 s26, 0
	s_cbranch_execnz .LBB7_186
.LBB7_185:                              ;   in Loop: Header=BB7_155 Depth=1
	global_load_dwordx2 v[14:15], v26, s[4:5]
	s_add_i32 s26, s15, -8
	s_add_u32 s4, s4, 8
	s_addc_u32 s5, s5, 0
.LBB7_186:                              ;   in Loop: Header=BB7_155 Depth=1
	s_cmp_gt_u32 s26, 7
	s_cbranch_scc1 .LBB7_190
; %bb.187:                              ;   in Loop: Header=BB7_155 Depth=1
	s_cmp_eq_u32 s26, 0
	s_cbranch_scc1 .LBB7_191
; %bb.188:                              ;   in Loop: Header=BB7_155 Depth=1
	v_mov_b32_e32 v16, 0
	s_mov_b64 s[22:23], 0
	v_mov_b32_e32 v17, 0
	s_mov_b64 s[24:25], 0
.LBB7_189:                              ;   Parent Loop BB7_155 Depth=1
                                        ; =>  This Inner Loop Header: Depth=2
	s_add_u32 s28, s4, s24
	s_addc_u32 s29, s5, s25
	global_load_ubyte v2, v26, s[28:29]
	s_add_u32 s24, s24, 1
	s_addc_u32 s25, s25, 0
	s_waitcnt vmcnt(0)
	v_and_b32_e32 v25, 0xffff, v2
	v_lshlrev_b64 v[2:3], s22, v[25:26]
	s_add_u32 s22, s22, 8
	s_addc_u32 s23, s23, 0
	v_or_b32_e32 v16, v2, v16
	s_cmp_lg_u32 s26, s24
	v_or_b32_e32 v17, v3, v17
	s_cbranch_scc1 .LBB7_189
	s_branch .LBB7_192
.LBB7_190:                              ;   in Loop: Header=BB7_155 Depth=1
                                        ; implicit-def: $sgpr15
	s_branch .LBB7_193
.LBB7_191:                              ;   in Loop: Header=BB7_155 Depth=1
	v_mov_b32_e32 v16, 0
	v_mov_b32_e32 v17, 0
.LBB7_192:                              ;   in Loop: Header=BB7_155 Depth=1
	s_mov_b32 s15, 0
	s_cbranch_execnz .LBB7_194
.LBB7_193:                              ;   in Loop: Header=BB7_155 Depth=1
	global_load_dwordx2 v[16:17], v26, s[4:5]
	s_add_i32 s15, s26, -8
	s_add_u32 s4, s4, 8
	s_addc_u32 s5, s5, 0
.LBB7_194:                              ;   in Loop: Header=BB7_155 Depth=1
	s_cmp_gt_u32 s15, 7
	s_cbranch_scc1 .LBB7_198
; %bb.195:                              ;   in Loop: Header=BB7_155 Depth=1
	s_cmp_eq_u32 s15, 0
	s_cbranch_scc1 .LBB7_199
; %bb.196:                              ;   in Loop: Header=BB7_155 Depth=1
	v_mov_b32_e32 v18, 0
	s_mov_b64 s[22:23], 0
	v_mov_b32_e32 v19, 0
	s_mov_b64 s[24:25], 0
.LBB7_197:                              ;   Parent Loop BB7_155 Depth=1
                                        ; =>  This Inner Loop Header: Depth=2
	s_add_u32 s26, s4, s24
	s_addc_u32 s27, s5, s25
	global_load_ubyte v2, v26, s[26:27]
	s_add_u32 s24, s24, 1
	s_addc_u32 s25, s25, 0
	s_waitcnt vmcnt(0)
	v_and_b32_e32 v25, 0xffff, v2
	v_lshlrev_b64 v[2:3], s22, v[25:26]
	s_add_u32 s22, s22, 8
	s_addc_u32 s23, s23, 0
	v_or_b32_e32 v18, v2, v18
	s_cmp_lg_u32 s15, s24
	v_or_b32_e32 v19, v3, v19
	s_cbranch_scc1 .LBB7_197
	s_branch .LBB7_200
.LBB7_198:                              ;   in Loop: Header=BB7_155 Depth=1
                                        ; implicit-def: $vgpr18_vgpr19
                                        ; implicit-def: $sgpr26
	s_branch .LBB7_201
.LBB7_199:                              ;   in Loop: Header=BB7_155 Depth=1
	v_mov_b32_e32 v18, 0
	v_mov_b32_e32 v19, 0
.LBB7_200:                              ;   in Loop: Header=BB7_155 Depth=1
	s_mov_b32 s26, 0
	s_cbranch_execnz .LBB7_202
.LBB7_201:                              ;   in Loop: Header=BB7_155 Depth=1
	global_load_dwordx2 v[18:19], v26, s[4:5]
	s_add_i32 s26, s15, -8
	s_add_u32 s4, s4, 8
	s_addc_u32 s5, s5, 0
.LBB7_202:                              ;   in Loop: Header=BB7_155 Depth=1
	s_cmp_gt_u32 s26, 7
	s_cbranch_scc1 .LBB7_206
; %bb.203:                              ;   in Loop: Header=BB7_155 Depth=1
	s_cmp_eq_u32 s26, 0
	s_cbranch_scc1 .LBB7_207
; %bb.204:                              ;   in Loop: Header=BB7_155 Depth=1
	v_mov_b32_e32 v20, 0
	s_mov_b64 s[22:23], 0
	v_mov_b32_e32 v21, 0
	s_mov_b64 s[24:25], s[4:5]
.LBB7_205:                              ;   Parent Loop BB7_155 Depth=1
                                        ; =>  This Inner Loop Header: Depth=2
	global_load_ubyte v2, v26, s[24:25]
	s_add_i32 s26, s26, -1
	s_waitcnt vmcnt(0)
	v_and_b32_e32 v25, 0xffff, v2
	v_lshlrev_b64 v[2:3], s22, v[25:26]
	s_add_u32 s22, s22, 8
	s_addc_u32 s23, s23, 0
	s_add_u32 s24, s24, 1
	s_addc_u32 s25, s25, 0
	v_or_b32_e32 v20, v2, v20
	s_cmp_lg_u32 s26, 0
	v_or_b32_e32 v21, v3, v21
	s_cbranch_scc1 .LBB7_205
	s_branch .LBB7_208
.LBB7_206:                              ;   in Loop: Header=BB7_155 Depth=1
	s_branch .LBB7_209
.LBB7_207:                              ;   in Loop: Header=BB7_155 Depth=1
	v_mov_b32_e32 v20, 0
	v_mov_b32_e32 v21, 0
.LBB7_208:                              ;   in Loop: Header=BB7_155 Depth=1
	s_cbranch_execnz .LBB7_210
.LBB7_209:                              ;   in Loop: Header=BB7_155 Depth=1
	global_load_dwordx2 v[20:21], v26, s[4:5]
.LBB7_210:                              ;   in Loop: Header=BB7_155 Depth=1
	v_readfirstlane_b32 s4, v32
	v_mov_b32_e32 v2, 0
	v_mov_b32_e32 v3, 0
	v_cmp_eq_u32_e64 s[4:5], s4, v32
	s_and_saveexec_b64 s[22:23], s[4:5]
	s_cbranch_execz .LBB7_216
; %bb.211:                              ;   in Loop: Header=BB7_155 Depth=1
	global_load_dwordx2 v[24:25], v26, s[6:7] offset:24 glc
	s_waitcnt vmcnt(0)
	buffer_wbinvl1_vol
	global_load_dwordx2 v[2:3], v26, s[6:7] offset:40
	global_load_dwordx2 v[22:23], v26, s[6:7]
	s_waitcnt vmcnt(1)
	v_and_b32_e32 v2, v2, v24
	v_and_b32_e32 v3, v3, v25
	v_mul_lo_u32 v3, v3, 24
	v_mul_hi_u32 v27, v2, 24
	v_mul_lo_u32 v2, v2, 24
	v_add_u32_e32 v3, v27, v3
	s_waitcnt vmcnt(0)
	v_add_co_u32_e32 v2, vcc, v22, v2
	v_addc_co_u32_e32 v3, vcc, v23, v3, vcc
	global_load_dwordx2 v[22:23], v[2:3], off glc
	s_waitcnt vmcnt(0)
	global_atomic_cmpswap_x2 v[2:3], v26, v[22:25], s[6:7] offset:24 glc
	s_waitcnt vmcnt(0)
	buffer_wbinvl1_vol
	v_cmp_ne_u64_e32 vcc, v[2:3], v[24:25]
	s_and_saveexec_b64 s[24:25], vcc
	s_cbranch_execz .LBB7_215
; %bb.212:                              ;   in Loop: Header=BB7_155 Depth=1
	s_mov_b64 s[26:27], 0
.LBB7_213:                              ;   Parent Loop BB7_155 Depth=1
                                        ; =>  This Inner Loop Header: Depth=2
	s_sleep 1
	global_load_dwordx2 v[22:23], v26, s[6:7] offset:40
	global_load_dwordx2 v[27:28], v26, s[6:7]
	v_mov_b32_e32 v25, v3
	v_mov_b32_e32 v24, v2
	s_waitcnt vmcnt(1)
	v_and_b32_e32 v2, v22, v24
	s_waitcnt vmcnt(0)
	v_mad_u64_u32 v[2:3], s[28:29], v2, 24, v[27:28]
	v_and_b32_e32 v22, v23, v25
	v_mad_u64_u32 v[22:23], s[28:29], v22, 24, v[3:4]
	v_mov_b32_e32 v3, v22
	global_load_dwordx2 v[22:23], v[2:3], off glc
	s_waitcnt vmcnt(0)
	global_atomic_cmpswap_x2 v[2:3], v26, v[22:25], s[6:7] offset:24 glc
	s_waitcnt vmcnt(0)
	buffer_wbinvl1_vol
	v_cmp_eq_u64_e32 vcc, v[2:3], v[24:25]
	s_or_b64 s[26:27], vcc, s[26:27]
	s_andn2_b64 exec, exec, s[26:27]
	s_cbranch_execnz .LBB7_213
; %bb.214:                              ;   in Loop: Header=BB7_155 Depth=1
	s_or_b64 exec, exec, s[26:27]
.LBB7_215:                              ;   in Loop: Header=BB7_155 Depth=1
	s_or_b64 exec, exec, s[24:25]
.LBB7_216:                              ;   in Loop: Header=BB7_155 Depth=1
	s_or_b64 exec, exec, s[22:23]
	global_load_dwordx2 v[27:28], v26, s[6:7] offset:40
	global_load_dwordx4 v[22:25], v26, s[6:7]
	v_readfirstlane_b32 s22, v2
	v_readfirstlane_b32 s23, v3
	s_mov_b64 s[24:25], exec
	s_waitcnt vmcnt(1)
	v_readfirstlane_b32 s26, v27
	v_readfirstlane_b32 s27, v28
	s_and_b64 s[26:27], s[22:23], s[26:27]
	s_mul_i32 s15, s27, 24
	s_mul_hi_u32 s28, s26, 24
	s_mul_i32 s29, s26, 24
	s_add_i32 s15, s28, s15
	v_mov_b32_e32 v2, s15
	s_waitcnt vmcnt(0)
	v_add_co_u32_e32 v27, vcc, s29, v22
	v_addc_co_u32_e32 v28, vcc, v23, v2, vcc
	s_and_saveexec_b64 s[28:29], s[4:5]
	s_cbranch_execz .LBB7_218
; %bb.217:                              ;   in Loop: Header=BB7_155 Depth=1
	v_mov_b32_e32 v2, s24
	v_mov_b32_e32 v3, s25
	global_store_dwordx4 v[27:28], v[2:5], off offset:8
.LBB7_218:                              ;   in Loop: Header=BB7_155 Depth=1
	s_or_b64 exec, exec, s[28:29]
	s_lshl_b64 s[24:25], s[26:27], 12
	v_mov_b32_e32 v2, s25
	v_add_co_u32_e32 v24, vcc, s24, v24
	v_addc_co_u32_e32 v29, vcc, v25, v2, vcc
	v_cmp_gt_u64_e64 vcc, s[18:19], 56
	v_or_b32_e32 v2, 2, v6
	s_lshl_b32 s15, s20, 2
	v_cndmask_b32_e32 v2, v2, v6, vcc
	s_add_i32 s15, s15, 28
	s_and_b32 s15, s15, 0x1e0
	v_and_b32_e32 v2, 0xffffff1f, v2
	v_or_b32_e32 v6, s15, v2
	v_readfirstlane_b32 s24, v24
	v_readfirstlane_b32 s25, v29
	s_nop 4
	global_store_dwordx4 v31, v[6:9], s[24:25]
	global_store_dwordx4 v31, v[10:13], s[24:25] offset:16
	global_store_dwordx4 v31, v[14:17], s[24:25] offset:32
	global_store_dwordx4 v31, v[18:21], s[24:25] offset:48
	s_and_saveexec_b64 s[24:25], s[4:5]
	s_cbranch_execz .LBB7_226
; %bb.219:                              ;   in Loop: Header=BB7_155 Depth=1
	global_load_dwordx2 v[10:11], v26, s[6:7] offset:32 glc
	global_load_dwordx2 v[2:3], v26, s[6:7] offset:40
	v_mov_b32_e32 v8, s22
	v_mov_b32_e32 v9, s23
	s_waitcnt vmcnt(0)
	v_readfirstlane_b32 s26, v2
	v_readfirstlane_b32 s27, v3
	s_and_b64 s[26:27], s[26:27], s[22:23]
	s_mul_i32 s15, s27, 24
	s_mul_hi_u32 s27, s26, 24
	s_mul_i32 s26, s26, 24
	s_add_i32 s15, s27, s15
	v_mov_b32_e32 v3, s15
	v_add_co_u32_e32 v2, vcc, s26, v22
	v_addc_co_u32_e32 v3, vcc, v23, v3, vcc
	global_store_dwordx2 v[2:3], v[10:11], off
	s_waitcnt vmcnt(0)
	global_atomic_cmpswap_x2 v[8:9], v26, v[8:11], s[6:7] offset:32 glc
	s_waitcnt vmcnt(0)
	v_cmp_ne_u64_e32 vcc, v[8:9], v[10:11]
	s_and_saveexec_b64 s[26:27], vcc
	s_cbranch_execz .LBB7_222
; %bb.220:                              ;   in Loop: Header=BB7_155 Depth=1
	s_mov_b64 s[28:29], 0
.LBB7_221:                              ;   Parent Loop BB7_155 Depth=1
                                        ; =>  This Inner Loop Header: Depth=2
	s_sleep 1
	global_store_dwordx2 v[2:3], v[8:9], off
	v_mov_b32_e32 v6, s22
	v_mov_b32_e32 v7, s23
	s_waitcnt vmcnt(0)
	global_atomic_cmpswap_x2 v[6:7], v26, v[6:9], s[6:7] offset:32 glc
	s_waitcnt vmcnt(0)
	v_cmp_eq_u64_e32 vcc, v[6:7], v[8:9]
	v_mov_b32_e32 v9, v7
	s_or_b64 s[28:29], vcc, s[28:29]
	v_mov_b32_e32 v8, v6
	s_andn2_b64 exec, exec, s[28:29]
	s_cbranch_execnz .LBB7_221
.LBB7_222:                              ;   in Loop: Header=BB7_155 Depth=1
	s_or_b64 exec, exec, s[26:27]
	global_load_dwordx2 v[2:3], v26, s[6:7] offset:16
	s_mov_b64 s[28:29], exec
	v_mbcnt_lo_u32_b32 v6, s28, 0
	v_mbcnt_hi_u32_b32 v6, s29, v6
	v_cmp_eq_u32_e32 vcc, 0, v6
	s_and_saveexec_b64 s[26:27], vcc
	s_cbranch_execz .LBB7_224
; %bb.223:                              ;   in Loop: Header=BB7_155 Depth=1
	s_bcnt1_i32_b64 s15, s[28:29]
	v_mov_b32_e32 v25, s15
	s_waitcnt vmcnt(0)
	global_atomic_add_x2 v[2:3], v[25:26], off offset:8
.LBB7_224:                              ;   in Loop: Header=BB7_155 Depth=1
	s_or_b64 exec, exec, s[26:27]
	s_waitcnt vmcnt(0)
	global_load_dwordx2 v[6:7], v[2:3], off offset:16
	s_waitcnt vmcnt(0)
	v_cmp_eq_u64_e32 vcc, 0, v[6:7]
	s_cbranch_vccnz .LBB7_226
; %bb.225:                              ;   in Loop: Header=BB7_155 Depth=1
	global_load_dword v25, v[2:3], off offset:24
	s_waitcnt vmcnt(0)
	v_and_b32_e32 v2, 0xffffff, v25
	v_readfirstlane_b32 m0, v2
	global_store_dwordx2 v[6:7], v[25:26], off
	s_sendmsg sendmsg(MSG_INTERRUPT)
.LBB7_226:                              ;   in Loop: Header=BB7_155 Depth=1
	s_or_b64 exec, exec, s[24:25]
	v_add_co_u32_e32 v2, vcc, v24, v31
	v_addc_co_u32_e32 v3, vcc, 0, v29, vcc
	s_branch .LBB7_230
.LBB7_227:                              ;   in Loop: Header=BB7_230 Depth=2
	s_or_b64 exec, exec, s[24:25]
	v_readfirstlane_b32 s15, v6
	s_cmp_eq_u32 s15, 0
	s_cbranch_scc1 .LBB7_229
; %bb.228:                              ;   in Loop: Header=BB7_230 Depth=2
	s_sleep 1
	s_cbranch_execnz .LBB7_230
	s_branch .LBB7_232
.LBB7_229:                              ;   in Loop: Header=BB7_155 Depth=1
	s_branch .LBB7_232
.LBB7_230:                              ;   Parent Loop BB7_155 Depth=1
                                        ; =>  This Inner Loop Header: Depth=2
	v_mov_b32_e32 v6, 1
	s_and_saveexec_b64 s[24:25], s[4:5]
	s_cbranch_execz .LBB7_227
; %bb.231:                              ;   in Loop: Header=BB7_230 Depth=2
	global_load_dword v6, v[27:28], off offset:20 glc
	s_waitcnt vmcnt(0)
	buffer_wbinvl1_vol
	v_and_b32_e32 v6, 1, v6
	s_branch .LBB7_227
.LBB7_232:                              ;   in Loop: Header=BB7_155 Depth=1
	global_load_dwordx4 v[6:9], v[2:3], off
	s_and_saveexec_b64 s[24:25], s[4:5]
	s_cbranch_execz .LBB7_154
; %bb.233:                              ;   in Loop: Header=BB7_155 Depth=1
	global_load_dwordx2 v[2:3], v26, s[6:7] offset:40
	global_load_dwordx2 v[12:13], v26, s[6:7] offset:24 glc
	global_load_dwordx2 v[14:15], v26, s[6:7]
	s_waitcnt vmcnt(3)
	v_mov_b32_e32 v9, s23
	s_waitcnt vmcnt(2)
	v_add_co_u32_e32 v10, vcc, 1, v2
	v_addc_co_u32_e32 v11, vcc, 0, v3, vcc
	v_add_co_u32_e32 v8, vcc, s22, v10
	v_addc_co_u32_e32 v9, vcc, v11, v9, vcc
	v_cmp_eq_u64_e32 vcc, 0, v[8:9]
	v_cndmask_b32_e32 v9, v9, v11, vcc
	v_cndmask_b32_e32 v8, v8, v10, vcc
	v_and_b32_e32 v3, v9, v3
	v_and_b32_e32 v2, v8, v2
	v_mul_lo_u32 v3, v3, 24
	v_mul_hi_u32 v11, v2, 24
	v_mul_lo_u32 v2, v2, 24
	s_waitcnt vmcnt(1)
	v_mov_b32_e32 v10, v12
	v_add_u32_e32 v3, v11, v3
	s_waitcnt vmcnt(0)
	v_add_co_u32_e32 v2, vcc, v14, v2
	v_addc_co_u32_e32 v3, vcc, v15, v3, vcc
	global_store_dwordx2 v[2:3], v[12:13], off
	v_mov_b32_e32 v11, v13
	s_waitcnt vmcnt(0)
	global_atomic_cmpswap_x2 v[10:11], v26, v[8:11], s[6:7] offset:24 glc
	s_waitcnt vmcnt(0)
	v_cmp_ne_u64_e32 vcc, v[10:11], v[12:13]
	s_and_b64 exec, exec, vcc
	s_cbranch_execz .LBB7_154
; %bb.234:                              ;   in Loop: Header=BB7_155 Depth=1
	s_mov_b64 s[4:5], 0
.LBB7_235:                              ;   Parent Loop BB7_155 Depth=1
                                        ; =>  This Inner Loop Header: Depth=2
	s_sleep 1
	global_store_dwordx2 v[2:3], v[10:11], off
	s_waitcnt vmcnt(0)
	global_atomic_cmpswap_x2 v[12:13], v26, v[8:11], s[6:7] offset:24 glc
	s_waitcnt vmcnt(0)
	v_cmp_eq_u64_e32 vcc, v[12:13], v[10:11]
	v_mov_b32_e32 v10, v12
	s_or_b64 s[4:5], vcc, s[4:5]
	v_mov_b32_e32 v11, v13
	s_andn2_b64 exec, exec, s[4:5]
	s_cbranch_execnz .LBB7_235
	s_branch .LBB7_154
.LBB7_236:
	s_branch .LBB7_264
.LBB7_237:
	s_cbranch_execz .LBB7_264
; %bb.238:
	v_readfirstlane_b32 s4, v32
	s_waitcnt vmcnt(0)
	v_mov_b32_e32 v8, 0
	v_mov_b32_e32 v9, 0
	v_cmp_eq_u32_e64 s[4:5], s4, v32
	s_and_saveexec_b64 s[16:17], s[4:5]
	s_cbranch_execz .LBB7_244
; %bb.239:
	v_mov_b32_e32 v2, 0
	global_load_dwordx2 v[5:6], v2, s[6:7] offset:24 glc
	s_waitcnt vmcnt(0)
	buffer_wbinvl1_vol
	global_load_dwordx2 v[3:4], v2, s[6:7] offset:40
	global_load_dwordx2 v[7:8], v2, s[6:7]
	s_waitcnt vmcnt(1)
	v_and_b32_e32 v3, v3, v5
	v_and_b32_e32 v4, v4, v6
	v_mul_lo_u32 v4, v4, 24
	v_mul_hi_u32 v9, v3, 24
	v_mul_lo_u32 v3, v3, 24
	v_add_u32_e32 v4, v9, v4
	s_waitcnt vmcnt(0)
	v_add_co_u32_e32 v3, vcc, v7, v3
	v_addc_co_u32_e32 v4, vcc, v8, v4, vcc
	global_load_dwordx2 v[3:4], v[3:4], off glc
	s_waitcnt vmcnt(0)
	global_atomic_cmpswap_x2 v[8:9], v2, v[3:6], s[6:7] offset:24 glc
	s_waitcnt vmcnt(0)
	buffer_wbinvl1_vol
	v_cmp_ne_u64_e32 vcc, v[8:9], v[5:6]
	s_and_saveexec_b64 s[18:19], vcc
	s_cbranch_execz .LBB7_243
; %bb.240:
	s_mov_b64 s[20:21], 0
.LBB7_241:                              ; =>This Inner Loop Header: Depth=1
	s_sleep 1
	global_load_dwordx2 v[3:4], v2, s[6:7] offset:40
	global_load_dwordx2 v[10:11], v2, s[6:7]
	v_mov_b32_e32 v5, v8
	v_mov_b32_e32 v6, v9
	s_waitcnt vmcnt(1)
	v_and_b32_e32 v3, v3, v5
	s_waitcnt vmcnt(0)
	v_mad_u64_u32 v[7:8], s[22:23], v3, 24, v[10:11]
	v_and_b32_e32 v4, v4, v6
	v_mov_b32_e32 v3, v8
	v_mad_u64_u32 v[3:4], s[22:23], v4, 24, v[3:4]
	v_mov_b32_e32 v8, v3
	global_load_dwordx2 v[3:4], v[7:8], off glc
	s_waitcnt vmcnt(0)
	global_atomic_cmpswap_x2 v[8:9], v2, v[3:6], s[6:7] offset:24 glc
	s_waitcnt vmcnt(0)
	buffer_wbinvl1_vol
	v_cmp_eq_u64_e32 vcc, v[8:9], v[5:6]
	s_or_b64 s[20:21], vcc, s[20:21]
	s_andn2_b64 exec, exec, s[20:21]
	s_cbranch_execnz .LBB7_241
; %bb.242:
	s_or_b64 exec, exec, s[20:21]
.LBB7_243:
	s_or_b64 exec, exec, s[18:19]
.LBB7_244:
	s_or_b64 exec, exec, s[16:17]
	v_mov_b32_e32 v2, 0
	global_load_dwordx2 v[10:11], v2, s[6:7] offset:40
	global_load_dwordx4 v[4:7], v2, s[6:7]
	v_readfirstlane_b32 s16, v8
	v_readfirstlane_b32 s17, v9
	s_mov_b64 s[18:19], exec
	s_waitcnt vmcnt(1)
	v_readfirstlane_b32 s20, v10
	v_readfirstlane_b32 s21, v11
	s_and_b64 s[20:21], s[16:17], s[20:21]
	s_mul_i32 s15, s21, 24
	s_mul_hi_u32 s22, s20, 24
	s_mul_i32 s23, s20, 24
	s_add_i32 s15, s22, s15
	v_mov_b32_e32 v3, s15
	s_waitcnt vmcnt(0)
	v_add_co_u32_e32 v8, vcc, s23, v4
	v_addc_co_u32_e32 v9, vcc, v5, v3, vcc
	s_and_saveexec_b64 s[22:23], s[4:5]
	s_cbranch_execz .LBB7_246
; %bb.245:
	v_mov_b32_e32 v10, s18
	v_mov_b32_e32 v11, s19
	;; [unrolled: 1-line block ×4, first 2 shown]
	global_store_dwordx4 v[8:9], v[10:13], off offset:8
.LBB7_246:
	s_or_b64 exec, exec, s[22:23]
	s_lshl_b64 s[18:19], s[20:21], 12
	v_mov_b32_e32 v3, s19
	v_add_co_u32_e32 v6, vcc, s18, v6
	v_addc_co_u32_e32 v7, vcc, v7, v3, vcc
	s_movk_i32 s15, 0xff1d
	v_and_or_b32 v0, v0, s15, 34
	s_mov_b32 s20, 0
	v_mov_b32_e32 v3, v2
	v_readfirstlane_b32 s18, v6
	v_readfirstlane_b32 s19, v7
	s_mov_b32 s21, s20
	s_mov_b32 s22, s20
	;; [unrolled: 1-line block ×3, first 2 shown]
	s_nop 1
	global_store_dwordx4 v31, v[0:3], s[18:19]
	s_nop 0
	v_mov_b32_e32 v0, s20
	v_mov_b32_e32 v1, s21
	;; [unrolled: 1-line block ×4, first 2 shown]
	global_store_dwordx4 v31, v[0:3], s[18:19] offset:16
	global_store_dwordx4 v31, v[0:3], s[18:19] offset:32
	;; [unrolled: 1-line block ×3, first 2 shown]
	s_and_saveexec_b64 s[18:19], s[4:5]
	s_cbranch_execz .LBB7_254
; %bb.247:
	v_mov_b32_e32 v6, 0
	global_load_dwordx2 v[12:13], v6, s[6:7] offset:32 glc
	global_load_dwordx2 v[0:1], v6, s[6:7] offset:40
	v_mov_b32_e32 v10, s16
	v_mov_b32_e32 v11, s17
	s_waitcnt vmcnt(0)
	v_readfirstlane_b32 s20, v0
	v_readfirstlane_b32 s21, v1
	s_and_b64 s[20:21], s[20:21], s[16:17]
	s_mul_i32 s15, s21, 24
	s_mul_hi_u32 s21, s20, 24
	s_mul_i32 s20, s20, 24
	s_add_i32 s15, s21, s15
	v_mov_b32_e32 v0, s15
	v_add_co_u32_e32 v4, vcc, s20, v4
	v_addc_co_u32_e32 v5, vcc, v5, v0, vcc
	global_store_dwordx2 v[4:5], v[12:13], off
	s_waitcnt vmcnt(0)
	global_atomic_cmpswap_x2 v[2:3], v6, v[10:13], s[6:7] offset:32 glc
	s_waitcnt vmcnt(0)
	v_cmp_ne_u64_e32 vcc, v[2:3], v[12:13]
	s_and_saveexec_b64 s[20:21], vcc
	s_cbranch_execz .LBB7_250
; %bb.248:
	s_mov_b64 s[22:23], 0
.LBB7_249:                              ; =>This Inner Loop Header: Depth=1
	s_sleep 1
	global_store_dwordx2 v[4:5], v[2:3], off
	v_mov_b32_e32 v0, s16
	v_mov_b32_e32 v1, s17
	s_waitcnt vmcnt(0)
	global_atomic_cmpswap_x2 v[0:1], v6, v[0:3], s[6:7] offset:32 glc
	s_waitcnt vmcnt(0)
	v_cmp_eq_u64_e32 vcc, v[0:1], v[2:3]
	v_mov_b32_e32 v3, v1
	s_or_b64 s[22:23], vcc, s[22:23]
	v_mov_b32_e32 v2, v0
	s_andn2_b64 exec, exec, s[22:23]
	s_cbranch_execnz .LBB7_249
.LBB7_250:
	s_or_b64 exec, exec, s[20:21]
	v_mov_b32_e32 v3, 0
	global_load_dwordx2 v[0:1], v3, s[6:7] offset:16
	s_mov_b64 s[20:21], exec
	v_mbcnt_lo_u32_b32 v2, s20, 0
	v_mbcnt_hi_u32_b32 v2, s21, v2
	v_cmp_eq_u32_e32 vcc, 0, v2
	s_and_saveexec_b64 s[22:23], vcc
	s_cbranch_execz .LBB7_252
; %bb.251:
	s_bcnt1_i32_b64 s15, s[20:21]
	v_mov_b32_e32 v2, s15
	s_waitcnt vmcnt(0)
	global_atomic_add_x2 v[0:1], v[2:3], off offset:8
.LBB7_252:
	s_or_b64 exec, exec, s[22:23]
	s_waitcnt vmcnt(0)
	global_load_dwordx2 v[2:3], v[0:1], off offset:16
	s_waitcnt vmcnt(0)
	v_cmp_eq_u64_e32 vcc, 0, v[2:3]
	s_cbranch_vccnz .LBB7_254
; %bb.253:
	global_load_dword v0, v[0:1], off offset:24
	v_mov_b32_e32 v1, 0
	s_waitcnt vmcnt(0)
	global_store_dwordx2 v[2:3], v[0:1], off
	v_and_b32_e32 v0, 0xffffff, v0
	v_readfirstlane_b32 m0, v0
	s_sendmsg sendmsg(MSG_INTERRUPT)
.LBB7_254:
	s_or_b64 exec, exec, s[18:19]
	s_branch .LBB7_258
.LBB7_255:                              ;   in Loop: Header=BB7_258 Depth=1
	s_or_b64 exec, exec, s[18:19]
	v_readfirstlane_b32 s15, v0
	s_cmp_eq_u32 s15, 0
	s_cbranch_scc1 .LBB7_257
; %bb.256:                              ;   in Loop: Header=BB7_258 Depth=1
	s_sleep 1
	s_cbranch_execnz .LBB7_258
	s_branch .LBB7_260
.LBB7_257:
	s_branch .LBB7_260
.LBB7_258:                              ; =>This Inner Loop Header: Depth=1
	v_mov_b32_e32 v0, 1
	s_and_saveexec_b64 s[18:19], s[4:5]
	s_cbranch_execz .LBB7_255
; %bb.259:                              ;   in Loop: Header=BB7_258 Depth=1
	global_load_dword v0, v[8:9], off offset:20 glc
	s_waitcnt vmcnt(0)
	buffer_wbinvl1_vol
	v_and_b32_e32 v0, 1, v0
	s_branch .LBB7_255
.LBB7_260:
	s_and_saveexec_b64 s[18:19], s[4:5]
	s_cbranch_execz .LBB7_263
; %bb.261:
	v_mov_b32_e32 v6, 0
	global_load_dwordx2 v[2:3], v6, s[6:7] offset:40
	global_load_dwordx2 v[7:8], v6, s[6:7] offset:24 glc
	global_load_dwordx2 v[4:5], v6, s[6:7]
	v_mov_b32_e32 v1, s17
	s_mov_b64 s[4:5], 0
	s_waitcnt vmcnt(2)
	v_add_co_u32_e32 v9, vcc, 1, v2
	v_addc_co_u32_e32 v10, vcc, 0, v3, vcc
	v_add_co_u32_e32 v0, vcc, s16, v9
	v_addc_co_u32_e32 v1, vcc, v10, v1, vcc
	v_cmp_eq_u64_e32 vcc, 0, v[0:1]
	v_cndmask_b32_e32 v1, v1, v10, vcc
	v_cndmask_b32_e32 v0, v0, v9, vcc
	v_and_b32_e32 v3, v1, v3
	v_and_b32_e32 v2, v0, v2
	v_mul_lo_u32 v3, v3, 24
	v_mul_hi_u32 v9, v2, 24
	v_mul_lo_u32 v10, v2, 24
	s_waitcnt vmcnt(1)
	v_mov_b32_e32 v2, v7
	v_add_u32_e32 v3, v9, v3
	s_waitcnt vmcnt(0)
	v_add_co_u32_e32 v4, vcc, v4, v10
	v_addc_co_u32_e32 v5, vcc, v5, v3, vcc
	global_store_dwordx2 v[4:5], v[7:8], off
	v_mov_b32_e32 v3, v8
	s_waitcnt vmcnt(0)
	global_atomic_cmpswap_x2 v[2:3], v6, v[0:3], s[6:7] offset:24 glc
	s_waitcnt vmcnt(0)
	v_cmp_ne_u64_e32 vcc, v[2:3], v[7:8]
	s_and_b64 exec, exec, vcc
	s_cbranch_execz .LBB7_263
.LBB7_262:                              ; =>This Inner Loop Header: Depth=1
	s_sleep 1
	global_store_dwordx2 v[4:5], v[2:3], off
	s_waitcnt vmcnt(0)
	global_atomic_cmpswap_x2 v[7:8], v6, v[0:3], s[6:7] offset:24 glc
	s_waitcnt vmcnt(0)
	v_cmp_eq_u64_e32 vcc, v[7:8], v[2:3]
	v_mov_b32_e32 v2, v7
	s_or_b64 s[4:5], vcc, s[4:5]
	v_mov_b32_e32 v3, v8
	s_andn2_b64 exec, exec, s[4:5]
	s_cbranch_execnz .LBB7_262
.LBB7_263:
	s_or_b64 exec, exec, s[18:19]
.LBB7_264:
	v_readfirstlane_b32 s4, v32
	s_waitcnt vmcnt(0)
	v_mov_b32_e32 v5, 0
	v_mov_b32_e32 v6, 0
	v_cmp_eq_u32_e64 s[4:5], s4, v32
	s_and_saveexec_b64 s[16:17], s[4:5]
	s_cbranch_execz .LBB7_270
; %bb.265:
	v_mov_b32_e32 v0, 0
	global_load_dwordx2 v[3:4], v0, s[6:7] offset:24 glc
	s_waitcnt vmcnt(0)
	buffer_wbinvl1_vol
	global_load_dwordx2 v[1:2], v0, s[6:7] offset:40
	global_load_dwordx2 v[5:6], v0, s[6:7]
	s_waitcnt vmcnt(1)
	v_and_b32_e32 v1, v1, v3
	v_and_b32_e32 v2, v2, v4
	v_mul_lo_u32 v2, v2, 24
	v_mul_hi_u32 v7, v1, 24
	v_mul_lo_u32 v1, v1, 24
	v_add_u32_e32 v2, v7, v2
	s_waitcnt vmcnt(0)
	v_add_co_u32_e32 v1, vcc, v5, v1
	v_addc_co_u32_e32 v2, vcc, v6, v2, vcc
	global_load_dwordx2 v[1:2], v[1:2], off glc
	s_waitcnt vmcnt(0)
	global_atomic_cmpswap_x2 v[5:6], v0, v[1:4], s[6:7] offset:24 glc
	s_waitcnt vmcnt(0)
	buffer_wbinvl1_vol
	v_cmp_ne_u64_e32 vcc, v[5:6], v[3:4]
	s_and_saveexec_b64 s[18:19], vcc
	s_cbranch_execz .LBB7_269
; %bb.266:
	s_mov_b64 s[20:21], 0
.LBB7_267:                              ; =>This Inner Loop Header: Depth=1
	s_sleep 1
	global_load_dwordx2 v[1:2], v0, s[6:7] offset:40
	global_load_dwordx2 v[7:8], v0, s[6:7]
	v_mov_b32_e32 v3, v5
	v_mov_b32_e32 v4, v6
	s_waitcnt vmcnt(1)
	v_and_b32_e32 v1, v1, v3
	s_waitcnt vmcnt(0)
	v_mad_u64_u32 v[5:6], s[22:23], v1, 24, v[7:8]
	v_and_b32_e32 v2, v2, v4
	v_mov_b32_e32 v1, v6
	v_mad_u64_u32 v[1:2], s[22:23], v2, 24, v[1:2]
	v_mov_b32_e32 v6, v1
	global_load_dwordx2 v[1:2], v[5:6], off glc
	s_waitcnt vmcnt(0)
	global_atomic_cmpswap_x2 v[5:6], v0, v[1:4], s[6:7] offset:24 glc
	s_waitcnt vmcnt(0)
	buffer_wbinvl1_vol
	v_cmp_eq_u64_e32 vcc, v[5:6], v[3:4]
	s_or_b64 s[20:21], vcc, s[20:21]
	s_andn2_b64 exec, exec, s[20:21]
	s_cbranch_execnz .LBB7_267
; %bb.268:
	s_or_b64 exec, exec, s[20:21]
.LBB7_269:
	s_or_b64 exec, exec, s[18:19]
.LBB7_270:
	s_or_b64 exec, exec, s[16:17]
	v_mov_b32_e32 v4, 0
	global_load_dwordx2 v[7:8], v4, s[6:7] offset:40
	global_load_dwordx4 v[0:3], v4, s[6:7]
	v_readfirstlane_b32 s16, v5
	v_readfirstlane_b32 s17, v6
	s_mov_b64 s[18:19], exec
	s_waitcnt vmcnt(1)
	v_readfirstlane_b32 s20, v7
	v_readfirstlane_b32 s21, v8
	s_and_b64 s[20:21], s[16:17], s[20:21]
	s_mul_i32 s15, s21, 24
	s_mul_hi_u32 s22, s20, 24
	s_mul_i32 s23, s20, 24
	s_add_i32 s15, s22, s15
	v_mov_b32_e32 v5, s15
	s_waitcnt vmcnt(0)
	v_add_co_u32_e32 v7, vcc, s23, v0
	v_addc_co_u32_e32 v8, vcc, v1, v5, vcc
	s_and_saveexec_b64 s[22:23], s[4:5]
	s_cbranch_execz .LBB7_272
; %bb.271:
	v_mov_b32_e32 v9, s18
	v_mov_b32_e32 v10, s19
	;; [unrolled: 1-line block ×4, first 2 shown]
	global_store_dwordx4 v[7:8], v[9:12], off offset:8
.LBB7_272:
	s_or_b64 exec, exec, s[22:23]
	s_lshl_b64 s[18:19], s[20:21], 12
	v_mov_b32_e32 v5, s19
	v_add_co_u32_e32 v2, vcc, s18, v2
	v_addc_co_u32_e32 v11, vcc, v3, v5, vcc
	s_mov_b32 s20, 0
	v_mov_b32_e32 v3, 33
	v_mov_b32_e32 v5, v4
	;; [unrolled: 1-line block ×3, first 2 shown]
	v_readfirstlane_b32 s18, v2
	v_readfirstlane_b32 s19, v11
	v_add_co_u32_e32 v9, vcc, v2, v31
	s_mov_b32 s21, s20
	s_mov_b32 s22, s20
	;; [unrolled: 1-line block ×3, first 2 shown]
	s_nop 0
	global_store_dwordx4 v31, v[3:6], s[18:19]
	v_mov_b32_e32 v2, s20
	v_addc_co_u32_e32 v10, vcc, 0, v11, vcc
	v_mov_b32_e32 v3, s21
	v_mov_b32_e32 v4, s22
	;; [unrolled: 1-line block ×3, first 2 shown]
	global_store_dwordx4 v31, v[2:5], s[18:19] offset:16
	global_store_dwordx4 v31, v[2:5], s[18:19] offset:32
	;; [unrolled: 1-line block ×3, first 2 shown]
	s_and_saveexec_b64 s[18:19], s[4:5]
	s_cbranch_execz .LBB7_280
; %bb.273:
	v_mov_b32_e32 v6, 0
	global_load_dwordx2 v[13:14], v6, s[6:7] offset:32 glc
	global_load_dwordx2 v[2:3], v6, s[6:7] offset:40
	v_mov_b32_e32 v11, s16
	v_mov_b32_e32 v12, s17
	s_waitcnt vmcnt(0)
	v_readfirstlane_b32 s20, v2
	v_readfirstlane_b32 s21, v3
	s_and_b64 s[20:21], s[20:21], s[16:17]
	s_mul_i32 s15, s21, 24
	s_mul_hi_u32 s21, s20, 24
	s_mul_i32 s20, s20, 24
	s_add_i32 s15, s21, s15
	v_mov_b32_e32 v2, s15
	v_add_co_u32_e32 v4, vcc, s20, v0
	v_addc_co_u32_e32 v5, vcc, v1, v2, vcc
	global_store_dwordx2 v[4:5], v[13:14], off
	s_waitcnt vmcnt(0)
	global_atomic_cmpswap_x2 v[2:3], v6, v[11:14], s[6:7] offset:32 glc
	s_waitcnt vmcnt(0)
	v_cmp_ne_u64_e32 vcc, v[2:3], v[13:14]
	s_and_saveexec_b64 s[20:21], vcc
	s_cbranch_execz .LBB7_276
; %bb.274:
	s_mov_b64 s[22:23], 0
.LBB7_275:                              ; =>This Inner Loop Header: Depth=1
	s_sleep 1
	global_store_dwordx2 v[4:5], v[2:3], off
	v_mov_b32_e32 v0, s16
	v_mov_b32_e32 v1, s17
	s_waitcnt vmcnt(0)
	global_atomic_cmpswap_x2 v[0:1], v6, v[0:3], s[6:7] offset:32 glc
	s_waitcnt vmcnt(0)
	v_cmp_eq_u64_e32 vcc, v[0:1], v[2:3]
	v_mov_b32_e32 v3, v1
	s_or_b64 s[22:23], vcc, s[22:23]
	v_mov_b32_e32 v2, v0
	s_andn2_b64 exec, exec, s[22:23]
	s_cbranch_execnz .LBB7_275
.LBB7_276:
	s_or_b64 exec, exec, s[20:21]
	v_mov_b32_e32 v3, 0
	global_load_dwordx2 v[0:1], v3, s[6:7] offset:16
	s_mov_b64 s[20:21], exec
	v_mbcnt_lo_u32_b32 v2, s20, 0
	v_mbcnt_hi_u32_b32 v2, s21, v2
	v_cmp_eq_u32_e32 vcc, 0, v2
	s_and_saveexec_b64 s[22:23], vcc
	s_cbranch_execz .LBB7_278
; %bb.277:
	s_bcnt1_i32_b64 s15, s[20:21]
	v_mov_b32_e32 v2, s15
	s_waitcnt vmcnt(0)
	global_atomic_add_x2 v[0:1], v[2:3], off offset:8
.LBB7_278:
	s_or_b64 exec, exec, s[22:23]
	s_waitcnt vmcnt(0)
	global_load_dwordx2 v[2:3], v[0:1], off offset:16
	s_waitcnt vmcnt(0)
	v_cmp_eq_u64_e32 vcc, 0, v[2:3]
	s_cbranch_vccnz .LBB7_280
; %bb.279:
	global_load_dword v0, v[0:1], off offset:24
	v_mov_b32_e32 v1, 0
	s_waitcnt vmcnt(0)
	global_store_dwordx2 v[2:3], v[0:1], off
	v_and_b32_e32 v0, 0xffffff, v0
	v_readfirstlane_b32 m0, v0
	s_sendmsg sendmsg(MSG_INTERRUPT)
.LBB7_280:
	s_or_b64 exec, exec, s[18:19]
	s_branch .LBB7_284
.LBB7_281:                              ;   in Loop: Header=BB7_284 Depth=1
	s_or_b64 exec, exec, s[18:19]
	v_readfirstlane_b32 s15, v0
	s_cmp_eq_u32 s15, 0
	s_cbranch_scc1 .LBB7_283
; %bb.282:                              ;   in Loop: Header=BB7_284 Depth=1
	s_sleep 1
	s_cbranch_execnz .LBB7_284
	s_branch .LBB7_286
.LBB7_283:
	s_branch .LBB7_286
.LBB7_284:                              ; =>This Inner Loop Header: Depth=1
	v_mov_b32_e32 v0, 1
	s_and_saveexec_b64 s[18:19], s[4:5]
	s_cbranch_execz .LBB7_281
; %bb.285:                              ;   in Loop: Header=BB7_284 Depth=1
	global_load_dword v0, v[7:8], off offset:20 glc
	s_waitcnt vmcnt(0)
	buffer_wbinvl1_vol
	v_and_b32_e32 v0, 1, v0
	s_branch .LBB7_281
.LBB7_286:
	global_load_dwordx2 v[0:1], v[9:10], off
	s_and_saveexec_b64 s[18:19], s[4:5]
	s_cbranch_execz .LBB7_289
; %bb.287:
	v_mov_b32_e32 v8, 0
	global_load_dwordx2 v[4:5], v8, s[6:7] offset:40
	global_load_dwordx2 v[9:10], v8, s[6:7] offset:24 glc
	global_load_dwordx2 v[6:7], v8, s[6:7]
	v_mov_b32_e32 v3, s17
	s_mov_b64 s[4:5], 0
	s_waitcnt vmcnt(2)
	v_add_co_u32_e32 v11, vcc, 1, v4
	v_addc_co_u32_e32 v12, vcc, 0, v5, vcc
	v_add_co_u32_e32 v2, vcc, s16, v11
	v_addc_co_u32_e32 v3, vcc, v12, v3, vcc
	v_cmp_eq_u64_e32 vcc, 0, v[2:3]
	v_cndmask_b32_e32 v3, v3, v12, vcc
	v_cndmask_b32_e32 v2, v2, v11, vcc
	v_and_b32_e32 v5, v3, v5
	v_and_b32_e32 v4, v2, v4
	v_mul_lo_u32 v5, v5, 24
	v_mul_hi_u32 v11, v4, 24
	v_mul_lo_u32 v12, v4, 24
	s_waitcnt vmcnt(1)
	v_mov_b32_e32 v4, v9
	v_add_u32_e32 v5, v11, v5
	s_waitcnt vmcnt(0)
	v_add_co_u32_e32 v6, vcc, v6, v12
	v_addc_co_u32_e32 v7, vcc, v7, v5, vcc
	global_store_dwordx2 v[6:7], v[9:10], off
	v_mov_b32_e32 v5, v10
	s_waitcnt vmcnt(0)
	global_atomic_cmpswap_x2 v[4:5], v8, v[2:5], s[6:7] offset:24 glc
	s_waitcnt vmcnt(0)
	v_cmp_ne_u64_e32 vcc, v[4:5], v[9:10]
	s_and_b64 exec, exec, vcc
	s_cbranch_execz .LBB7_289
.LBB7_288:                              ; =>This Inner Loop Header: Depth=1
	s_sleep 1
	global_store_dwordx2 v[6:7], v[4:5], off
	s_waitcnt vmcnt(0)
	global_atomic_cmpswap_x2 v[9:10], v8, v[2:5], s[6:7] offset:24 glc
	s_waitcnt vmcnt(0)
	v_cmp_eq_u64_e32 vcc, v[9:10], v[4:5]
	v_mov_b32_e32 v4, v9
	s_or_b64 s[4:5], vcc, s[4:5]
	v_mov_b32_e32 v5, v10
	s_andn2_b64 exec, exec, s[4:5]
	s_cbranch_execnz .LBB7_288
.LBB7_289:
	s_or_b64 exec, exec, s[18:19]
	s_getpc_b64 s[18:19]
	s_add_u32 s18, s18, .str.6@rel32@lo+4
	s_addc_u32 s19, s19, .str.6@rel32@hi+12
	s_cmp_lg_u64 s[18:19], 0
	s_cselect_b64 s[16:17], -1, 0
	s_and_b64 vcc, exec, s[16:17]
	s_cbranch_vccz .LBB7_374
; %bb.290:
	s_waitcnt vmcnt(0)
	v_and_b32_e32 v33, 2, v0
	v_mov_b32_e32 v28, 0
	v_and_b32_e32 v2, -3, v0
	v_mov_b32_e32 v3, v1
	s_mov_b64 s[20:21], 3
	v_mov_b32_e32 v6, 2
	v_mov_b32_e32 v7, 1
	s_branch .LBB7_292
.LBB7_291:                              ;   in Loop: Header=BB7_292 Depth=1
	s_or_b64 exec, exec, s[26:27]
	s_sub_u32 s20, s20, s22
	s_subb_u32 s21, s21, s23
	s_add_u32 s18, s18, s22
	s_addc_u32 s19, s19, s23
	s_cmp_lg_u64 s[20:21], 0
	s_cbranch_scc0 .LBB7_373
.LBB7_292:                              ; =>This Loop Header: Depth=1
                                        ;     Child Loop BB7_295 Depth 2
                                        ;     Child Loop BB7_302 Depth 2
	;; [unrolled: 1-line block ×11, first 2 shown]
	v_cmp_lt_u64_e64 s[4:5], s[20:21], 56
	v_cmp_gt_u64_e64 s[24:25], s[20:21], 7
	s_and_b64 s[4:5], s[4:5], exec
	s_cselect_b32 s23, s21, 0
	s_cselect_b32 s22, s20, 56
	s_and_b64 vcc, exec, s[24:25]
	s_cbranch_vccnz .LBB7_297
; %bb.293:                              ;   in Loop: Header=BB7_292 Depth=1
	v_mov_b32_e32 v10, 0
	s_cmp_eq_u64 s[20:21], 0
	v_mov_b32_e32 v11, 0
	s_mov_b64 s[4:5], 0
	s_cbranch_scc1 .LBB7_296
; %bb.294:                              ;   in Loop: Header=BB7_292 Depth=1
	v_mov_b32_e32 v10, 0
	s_lshl_b64 s[24:25], s[22:23], 3
	s_mov_b64 s[26:27], 0
	v_mov_b32_e32 v11, 0
	s_mov_b64 s[28:29], s[18:19]
.LBB7_295:                              ;   Parent Loop BB7_292 Depth=1
                                        ; =>  This Inner Loop Header: Depth=2
	global_load_ubyte v4, v28, s[28:29]
	s_waitcnt vmcnt(0)
	v_and_b32_e32 v27, 0xffff, v4
	v_lshlrev_b64 v[4:5], s26, v[27:28]
	s_add_u32 s26, s26, 8
	s_addc_u32 s27, s27, 0
	s_add_u32 s28, s28, 1
	s_addc_u32 s29, s29, 0
	v_or_b32_e32 v10, v4, v10
	s_cmp_lg_u32 s24, s26
	v_or_b32_e32 v11, v5, v11
	s_cbranch_scc1 .LBB7_295
.LBB7_296:                              ;   in Loop: Header=BB7_292 Depth=1
	s_mov_b32 s15, 0
	s_andn2_b64 vcc, exec, s[4:5]
	s_mov_b64 s[4:5], s[18:19]
	s_cbranch_vccz .LBB7_298
	s_branch .LBB7_299
.LBB7_297:                              ;   in Loop: Header=BB7_292 Depth=1
                                        ; implicit-def: $vgpr10_vgpr11
                                        ; implicit-def: $sgpr15
	s_mov_b64 s[4:5], s[18:19]
.LBB7_298:                              ;   in Loop: Header=BB7_292 Depth=1
	global_load_dwordx2 v[10:11], v28, s[18:19]
	s_add_i32 s15, s22, -8
	s_add_u32 s4, s18, 8
	s_addc_u32 s5, s19, 0
.LBB7_299:                              ;   in Loop: Header=BB7_292 Depth=1
	s_cmp_gt_u32 s15, 7
	s_cbranch_scc1 .LBB7_303
; %bb.300:                              ;   in Loop: Header=BB7_292 Depth=1
	s_cmp_eq_u32 s15, 0
	s_cbranch_scc1 .LBB7_304
; %bb.301:                              ;   in Loop: Header=BB7_292 Depth=1
	v_mov_b32_e32 v12, 0
	s_mov_b64 s[24:25], 0
	v_mov_b32_e32 v13, 0
	s_mov_b64 s[26:27], 0
.LBB7_302:                              ;   Parent Loop BB7_292 Depth=1
                                        ; =>  This Inner Loop Header: Depth=2
	s_add_u32 s28, s4, s26
	s_addc_u32 s29, s5, s27
	global_load_ubyte v4, v28, s[28:29]
	s_add_u32 s26, s26, 1
	s_addc_u32 s27, s27, 0
	s_waitcnt vmcnt(0)
	v_and_b32_e32 v27, 0xffff, v4
	v_lshlrev_b64 v[4:5], s24, v[27:28]
	s_add_u32 s24, s24, 8
	s_addc_u32 s25, s25, 0
	v_or_b32_e32 v12, v4, v12
	s_cmp_lg_u32 s15, s26
	v_or_b32_e32 v13, v5, v13
	s_cbranch_scc1 .LBB7_302
	s_branch .LBB7_305
.LBB7_303:                              ;   in Loop: Header=BB7_292 Depth=1
                                        ; implicit-def: $vgpr12_vgpr13
                                        ; implicit-def: $sgpr28
	s_branch .LBB7_306
.LBB7_304:                              ;   in Loop: Header=BB7_292 Depth=1
	v_mov_b32_e32 v12, 0
	v_mov_b32_e32 v13, 0
.LBB7_305:                              ;   in Loop: Header=BB7_292 Depth=1
	s_mov_b32 s28, 0
	s_cbranch_execnz .LBB7_307
.LBB7_306:                              ;   in Loop: Header=BB7_292 Depth=1
	global_load_dwordx2 v[12:13], v28, s[4:5]
	s_add_i32 s28, s15, -8
	s_add_u32 s4, s4, 8
	s_addc_u32 s5, s5, 0
.LBB7_307:                              ;   in Loop: Header=BB7_292 Depth=1
	s_cmp_gt_u32 s28, 7
	s_cbranch_scc1 .LBB7_311
; %bb.308:                              ;   in Loop: Header=BB7_292 Depth=1
	s_cmp_eq_u32 s28, 0
	s_cbranch_scc1 .LBB7_312
; %bb.309:                              ;   in Loop: Header=BB7_292 Depth=1
	v_mov_b32_e32 v14, 0
	s_mov_b64 s[24:25], 0
	v_mov_b32_e32 v15, 0
	s_mov_b64 s[26:27], 0
.LBB7_310:                              ;   Parent Loop BB7_292 Depth=1
                                        ; =>  This Inner Loop Header: Depth=2
	s_add_u32 vcc_lo, s4, s26
	s_addc_u32 vcc_hi, s5, s27
	global_load_ubyte v4, v28, vcc
	s_add_u32 s26, s26, 1
	s_addc_u32 s27, s27, 0
	s_waitcnt vmcnt(0)
	v_and_b32_e32 v27, 0xffff, v4
	v_lshlrev_b64 v[4:5], s24, v[27:28]
	s_add_u32 s24, s24, 8
	s_addc_u32 s25, s25, 0
	v_or_b32_e32 v14, v4, v14
	s_cmp_lg_u32 s28, s26
	v_or_b32_e32 v15, v5, v15
	s_cbranch_scc1 .LBB7_310
	s_branch .LBB7_313
.LBB7_311:                              ;   in Loop: Header=BB7_292 Depth=1
                                        ; implicit-def: $sgpr15
	s_branch .LBB7_314
.LBB7_312:                              ;   in Loop: Header=BB7_292 Depth=1
	v_mov_b32_e32 v14, 0
	v_mov_b32_e32 v15, 0
.LBB7_313:                              ;   in Loop: Header=BB7_292 Depth=1
	s_mov_b32 s15, 0
	s_cbranch_execnz .LBB7_315
.LBB7_314:                              ;   in Loop: Header=BB7_292 Depth=1
	global_load_dwordx2 v[14:15], v28, s[4:5]
	s_add_i32 s15, s28, -8
	s_add_u32 s4, s4, 8
	s_addc_u32 s5, s5, 0
.LBB7_315:                              ;   in Loop: Header=BB7_292 Depth=1
	s_cmp_gt_u32 s15, 7
	s_cbranch_scc1 .LBB7_319
; %bb.316:                              ;   in Loop: Header=BB7_292 Depth=1
	s_cmp_eq_u32 s15, 0
	s_cbranch_scc1 .LBB7_320
; %bb.317:                              ;   in Loop: Header=BB7_292 Depth=1
	v_mov_b32_e32 v16, 0
	s_mov_b64 s[24:25], 0
	v_mov_b32_e32 v17, 0
	s_mov_b64 s[26:27], 0
.LBB7_318:                              ;   Parent Loop BB7_292 Depth=1
                                        ; =>  This Inner Loop Header: Depth=2
	s_add_u32 s28, s4, s26
	s_addc_u32 s29, s5, s27
	global_load_ubyte v4, v28, s[28:29]
	s_add_u32 s26, s26, 1
	s_addc_u32 s27, s27, 0
	s_waitcnt vmcnt(0)
	v_and_b32_e32 v27, 0xffff, v4
	v_lshlrev_b64 v[4:5], s24, v[27:28]
	s_add_u32 s24, s24, 8
	s_addc_u32 s25, s25, 0
	v_or_b32_e32 v16, v4, v16
	s_cmp_lg_u32 s15, s26
	v_or_b32_e32 v17, v5, v17
	s_cbranch_scc1 .LBB7_318
	s_branch .LBB7_321
.LBB7_319:                              ;   in Loop: Header=BB7_292 Depth=1
                                        ; implicit-def: $vgpr16_vgpr17
                                        ; implicit-def: $sgpr28
	s_branch .LBB7_322
.LBB7_320:                              ;   in Loop: Header=BB7_292 Depth=1
	v_mov_b32_e32 v16, 0
	v_mov_b32_e32 v17, 0
.LBB7_321:                              ;   in Loop: Header=BB7_292 Depth=1
	s_mov_b32 s28, 0
	s_cbranch_execnz .LBB7_323
.LBB7_322:                              ;   in Loop: Header=BB7_292 Depth=1
	global_load_dwordx2 v[16:17], v28, s[4:5]
	s_add_i32 s28, s15, -8
	s_add_u32 s4, s4, 8
	s_addc_u32 s5, s5, 0
.LBB7_323:                              ;   in Loop: Header=BB7_292 Depth=1
	s_cmp_gt_u32 s28, 7
	s_cbranch_scc1 .LBB7_327
; %bb.324:                              ;   in Loop: Header=BB7_292 Depth=1
	s_cmp_eq_u32 s28, 0
	s_cbranch_scc1 .LBB7_328
; %bb.325:                              ;   in Loop: Header=BB7_292 Depth=1
	v_mov_b32_e32 v18, 0
	s_mov_b64 s[24:25], 0
	v_mov_b32_e32 v19, 0
	s_mov_b64 s[26:27], 0
.LBB7_326:                              ;   Parent Loop BB7_292 Depth=1
                                        ; =>  This Inner Loop Header: Depth=2
	s_add_u32 vcc_lo, s4, s26
	s_addc_u32 vcc_hi, s5, s27
	global_load_ubyte v4, v28, vcc
	s_add_u32 s26, s26, 1
	s_addc_u32 s27, s27, 0
	s_waitcnt vmcnt(0)
	v_and_b32_e32 v27, 0xffff, v4
	v_lshlrev_b64 v[4:5], s24, v[27:28]
	s_add_u32 s24, s24, 8
	s_addc_u32 s25, s25, 0
	v_or_b32_e32 v18, v4, v18
	s_cmp_lg_u32 s28, s26
	v_or_b32_e32 v19, v5, v19
	s_cbranch_scc1 .LBB7_326
	s_branch .LBB7_329
.LBB7_327:                              ;   in Loop: Header=BB7_292 Depth=1
                                        ; implicit-def: $sgpr15
	s_branch .LBB7_330
.LBB7_328:                              ;   in Loop: Header=BB7_292 Depth=1
	v_mov_b32_e32 v18, 0
	v_mov_b32_e32 v19, 0
.LBB7_329:                              ;   in Loop: Header=BB7_292 Depth=1
	s_mov_b32 s15, 0
	s_cbranch_execnz .LBB7_331
.LBB7_330:                              ;   in Loop: Header=BB7_292 Depth=1
	global_load_dwordx2 v[18:19], v28, s[4:5]
	s_add_i32 s15, s28, -8
	s_add_u32 s4, s4, 8
	s_addc_u32 s5, s5, 0
.LBB7_331:                              ;   in Loop: Header=BB7_292 Depth=1
	s_cmp_gt_u32 s15, 7
	s_cbranch_scc1 .LBB7_335
; %bb.332:                              ;   in Loop: Header=BB7_292 Depth=1
	s_cmp_eq_u32 s15, 0
	s_cbranch_scc1 .LBB7_336
; %bb.333:                              ;   in Loop: Header=BB7_292 Depth=1
	v_mov_b32_e32 v20, 0
	s_mov_b64 s[24:25], 0
	v_mov_b32_e32 v21, 0
	s_mov_b64 s[26:27], 0
.LBB7_334:                              ;   Parent Loop BB7_292 Depth=1
                                        ; =>  This Inner Loop Header: Depth=2
	s_add_u32 s28, s4, s26
	s_addc_u32 s29, s5, s27
	global_load_ubyte v4, v28, s[28:29]
	s_add_u32 s26, s26, 1
	s_addc_u32 s27, s27, 0
	s_waitcnt vmcnt(0)
	v_and_b32_e32 v27, 0xffff, v4
	v_lshlrev_b64 v[4:5], s24, v[27:28]
	s_add_u32 s24, s24, 8
	s_addc_u32 s25, s25, 0
	v_or_b32_e32 v20, v4, v20
	s_cmp_lg_u32 s15, s26
	v_or_b32_e32 v21, v5, v21
	s_cbranch_scc1 .LBB7_334
	s_branch .LBB7_337
.LBB7_335:                              ;   in Loop: Header=BB7_292 Depth=1
                                        ; implicit-def: $vgpr20_vgpr21
                                        ; implicit-def: $sgpr28
	s_branch .LBB7_338
.LBB7_336:                              ;   in Loop: Header=BB7_292 Depth=1
	v_mov_b32_e32 v20, 0
	v_mov_b32_e32 v21, 0
.LBB7_337:                              ;   in Loop: Header=BB7_292 Depth=1
	s_mov_b32 s28, 0
	s_cbranch_execnz .LBB7_339
.LBB7_338:                              ;   in Loop: Header=BB7_292 Depth=1
	global_load_dwordx2 v[20:21], v28, s[4:5]
	s_add_i32 s28, s15, -8
	s_add_u32 s4, s4, 8
	s_addc_u32 s5, s5, 0
.LBB7_339:                              ;   in Loop: Header=BB7_292 Depth=1
	s_cmp_gt_u32 s28, 7
	s_cbranch_scc1 .LBB7_343
; %bb.340:                              ;   in Loop: Header=BB7_292 Depth=1
	s_cmp_eq_u32 s28, 0
	s_cbranch_scc1 .LBB7_344
; %bb.341:                              ;   in Loop: Header=BB7_292 Depth=1
	v_mov_b32_e32 v22, 0
	s_mov_b64 s[24:25], 0
	v_mov_b32_e32 v23, 0
	s_mov_b64 s[26:27], s[4:5]
.LBB7_342:                              ;   Parent Loop BB7_292 Depth=1
                                        ; =>  This Inner Loop Header: Depth=2
	global_load_ubyte v4, v28, s[26:27]
	s_add_i32 s28, s28, -1
	s_waitcnt vmcnt(0)
	v_and_b32_e32 v27, 0xffff, v4
	v_lshlrev_b64 v[4:5], s24, v[27:28]
	s_add_u32 s24, s24, 8
	s_addc_u32 s25, s25, 0
	s_add_u32 s26, s26, 1
	s_addc_u32 s27, s27, 0
	v_or_b32_e32 v22, v4, v22
	s_cmp_lg_u32 s28, 0
	v_or_b32_e32 v23, v5, v23
	s_cbranch_scc1 .LBB7_342
	s_branch .LBB7_345
.LBB7_343:                              ;   in Loop: Header=BB7_292 Depth=1
	s_branch .LBB7_346
.LBB7_344:                              ;   in Loop: Header=BB7_292 Depth=1
	v_mov_b32_e32 v22, 0
	v_mov_b32_e32 v23, 0
.LBB7_345:                              ;   in Loop: Header=BB7_292 Depth=1
	s_cbranch_execnz .LBB7_347
.LBB7_346:                              ;   in Loop: Header=BB7_292 Depth=1
	global_load_dwordx2 v[22:23], v28, s[4:5]
.LBB7_347:                              ;   in Loop: Header=BB7_292 Depth=1
	v_readfirstlane_b32 s4, v32
	s_waitcnt vmcnt(0)
	v_mov_b32_e32 v4, 0
	v_mov_b32_e32 v5, 0
	v_cmp_eq_u32_e64 s[4:5], s4, v32
	s_and_saveexec_b64 s[24:25], s[4:5]
	s_cbranch_execz .LBB7_353
; %bb.348:                              ;   in Loop: Header=BB7_292 Depth=1
	global_load_dwordx2 v[26:27], v28, s[6:7] offset:24 glc
	s_waitcnt vmcnt(0)
	buffer_wbinvl1_vol
	global_load_dwordx2 v[4:5], v28, s[6:7] offset:40
	global_load_dwordx2 v[8:9], v28, s[6:7]
	s_waitcnt vmcnt(1)
	v_and_b32_e32 v4, v4, v26
	v_and_b32_e32 v5, v5, v27
	v_mul_lo_u32 v5, v5, 24
	v_mul_hi_u32 v24, v4, 24
	v_mul_lo_u32 v4, v4, 24
	v_add_u32_e32 v5, v24, v5
	s_waitcnt vmcnt(0)
	v_add_co_u32_e32 v4, vcc, v8, v4
	v_addc_co_u32_e32 v5, vcc, v9, v5, vcc
	global_load_dwordx2 v[24:25], v[4:5], off glc
	s_waitcnt vmcnt(0)
	global_atomic_cmpswap_x2 v[4:5], v28, v[24:27], s[6:7] offset:24 glc
	s_waitcnt vmcnt(0)
	buffer_wbinvl1_vol
	v_cmp_ne_u64_e32 vcc, v[4:5], v[26:27]
	s_and_saveexec_b64 s[26:27], vcc
	s_cbranch_execz .LBB7_352
; %bb.349:                              ;   in Loop: Header=BB7_292 Depth=1
	s_mov_b64 s[28:29], 0
.LBB7_350:                              ;   Parent Loop BB7_292 Depth=1
                                        ; =>  This Inner Loop Header: Depth=2
	s_sleep 1
	global_load_dwordx2 v[8:9], v28, s[6:7] offset:40
	global_load_dwordx2 v[24:25], v28, s[6:7]
	v_mov_b32_e32 v27, v5
	v_mov_b32_e32 v26, v4
	s_waitcnt vmcnt(1)
	v_and_b32_e32 v4, v8, v26
	s_waitcnt vmcnt(0)
	v_mad_u64_u32 v[4:5], vcc, v4, 24, v[24:25]
	v_and_b32_e32 v8, v9, v27
	v_mad_u64_u32 v[8:9], vcc, v8, 24, v[5:6]
	v_mov_b32_e32 v5, v8
	global_load_dwordx2 v[24:25], v[4:5], off glc
	s_waitcnt vmcnt(0)
	global_atomic_cmpswap_x2 v[4:5], v28, v[24:27], s[6:7] offset:24 glc
	s_waitcnt vmcnt(0)
	buffer_wbinvl1_vol
	v_cmp_eq_u64_e32 vcc, v[4:5], v[26:27]
	s_or_b64 s[28:29], vcc, s[28:29]
	s_andn2_b64 exec, exec, s[28:29]
	s_cbranch_execnz .LBB7_350
; %bb.351:                              ;   in Loop: Header=BB7_292 Depth=1
	s_or_b64 exec, exec, s[28:29]
.LBB7_352:                              ;   in Loop: Header=BB7_292 Depth=1
	s_or_b64 exec, exec, s[26:27]
.LBB7_353:                              ;   in Loop: Header=BB7_292 Depth=1
	s_or_b64 exec, exec, s[24:25]
	global_load_dwordx2 v[8:9], v28, s[6:7] offset:40
	global_load_dwordx4 v[24:27], v28, s[6:7]
	v_readfirstlane_b32 s24, v4
	v_readfirstlane_b32 s25, v5
	s_mov_b64 s[26:27], exec
	s_waitcnt vmcnt(1)
	v_readfirstlane_b32 s28, v8
	v_readfirstlane_b32 s29, v9
	s_and_b64 s[28:29], s[24:25], s[28:29]
	s_mul_i32 s15, s29, 24
	s_mul_hi_u32 vcc_lo, s28, 24
	s_mul_i32 vcc_hi, s28, 24
	s_add_i32 s15, vcc_lo, s15
	v_mov_b32_e32 v4, s15
	s_waitcnt vmcnt(0)
	v_add_co_u32_e32 v29, vcc, vcc_hi, v24
	v_addc_co_u32_e32 v30, vcc, v25, v4, vcc
	s_and_saveexec_b64 vcc, s[4:5]
	s_cbranch_execz .LBB7_355
; %bb.354:                              ;   in Loop: Header=BB7_292 Depth=1
	v_mov_b32_e32 v4, s26
	v_mov_b32_e32 v5, s27
	global_store_dwordx4 v[29:30], v[4:7], off offset:8
.LBB7_355:                              ;   in Loop: Header=BB7_292 Depth=1
	s_or_b64 exec, exec, vcc
	s_lshl_b64 s[26:27], s[28:29], 12
	v_mov_b32_e32 v4, s27
	v_add_co_u32_e32 v26, vcc, s26, v26
	v_addc_co_u32_e32 v34, vcc, v27, v4, vcc
	v_cmp_gt_u64_e64 vcc, s[20:21], 56
	v_or_b32_e32 v5, v2, v33
	s_lshl_b32 s15, s22, 2
	v_cndmask_b32_e32 v2, v5, v2, vcc
	s_add_i32 s15, s15, 28
	v_or_b32_e32 v4, 0, v3
	s_and_b32 s15, s15, 0x1e0
	v_and_b32_e32 v2, 0xffffff1f, v2
	v_cndmask_b32_e32 v9, v4, v3, vcc
	v_or_b32_e32 v8, s15, v2
	v_readfirstlane_b32 s26, v26
	v_readfirstlane_b32 s27, v34
	s_nop 4
	global_store_dwordx4 v31, v[8:11], s[26:27]
	global_store_dwordx4 v31, v[12:15], s[26:27] offset:16
	global_store_dwordx4 v31, v[16:19], s[26:27] offset:32
	;; [unrolled: 1-line block ×3, first 2 shown]
	s_and_saveexec_b64 s[26:27], s[4:5]
	s_cbranch_execz .LBB7_363
; %bb.356:                              ;   in Loop: Header=BB7_292 Depth=1
	global_load_dwordx2 v[12:13], v28, s[6:7] offset:32 glc
	global_load_dwordx2 v[2:3], v28, s[6:7] offset:40
	v_mov_b32_e32 v10, s24
	v_mov_b32_e32 v11, s25
	s_waitcnt vmcnt(0)
	v_readfirstlane_b32 s28, v2
	v_readfirstlane_b32 s29, v3
	s_and_b64 s[28:29], s[28:29], s[24:25]
	s_mul_i32 s15, s29, 24
	s_mul_hi_u32 s29, s28, 24
	s_mul_i32 s28, s28, 24
	s_add_i32 s15, s29, s15
	v_mov_b32_e32 v2, s15
	v_add_co_u32_e32 v8, vcc, s28, v24
	v_addc_co_u32_e32 v9, vcc, v25, v2, vcc
	global_store_dwordx2 v[8:9], v[12:13], off
	s_waitcnt vmcnt(0)
	global_atomic_cmpswap_x2 v[4:5], v28, v[10:13], s[6:7] offset:32 glc
	s_waitcnt vmcnt(0)
	v_cmp_ne_u64_e32 vcc, v[4:5], v[12:13]
	s_and_saveexec_b64 s[28:29], vcc
	s_cbranch_execz .LBB7_359
; %bb.357:                              ;   in Loop: Header=BB7_292 Depth=1
	s_mov_b64 s[30:31], 0
.LBB7_358:                              ;   Parent Loop BB7_292 Depth=1
                                        ; =>  This Inner Loop Header: Depth=2
	s_sleep 1
	global_store_dwordx2 v[8:9], v[4:5], off
	v_mov_b32_e32 v2, s24
	v_mov_b32_e32 v3, s25
	s_waitcnt vmcnt(0)
	global_atomic_cmpswap_x2 v[2:3], v28, v[2:5], s[6:7] offset:32 glc
	s_waitcnt vmcnt(0)
	v_cmp_eq_u64_e32 vcc, v[2:3], v[4:5]
	v_mov_b32_e32 v5, v3
	s_or_b64 s[30:31], vcc, s[30:31]
	v_mov_b32_e32 v4, v2
	s_andn2_b64 exec, exec, s[30:31]
	s_cbranch_execnz .LBB7_358
.LBB7_359:                              ;   in Loop: Header=BB7_292 Depth=1
	s_or_b64 exec, exec, s[28:29]
	global_load_dwordx2 v[2:3], v28, s[6:7] offset:16
	s_mov_b64 s[30:31], exec
	v_mbcnt_lo_u32_b32 v4, s30, 0
	v_mbcnt_hi_u32_b32 v4, s31, v4
	v_cmp_eq_u32_e32 vcc, 0, v4
	s_and_saveexec_b64 s[28:29], vcc
	s_cbranch_execz .LBB7_361
; %bb.360:                              ;   in Loop: Header=BB7_292 Depth=1
	s_bcnt1_i32_b64 s15, s[30:31]
	v_mov_b32_e32 v27, s15
	s_waitcnt vmcnt(0)
	global_atomic_add_x2 v[2:3], v[27:28], off offset:8
.LBB7_361:                              ;   in Loop: Header=BB7_292 Depth=1
	s_or_b64 exec, exec, s[28:29]
	s_waitcnt vmcnt(0)
	global_load_dwordx2 v[4:5], v[2:3], off offset:16
	s_waitcnt vmcnt(0)
	v_cmp_eq_u64_e32 vcc, 0, v[4:5]
	s_cbranch_vccnz .LBB7_363
; %bb.362:                              ;   in Loop: Header=BB7_292 Depth=1
	global_load_dword v27, v[2:3], off offset:24
	s_waitcnt vmcnt(0)
	v_and_b32_e32 v2, 0xffffff, v27
	v_readfirstlane_b32 m0, v2
	global_store_dwordx2 v[4:5], v[27:28], off
	s_sendmsg sendmsg(MSG_INTERRUPT)
.LBB7_363:                              ;   in Loop: Header=BB7_292 Depth=1
	s_or_b64 exec, exec, s[26:27]
	v_add_co_u32_e32 v2, vcc, v26, v31
	v_addc_co_u32_e32 v3, vcc, 0, v34, vcc
	s_branch .LBB7_367
.LBB7_364:                              ;   in Loop: Header=BB7_367 Depth=2
	s_or_b64 exec, exec, s[26:27]
	v_readfirstlane_b32 s15, v4
	s_cmp_eq_u32 s15, 0
	s_cbranch_scc1 .LBB7_366
; %bb.365:                              ;   in Loop: Header=BB7_367 Depth=2
	s_sleep 1
	s_cbranch_execnz .LBB7_367
	s_branch .LBB7_369
.LBB7_366:                              ;   in Loop: Header=BB7_292 Depth=1
	s_branch .LBB7_369
.LBB7_367:                              ;   Parent Loop BB7_292 Depth=1
                                        ; =>  This Inner Loop Header: Depth=2
	v_mov_b32_e32 v4, 1
	s_and_saveexec_b64 s[26:27], s[4:5]
	s_cbranch_execz .LBB7_364
; %bb.368:                              ;   in Loop: Header=BB7_367 Depth=2
	global_load_dword v4, v[29:30], off offset:20 glc
	s_waitcnt vmcnt(0)
	buffer_wbinvl1_vol
	v_and_b32_e32 v4, 1, v4
	s_branch .LBB7_364
.LBB7_369:                              ;   in Loop: Header=BB7_292 Depth=1
	global_load_dwordx4 v[2:5], v[2:3], off
	s_and_saveexec_b64 s[26:27], s[4:5]
	s_cbranch_execz .LBB7_291
; %bb.370:                              ;   in Loop: Header=BB7_292 Depth=1
	global_load_dwordx2 v[4:5], v28, s[6:7] offset:40
	global_load_dwordx2 v[12:13], v28, s[6:7] offset:24 glc
	global_load_dwordx2 v[14:15], v28, s[6:7]
	v_mov_b32_e32 v9, s25
	s_waitcnt vmcnt(2)
	v_add_co_u32_e32 v10, vcc, 1, v4
	v_addc_co_u32_e32 v11, vcc, 0, v5, vcc
	v_add_co_u32_e32 v8, vcc, s24, v10
	v_addc_co_u32_e32 v9, vcc, v11, v9, vcc
	v_cmp_eq_u64_e32 vcc, 0, v[8:9]
	v_cndmask_b32_e32 v9, v9, v11, vcc
	v_cndmask_b32_e32 v8, v8, v10, vcc
	v_and_b32_e32 v5, v9, v5
	v_and_b32_e32 v4, v8, v4
	v_mul_lo_u32 v5, v5, 24
	v_mul_hi_u32 v11, v4, 24
	v_mul_lo_u32 v4, v4, 24
	s_waitcnt vmcnt(1)
	v_mov_b32_e32 v10, v12
	v_add_u32_e32 v5, v11, v5
	s_waitcnt vmcnt(0)
	v_add_co_u32_e32 v4, vcc, v14, v4
	v_addc_co_u32_e32 v5, vcc, v15, v5, vcc
	global_store_dwordx2 v[4:5], v[12:13], off
	v_mov_b32_e32 v11, v13
	s_waitcnt vmcnt(0)
	global_atomic_cmpswap_x2 v[10:11], v28, v[8:11], s[6:7] offset:24 glc
	s_waitcnt vmcnt(0)
	v_cmp_ne_u64_e32 vcc, v[10:11], v[12:13]
	s_and_b64 exec, exec, vcc
	s_cbranch_execz .LBB7_291
; %bb.371:                              ;   in Loop: Header=BB7_292 Depth=1
	s_mov_b64 s[4:5], 0
.LBB7_372:                              ;   Parent Loop BB7_292 Depth=1
                                        ; =>  This Inner Loop Header: Depth=2
	s_sleep 1
	global_store_dwordx2 v[4:5], v[10:11], off
	s_waitcnt vmcnt(0)
	global_atomic_cmpswap_x2 v[12:13], v28, v[8:11], s[6:7] offset:24 glc
	s_waitcnt vmcnt(0)
	v_cmp_eq_u64_e32 vcc, v[12:13], v[10:11]
	v_mov_b32_e32 v10, v12
	s_or_b64 s[4:5], vcc, s[4:5]
	v_mov_b32_e32 v11, v13
	s_andn2_b64 exec, exec, s[4:5]
	s_cbranch_execnz .LBB7_372
	s_branch .LBB7_291
.LBB7_373:
	s_branch .LBB7_401
.LBB7_374:
                                        ; implicit-def: $vgpr2_vgpr3
	s_cbranch_execz .LBB7_401
; %bb.375:
	v_readfirstlane_b32 s4, v32
	v_mov_b32_e32 v8, 0
	v_mov_b32_e32 v9, 0
	v_cmp_eq_u32_e64 s[4:5], s4, v32
	s_and_saveexec_b64 s[18:19], s[4:5]
	s_cbranch_execz .LBB7_381
; %bb.376:
	s_waitcnt vmcnt(0)
	v_mov_b32_e32 v2, 0
	global_load_dwordx2 v[5:6], v2, s[6:7] offset:24 glc
	s_waitcnt vmcnt(0)
	buffer_wbinvl1_vol
	global_load_dwordx2 v[3:4], v2, s[6:7] offset:40
	global_load_dwordx2 v[7:8], v2, s[6:7]
	s_waitcnt vmcnt(1)
	v_and_b32_e32 v3, v3, v5
	v_and_b32_e32 v4, v4, v6
	v_mul_lo_u32 v4, v4, 24
	v_mul_hi_u32 v9, v3, 24
	v_mul_lo_u32 v3, v3, 24
	v_add_u32_e32 v4, v9, v4
	s_waitcnt vmcnt(0)
	v_add_co_u32_e32 v3, vcc, v7, v3
	v_addc_co_u32_e32 v4, vcc, v8, v4, vcc
	global_load_dwordx2 v[3:4], v[3:4], off glc
	s_waitcnt vmcnt(0)
	global_atomic_cmpswap_x2 v[8:9], v2, v[3:6], s[6:7] offset:24 glc
	s_waitcnt vmcnt(0)
	buffer_wbinvl1_vol
	v_cmp_ne_u64_e32 vcc, v[8:9], v[5:6]
	s_and_saveexec_b64 s[20:21], vcc
	s_cbranch_execz .LBB7_380
; %bb.377:
	s_mov_b64 s[22:23], 0
.LBB7_378:                              ; =>This Inner Loop Header: Depth=1
	s_sleep 1
	global_load_dwordx2 v[3:4], v2, s[6:7] offset:40
	global_load_dwordx2 v[10:11], v2, s[6:7]
	v_mov_b32_e32 v5, v8
	v_mov_b32_e32 v6, v9
	s_waitcnt vmcnt(1)
	v_and_b32_e32 v3, v3, v5
	s_waitcnt vmcnt(0)
	v_mad_u64_u32 v[7:8], s[24:25], v3, 24, v[10:11]
	v_and_b32_e32 v4, v4, v6
	v_mov_b32_e32 v3, v8
	v_mad_u64_u32 v[3:4], s[24:25], v4, 24, v[3:4]
	v_mov_b32_e32 v8, v3
	global_load_dwordx2 v[3:4], v[7:8], off glc
	s_waitcnt vmcnt(0)
	global_atomic_cmpswap_x2 v[8:9], v2, v[3:6], s[6:7] offset:24 glc
	s_waitcnt vmcnt(0)
	buffer_wbinvl1_vol
	v_cmp_eq_u64_e32 vcc, v[8:9], v[5:6]
	s_or_b64 s[22:23], vcc, s[22:23]
	s_andn2_b64 exec, exec, s[22:23]
	s_cbranch_execnz .LBB7_378
; %bb.379:
	s_or_b64 exec, exec, s[22:23]
.LBB7_380:
	s_or_b64 exec, exec, s[20:21]
.LBB7_381:
	s_or_b64 exec, exec, s[18:19]
	s_waitcnt vmcnt(0)
	v_mov_b32_e32 v2, 0
	global_load_dwordx2 v[10:11], v2, s[6:7] offset:40
	global_load_dwordx4 v[4:7], v2, s[6:7]
	v_readfirstlane_b32 s18, v8
	v_readfirstlane_b32 s19, v9
	s_mov_b64 s[20:21], exec
	s_waitcnt vmcnt(1)
	v_readfirstlane_b32 s22, v10
	v_readfirstlane_b32 s23, v11
	s_and_b64 s[22:23], s[18:19], s[22:23]
	s_mul_i32 s15, s23, 24
	s_mul_hi_u32 s24, s22, 24
	s_mul_i32 s25, s22, 24
	s_add_i32 s15, s24, s15
	v_mov_b32_e32 v3, s15
	s_waitcnt vmcnt(0)
	v_add_co_u32_e32 v8, vcc, s25, v4
	v_addc_co_u32_e32 v9, vcc, v5, v3, vcc
	s_and_saveexec_b64 s[24:25], s[4:5]
	s_cbranch_execz .LBB7_383
; %bb.382:
	v_mov_b32_e32 v10, s20
	v_mov_b32_e32 v11, s21
	;; [unrolled: 1-line block ×4, first 2 shown]
	global_store_dwordx4 v[8:9], v[10:13], off offset:8
.LBB7_383:
	s_or_b64 exec, exec, s[24:25]
	s_lshl_b64 s[20:21], s[22:23], 12
	v_mov_b32_e32 v3, s21
	v_add_co_u32_e32 v10, vcc, s20, v6
	v_addc_co_u32_e32 v11, vcc, v7, v3, vcc
	s_movk_i32 s15, 0xff1f
	v_and_or_b32 v0, v0, s15, 32
	s_mov_b32 s20, 0
	v_mov_b32_e32 v3, v2
	v_readfirstlane_b32 s24, v10
	v_readfirstlane_b32 s25, v11
	v_add_co_u32_e32 v6, vcc, v10, v31
	s_mov_b32 s21, s20
	s_mov_b32 s22, s20
	;; [unrolled: 1-line block ×3, first 2 shown]
	s_nop 0
	global_store_dwordx4 v31, v[0:3], s[24:25]
	v_addc_co_u32_e32 v7, vcc, 0, v11, vcc
	v_mov_b32_e32 v0, s20
	v_mov_b32_e32 v1, s21
	;; [unrolled: 1-line block ×4, first 2 shown]
	global_store_dwordx4 v31, v[0:3], s[24:25] offset:16
	global_store_dwordx4 v31, v[0:3], s[24:25] offset:32
	;; [unrolled: 1-line block ×3, first 2 shown]
	s_and_saveexec_b64 s[20:21], s[4:5]
	s_cbranch_execz .LBB7_391
; %bb.384:
	v_mov_b32_e32 v10, 0
	global_load_dwordx2 v[13:14], v10, s[6:7] offset:32 glc
	global_load_dwordx2 v[0:1], v10, s[6:7] offset:40
	v_mov_b32_e32 v11, s18
	v_mov_b32_e32 v12, s19
	s_waitcnt vmcnt(0)
	v_readfirstlane_b32 s22, v0
	v_readfirstlane_b32 s23, v1
	s_and_b64 s[22:23], s[22:23], s[18:19]
	s_mul_i32 s15, s23, 24
	s_mul_hi_u32 s23, s22, 24
	s_mul_i32 s22, s22, 24
	s_add_i32 s15, s23, s15
	v_mov_b32_e32 v0, s15
	v_add_co_u32_e32 v4, vcc, s22, v4
	v_addc_co_u32_e32 v5, vcc, v5, v0, vcc
	global_store_dwordx2 v[4:5], v[13:14], off
	s_waitcnt vmcnt(0)
	global_atomic_cmpswap_x2 v[2:3], v10, v[11:14], s[6:7] offset:32 glc
	s_waitcnt vmcnt(0)
	v_cmp_ne_u64_e32 vcc, v[2:3], v[13:14]
	s_and_saveexec_b64 s[22:23], vcc
	s_cbranch_execz .LBB7_387
; %bb.385:
	s_mov_b64 s[24:25], 0
.LBB7_386:                              ; =>This Inner Loop Header: Depth=1
	s_sleep 1
	global_store_dwordx2 v[4:5], v[2:3], off
	v_mov_b32_e32 v0, s18
	v_mov_b32_e32 v1, s19
	s_waitcnt vmcnt(0)
	global_atomic_cmpswap_x2 v[0:1], v10, v[0:3], s[6:7] offset:32 glc
	s_waitcnt vmcnt(0)
	v_cmp_eq_u64_e32 vcc, v[0:1], v[2:3]
	v_mov_b32_e32 v3, v1
	s_or_b64 s[24:25], vcc, s[24:25]
	v_mov_b32_e32 v2, v0
	s_andn2_b64 exec, exec, s[24:25]
	s_cbranch_execnz .LBB7_386
.LBB7_387:
	s_or_b64 exec, exec, s[22:23]
	v_mov_b32_e32 v3, 0
	global_load_dwordx2 v[0:1], v3, s[6:7] offset:16
	s_mov_b64 s[22:23], exec
	v_mbcnt_lo_u32_b32 v2, s22, 0
	v_mbcnt_hi_u32_b32 v2, s23, v2
	v_cmp_eq_u32_e32 vcc, 0, v2
	s_and_saveexec_b64 s[24:25], vcc
	s_cbranch_execz .LBB7_389
; %bb.388:
	s_bcnt1_i32_b64 s15, s[22:23]
	v_mov_b32_e32 v2, s15
	s_waitcnt vmcnt(0)
	global_atomic_add_x2 v[0:1], v[2:3], off offset:8
.LBB7_389:
	s_or_b64 exec, exec, s[24:25]
	s_waitcnt vmcnt(0)
	global_load_dwordx2 v[2:3], v[0:1], off offset:16
	s_waitcnt vmcnt(0)
	v_cmp_eq_u64_e32 vcc, 0, v[2:3]
	s_cbranch_vccnz .LBB7_391
; %bb.390:
	global_load_dword v0, v[0:1], off offset:24
	v_mov_b32_e32 v1, 0
	s_waitcnt vmcnt(0)
	global_store_dwordx2 v[2:3], v[0:1], off
	v_and_b32_e32 v0, 0xffffff, v0
	v_readfirstlane_b32 m0, v0
	s_sendmsg sendmsg(MSG_INTERRUPT)
.LBB7_391:
	s_or_b64 exec, exec, s[20:21]
	s_branch .LBB7_395
.LBB7_392:                              ;   in Loop: Header=BB7_395 Depth=1
	s_or_b64 exec, exec, s[20:21]
	v_readfirstlane_b32 s15, v0
	s_cmp_eq_u32 s15, 0
	s_cbranch_scc1 .LBB7_394
; %bb.393:                              ;   in Loop: Header=BB7_395 Depth=1
	s_sleep 1
	s_cbranch_execnz .LBB7_395
	s_branch .LBB7_397
.LBB7_394:
	s_branch .LBB7_397
.LBB7_395:                              ; =>This Inner Loop Header: Depth=1
	v_mov_b32_e32 v0, 1
	s_and_saveexec_b64 s[20:21], s[4:5]
	s_cbranch_execz .LBB7_392
; %bb.396:                              ;   in Loop: Header=BB7_395 Depth=1
	global_load_dword v0, v[8:9], off offset:20 glc
	s_waitcnt vmcnt(0)
	buffer_wbinvl1_vol
	v_and_b32_e32 v0, 1, v0
	s_branch .LBB7_392
.LBB7_397:
	global_load_dwordx2 v[2:3], v[6:7], off
	s_and_saveexec_b64 s[20:21], s[4:5]
	s_cbranch_execz .LBB7_400
; %bb.398:
	v_mov_b32_e32 v8, 0
	global_load_dwordx2 v[0:1], v8, s[6:7] offset:40
	global_load_dwordx2 v[9:10], v8, s[6:7] offset:24 glc
	global_load_dwordx2 v[11:12], v8, s[6:7]
	v_mov_b32_e32 v5, s19
	s_mov_b64 s[4:5], 0
	s_waitcnt vmcnt(2)
	v_add_co_u32_e32 v6, vcc, 1, v0
	v_addc_co_u32_e32 v7, vcc, 0, v1, vcc
	v_add_co_u32_e32 v4, vcc, s18, v6
	v_addc_co_u32_e32 v5, vcc, v7, v5, vcc
	v_cmp_eq_u64_e32 vcc, 0, v[4:5]
	v_cndmask_b32_e32 v5, v5, v7, vcc
	v_cndmask_b32_e32 v4, v4, v6, vcc
	v_and_b32_e32 v1, v5, v1
	v_and_b32_e32 v0, v4, v0
	v_mul_lo_u32 v1, v1, 24
	v_mul_hi_u32 v7, v0, 24
	v_mul_lo_u32 v0, v0, 24
	s_waitcnt vmcnt(1)
	v_mov_b32_e32 v6, v9
	v_add_u32_e32 v1, v7, v1
	s_waitcnt vmcnt(0)
	v_add_co_u32_e32 v0, vcc, v11, v0
	v_addc_co_u32_e32 v1, vcc, v12, v1, vcc
	global_store_dwordx2 v[0:1], v[9:10], off
	v_mov_b32_e32 v7, v10
	s_waitcnt vmcnt(0)
	global_atomic_cmpswap_x2 v[6:7], v8, v[4:7], s[6:7] offset:24 glc
	s_waitcnt vmcnt(0)
	v_cmp_ne_u64_e32 vcc, v[6:7], v[9:10]
	s_and_b64 exec, exec, vcc
	s_cbranch_execz .LBB7_400
.LBB7_399:                              ; =>This Inner Loop Header: Depth=1
	s_sleep 1
	global_store_dwordx2 v[0:1], v[6:7], off
	s_waitcnt vmcnt(0)
	global_atomic_cmpswap_x2 v[9:10], v8, v[4:7], s[6:7] offset:24 glc
	s_waitcnt vmcnt(0)
	v_cmp_eq_u64_e32 vcc, v[9:10], v[6:7]
	v_mov_b32_e32 v6, v9
	s_or_b64 s[4:5], vcc, s[4:5]
	v_mov_b32_e32 v7, v10
	s_andn2_b64 exec, exec, s[4:5]
	s_cbranch_execnz .LBB7_399
.LBB7_400:
	s_or_b64 exec, exec, s[20:21]
.LBB7_401:
	v_readfirstlane_b32 s4, v32
	s_waitcnt vmcnt(0)
	v_mov_b32_e32 v0, 0
	v_mov_b32_e32 v1, 0
	v_cmp_eq_u32_e64 s[4:5], s4, v32
	s_and_saveexec_b64 s[18:19], s[4:5]
	s_cbranch_execz .LBB7_407
; %bb.402:
	v_mov_b32_e32 v4, 0
	global_load_dwordx2 v[7:8], v4, s[6:7] offset:24 glc
	s_waitcnt vmcnt(0)
	buffer_wbinvl1_vol
	global_load_dwordx2 v[0:1], v4, s[6:7] offset:40
	global_load_dwordx2 v[5:6], v4, s[6:7]
	s_waitcnt vmcnt(1)
	v_and_b32_e32 v0, v0, v7
	v_and_b32_e32 v1, v1, v8
	v_mul_lo_u32 v1, v1, 24
	v_mul_hi_u32 v9, v0, 24
	v_mul_lo_u32 v0, v0, 24
	v_add_u32_e32 v1, v9, v1
	s_waitcnt vmcnt(0)
	v_add_co_u32_e32 v0, vcc, v5, v0
	v_addc_co_u32_e32 v1, vcc, v6, v1, vcc
	global_load_dwordx2 v[5:6], v[0:1], off glc
	s_waitcnt vmcnt(0)
	global_atomic_cmpswap_x2 v[0:1], v4, v[5:8], s[6:7] offset:24 glc
	s_waitcnt vmcnt(0)
	buffer_wbinvl1_vol
	v_cmp_ne_u64_e32 vcc, v[0:1], v[7:8]
	s_and_saveexec_b64 s[20:21], vcc
	s_cbranch_execz .LBB7_406
; %bb.403:
	s_mov_b64 s[22:23], 0
.LBB7_404:                              ; =>This Inner Loop Header: Depth=1
	s_sleep 1
	global_load_dwordx2 v[5:6], v4, s[6:7] offset:40
	global_load_dwordx2 v[9:10], v4, s[6:7]
	v_mov_b32_e32 v8, v1
	v_mov_b32_e32 v7, v0
	s_waitcnt vmcnt(1)
	v_and_b32_e32 v0, v5, v7
	s_waitcnt vmcnt(0)
	v_mad_u64_u32 v[0:1], s[24:25], v0, 24, v[9:10]
	v_and_b32_e32 v5, v6, v8
	v_mad_u64_u32 v[5:6], s[24:25], v5, 24, v[1:2]
	v_mov_b32_e32 v1, v5
	global_load_dwordx2 v[5:6], v[0:1], off glc
	s_waitcnt vmcnt(0)
	global_atomic_cmpswap_x2 v[0:1], v4, v[5:8], s[6:7] offset:24 glc
	s_waitcnt vmcnt(0)
	buffer_wbinvl1_vol
	v_cmp_eq_u64_e32 vcc, v[0:1], v[7:8]
	s_or_b64 s[22:23], vcc, s[22:23]
	s_andn2_b64 exec, exec, s[22:23]
	s_cbranch_execnz .LBB7_404
; %bb.405:
	s_or_b64 exec, exec, s[22:23]
.LBB7_406:
	s_or_b64 exec, exec, s[20:21]
.LBB7_407:
	s_or_b64 exec, exec, s[18:19]
	v_mov_b32_e32 v5, 0
	global_load_dwordx2 v[10:11], v5, s[6:7] offset:40
	global_load_dwordx4 v[6:9], v5, s[6:7]
	v_readfirstlane_b32 s18, v0
	v_readfirstlane_b32 s19, v1
	s_mov_b64 s[20:21], exec
	s_waitcnt vmcnt(1)
	v_readfirstlane_b32 s22, v10
	v_readfirstlane_b32 s23, v11
	s_and_b64 s[22:23], s[18:19], s[22:23]
	s_mul_i32 s15, s23, 24
	s_mul_hi_u32 s24, s22, 24
	s_mul_i32 s25, s22, 24
	s_add_i32 s15, s24, s15
	v_mov_b32_e32 v0, s15
	s_waitcnt vmcnt(0)
	v_add_co_u32_e32 v10, vcc, s25, v6
	v_addc_co_u32_e32 v11, vcc, v7, v0, vcc
	s_and_saveexec_b64 s[24:25], s[4:5]
	s_cbranch_execz .LBB7_409
; %bb.408:
	v_mov_b32_e32 v12, s20
	v_mov_b32_e32 v13, s21
	;; [unrolled: 1-line block ×4, first 2 shown]
	global_store_dwordx4 v[10:11], v[12:15], off offset:8
.LBB7_409:
	s_or_b64 exec, exec, s[24:25]
	s_lshl_b64 s[20:21], s[22:23], 12
	v_mov_b32_e32 v0, s21
	v_add_co_u32_e32 v1, vcc, s20, v8
	v_addc_co_u32_e32 v0, vcc, v9, v0, vcc
	s_movk_i32 s15, 0xff1d
	v_and_or_b32 v2, v2, s15, 34
	s_mov_b32 s20, 0
	v_mov_b32_e32 v4, 10
	v_readfirstlane_b32 s24, v1
	v_readfirstlane_b32 s25, v0
	s_mov_b32 s21, s20
	s_mov_b32 s22, s20
	;; [unrolled: 1-line block ×3, first 2 shown]
	s_nop 1
	global_store_dwordx4 v31, v[2:5], s[24:25]
	v_mov_b32_e32 v0, s20
	v_mov_b32_e32 v1, s21
	v_mov_b32_e32 v2, s22
	v_mov_b32_e32 v3, s23
	global_store_dwordx4 v31, v[0:3], s[24:25] offset:16
	global_store_dwordx4 v31, v[0:3], s[24:25] offset:32
	;; [unrolled: 1-line block ×3, first 2 shown]
	s_and_saveexec_b64 s[20:21], s[4:5]
	s_cbranch_execz .LBB7_417
; %bb.410:
	v_mov_b32_e32 v8, 0
	global_load_dwordx2 v[14:15], v8, s[6:7] offset:32 glc
	global_load_dwordx2 v[0:1], v8, s[6:7] offset:40
	v_mov_b32_e32 v12, s18
	v_mov_b32_e32 v13, s19
	s_waitcnt vmcnt(0)
	v_readfirstlane_b32 s22, v0
	v_readfirstlane_b32 s23, v1
	s_and_b64 s[22:23], s[22:23], s[18:19]
	s_mul_i32 s15, s23, 24
	s_mul_hi_u32 s23, s22, 24
	s_mul_i32 s22, s22, 24
	s_add_i32 s15, s23, s15
	v_mov_b32_e32 v0, s15
	v_add_co_u32_e32 v4, vcc, s22, v6
	v_addc_co_u32_e32 v5, vcc, v7, v0, vcc
	global_store_dwordx2 v[4:5], v[14:15], off
	s_waitcnt vmcnt(0)
	global_atomic_cmpswap_x2 v[2:3], v8, v[12:15], s[6:7] offset:32 glc
	s_waitcnt vmcnt(0)
	v_cmp_ne_u64_e32 vcc, v[2:3], v[14:15]
	s_and_saveexec_b64 s[22:23], vcc
	s_cbranch_execz .LBB7_413
; %bb.411:
	s_mov_b64 s[24:25], 0
.LBB7_412:                              ; =>This Inner Loop Header: Depth=1
	s_sleep 1
	global_store_dwordx2 v[4:5], v[2:3], off
	v_mov_b32_e32 v0, s18
	v_mov_b32_e32 v1, s19
	s_waitcnt vmcnt(0)
	global_atomic_cmpswap_x2 v[0:1], v8, v[0:3], s[6:7] offset:32 glc
	s_waitcnt vmcnt(0)
	v_cmp_eq_u64_e32 vcc, v[0:1], v[2:3]
	v_mov_b32_e32 v3, v1
	s_or_b64 s[24:25], vcc, s[24:25]
	v_mov_b32_e32 v2, v0
	s_andn2_b64 exec, exec, s[24:25]
	s_cbranch_execnz .LBB7_412
.LBB7_413:
	s_or_b64 exec, exec, s[22:23]
	v_mov_b32_e32 v3, 0
	global_load_dwordx2 v[0:1], v3, s[6:7] offset:16
	s_mov_b64 s[22:23], exec
	v_mbcnt_lo_u32_b32 v2, s22, 0
	v_mbcnt_hi_u32_b32 v2, s23, v2
	v_cmp_eq_u32_e32 vcc, 0, v2
	s_and_saveexec_b64 s[24:25], vcc
	s_cbranch_execz .LBB7_415
; %bb.414:
	s_bcnt1_i32_b64 s15, s[22:23]
	v_mov_b32_e32 v2, s15
	s_waitcnt vmcnt(0)
	global_atomic_add_x2 v[0:1], v[2:3], off offset:8
.LBB7_415:
	s_or_b64 exec, exec, s[24:25]
	s_waitcnt vmcnt(0)
	global_load_dwordx2 v[2:3], v[0:1], off offset:16
	s_waitcnt vmcnt(0)
	v_cmp_eq_u64_e32 vcc, 0, v[2:3]
	s_cbranch_vccnz .LBB7_417
; %bb.416:
	global_load_dword v0, v[0:1], off offset:24
	v_mov_b32_e32 v1, 0
	s_waitcnt vmcnt(0)
	global_store_dwordx2 v[2:3], v[0:1], off
	v_and_b32_e32 v0, 0xffffff, v0
	v_readfirstlane_b32 m0, v0
	s_sendmsg sendmsg(MSG_INTERRUPT)
.LBB7_417:
	s_or_b64 exec, exec, s[20:21]
	s_branch .LBB7_421
.LBB7_418:                              ;   in Loop: Header=BB7_421 Depth=1
	s_or_b64 exec, exec, s[20:21]
	v_readfirstlane_b32 s15, v0
	s_cmp_eq_u32 s15, 0
	s_cbranch_scc1 .LBB7_420
; %bb.419:                              ;   in Loop: Header=BB7_421 Depth=1
	s_sleep 1
	s_cbranch_execnz .LBB7_421
	s_branch .LBB7_423
.LBB7_420:
	s_branch .LBB7_423
.LBB7_421:                              ; =>This Inner Loop Header: Depth=1
	v_mov_b32_e32 v0, 1
	s_and_saveexec_b64 s[20:21], s[4:5]
	s_cbranch_execz .LBB7_418
; %bb.422:                              ;   in Loop: Header=BB7_421 Depth=1
	global_load_dword v0, v[10:11], off offset:20 glc
	s_waitcnt vmcnt(0)
	buffer_wbinvl1_vol
	v_and_b32_e32 v0, 1, v0
	s_branch .LBB7_418
.LBB7_423:
	s_and_saveexec_b64 s[20:21], s[4:5]
	s_cbranch_execz .LBB7_426
; %bb.424:
	v_mov_b32_e32 v6, 0
	global_load_dwordx2 v[2:3], v6, s[6:7] offset:40
	global_load_dwordx2 v[7:8], v6, s[6:7] offset:24 glc
	global_load_dwordx2 v[4:5], v6, s[6:7]
	v_mov_b32_e32 v1, s19
	s_mov_b64 s[4:5], 0
	s_waitcnt vmcnt(2)
	v_add_co_u32_e32 v9, vcc, 1, v2
	v_addc_co_u32_e32 v10, vcc, 0, v3, vcc
	v_add_co_u32_e32 v0, vcc, s18, v9
	v_addc_co_u32_e32 v1, vcc, v10, v1, vcc
	v_cmp_eq_u64_e32 vcc, 0, v[0:1]
	v_cndmask_b32_e32 v1, v1, v10, vcc
	v_cndmask_b32_e32 v0, v0, v9, vcc
	v_and_b32_e32 v3, v1, v3
	v_and_b32_e32 v2, v0, v2
	v_mul_lo_u32 v3, v3, 24
	v_mul_hi_u32 v9, v2, 24
	v_mul_lo_u32 v10, v2, 24
	s_waitcnt vmcnt(1)
	v_mov_b32_e32 v2, v7
	v_add_u32_e32 v3, v9, v3
	s_waitcnt vmcnt(0)
	v_add_co_u32_e32 v4, vcc, v4, v10
	v_addc_co_u32_e32 v5, vcc, v5, v3, vcc
	global_store_dwordx2 v[4:5], v[7:8], off
	v_mov_b32_e32 v3, v8
	s_waitcnt vmcnt(0)
	global_atomic_cmpswap_x2 v[2:3], v6, v[0:3], s[6:7] offset:24 glc
	s_waitcnt vmcnt(0)
	v_cmp_ne_u64_e32 vcc, v[2:3], v[7:8]
	s_and_b64 exec, exec, vcc
	s_cbranch_execz .LBB7_426
.LBB7_425:                              ; =>This Inner Loop Header: Depth=1
	s_sleep 1
	global_store_dwordx2 v[4:5], v[2:3], off
	s_waitcnt vmcnt(0)
	global_atomic_cmpswap_x2 v[7:8], v6, v[0:3], s[6:7] offset:24 glc
	s_waitcnt vmcnt(0)
	v_cmp_eq_u64_e32 vcc, v[7:8], v[2:3]
	v_mov_b32_e32 v2, v7
	s_or_b64 s[4:5], vcc, s[4:5]
	v_mov_b32_e32 v3, v8
	s_andn2_b64 exec, exec, s[4:5]
	s_cbranch_execnz .LBB7_425
.LBB7_426:
	s_or_b64 exec, exec, s[20:21]
	v_readfirstlane_b32 s4, v32
	v_mov_b32_e32 v5, 0
	v_mov_b32_e32 v6, 0
	v_cmp_eq_u32_e64 s[4:5], s4, v32
	s_and_saveexec_b64 s[18:19], s[4:5]
	s_cbranch_execz .LBB7_432
; %bb.427:
	v_mov_b32_e32 v0, 0
	global_load_dwordx2 v[3:4], v0, s[6:7] offset:24 glc
	s_waitcnt vmcnt(0)
	buffer_wbinvl1_vol
	global_load_dwordx2 v[1:2], v0, s[6:7] offset:40
	global_load_dwordx2 v[5:6], v0, s[6:7]
	s_waitcnt vmcnt(1)
	v_and_b32_e32 v1, v1, v3
	v_and_b32_e32 v2, v2, v4
	v_mul_lo_u32 v2, v2, 24
	v_mul_hi_u32 v7, v1, 24
	v_mul_lo_u32 v1, v1, 24
	v_add_u32_e32 v2, v7, v2
	s_waitcnt vmcnt(0)
	v_add_co_u32_e32 v1, vcc, v5, v1
	v_addc_co_u32_e32 v2, vcc, v6, v2, vcc
	global_load_dwordx2 v[1:2], v[1:2], off glc
	s_waitcnt vmcnt(0)
	global_atomic_cmpswap_x2 v[5:6], v0, v[1:4], s[6:7] offset:24 glc
	s_waitcnt vmcnt(0)
	buffer_wbinvl1_vol
	v_cmp_ne_u64_e32 vcc, v[5:6], v[3:4]
	s_and_saveexec_b64 s[20:21], vcc
	s_cbranch_execz .LBB7_431
; %bb.428:
	s_mov_b64 s[22:23], 0
.LBB7_429:                              ; =>This Inner Loop Header: Depth=1
	s_sleep 1
	global_load_dwordx2 v[1:2], v0, s[6:7] offset:40
	global_load_dwordx2 v[7:8], v0, s[6:7]
	v_mov_b32_e32 v3, v5
	v_mov_b32_e32 v4, v6
	s_waitcnt vmcnt(1)
	v_and_b32_e32 v1, v1, v3
	s_waitcnt vmcnt(0)
	v_mad_u64_u32 v[5:6], s[24:25], v1, 24, v[7:8]
	v_and_b32_e32 v2, v2, v4
	v_mov_b32_e32 v1, v6
	v_mad_u64_u32 v[1:2], s[24:25], v2, 24, v[1:2]
	v_mov_b32_e32 v6, v1
	global_load_dwordx2 v[1:2], v[5:6], off glc
	s_waitcnt vmcnt(0)
	global_atomic_cmpswap_x2 v[5:6], v0, v[1:4], s[6:7] offset:24 glc
	s_waitcnt vmcnt(0)
	buffer_wbinvl1_vol
	v_cmp_eq_u64_e32 vcc, v[5:6], v[3:4]
	s_or_b64 s[22:23], vcc, s[22:23]
	s_andn2_b64 exec, exec, s[22:23]
	s_cbranch_execnz .LBB7_429
; %bb.430:
	s_or_b64 exec, exec, s[22:23]
.LBB7_431:
	s_or_b64 exec, exec, s[20:21]
.LBB7_432:
	s_or_b64 exec, exec, s[18:19]
	v_mov_b32_e32 v4, 0
	global_load_dwordx2 v[7:8], v4, s[6:7] offset:40
	global_load_dwordx4 v[0:3], v4, s[6:7]
	v_readfirstlane_b32 s18, v5
	v_readfirstlane_b32 s19, v6
	s_mov_b64 s[20:21], exec
	s_waitcnt vmcnt(1)
	v_readfirstlane_b32 s22, v7
	v_readfirstlane_b32 s23, v8
	s_and_b64 s[22:23], s[18:19], s[22:23]
	s_mul_i32 s15, s23, 24
	s_mul_hi_u32 s24, s22, 24
	s_mul_i32 s25, s22, 24
	s_add_i32 s15, s24, s15
	v_mov_b32_e32 v5, s15
	s_waitcnt vmcnt(0)
	v_add_co_u32_e32 v7, vcc, s25, v0
	v_addc_co_u32_e32 v8, vcc, v1, v5, vcc
	s_and_saveexec_b64 s[24:25], s[4:5]
	s_cbranch_execz .LBB7_434
; %bb.433:
	v_mov_b32_e32 v9, s20
	v_mov_b32_e32 v10, s21
	v_mov_b32_e32 v11, 2
	v_mov_b32_e32 v12, 1
	global_store_dwordx4 v[7:8], v[9:12], off offset:8
.LBB7_434:
	s_or_b64 exec, exec, s[24:25]
	s_lshl_b64 s[20:21], s[22:23], 12
	v_mov_b32_e32 v5, s21
	v_add_co_u32_e32 v2, vcc, s20, v2
	v_addc_co_u32_e32 v11, vcc, v3, v5, vcc
	s_mov_b32 s20, 0
	v_mov_b32_e32 v3, 33
	v_mov_b32_e32 v5, v4
	;; [unrolled: 1-line block ×3, first 2 shown]
	v_readfirstlane_b32 s24, v2
	v_readfirstlane_b32 s25, v11
	v_add_co_u32_e32 v9, vcc, v2, v31
	s_mov_b32 s21, s20
	s_mov_b32 s22, s20
	;; [unrolled: 1-line block ×3, first 2 shown]
	s_nop 0
	global_store_dwordx4 v31, v[3:6], s[24:25]
	v_mov_b32_e32 v2, s20
	v_addc_co_u32_e32 v10, vcc, 0, v11, vcc
	v_mov_b32_e32 v3, s21
	v_mov_b32_e32 v4, s22
	;; [unrolled: 1-line block ×3, first 2 shown]
	global_store_dwordx4 v31, v[2:5], s[24:25] offset:16
	global_store_dwordx4 v31, v[2:5], s[24:25] offset:32
	;; [unrolled: 1-line block ×3, first 2 shown]
	s_and_saveexec_b64 s[20:21], s[4:5]
	s_cbranch_execz .LBB7_442
; %bb.435:
	v_mov_b32_e32 v6, 0
	global_load_dwordx2 v[13:14], v6, s[6:7] offset:32 glc
	global_load_dwordx2 v[2:3], v6, s[6:7] offset:40
	v_mov_b32_e32 v11, s18
	v_mov_b32_e32 v12, s19
	s_waitcnt vmcnt(0)
	v_readfirstlane_b32 s22, v2
	v_readfirstlane_b32 s23, v3
	s_and_b64 s[22:23], s[22:23], s[18:19]
	s_mul_i32 s15, s23, 24
	s_mul_hi_u32 s23, s22, 24
	s_mul_i32 s22, s22, 24
	s_add_i32 s15, s23, s15
	v_mov_b32_e32 v2, s15
	v_add_co_u32_e32 v4, vcc, s22, v0
	v_addc_co_u32_e32 v5, vcc, v1, v2, vcc
	global_store_dwordx2 v[4:5], v[13:14], off
	s_waitcnt vmcnt(0)
	global_atomic_cmpswap_x2 v[2:3], v6, v[11:14], s[6:7] offset:32 glc
	s_waitcnt vmcnt(0)
	v_cmp_ne_u64_e32 vcc, v[2:3], v[13:14]
	s_and_saveexec_b64 s[22:23], vcc
	s_cbranch_execz .LBB7_438
; %bb.436:
	s_mov_b64 s[24:25], 0
.LBB7_437:                              ; =>This Inner Loop Header: Depth=1
	s_sleep 1
	global_store_dwordx2 v[4:5], v[2:3], off
	v_mov_b32_e32 v0, s18
	v_mov_b32_e32 v1, s19
	s_waitcnt vmcnt(0)
	global_atomic_cmpswap_x2 v[0:1], v6, v[0:3], s[6:7] offset:32 glc
	s_waitcnt vmcnt(0)
	v_cmp_eq_u64_e32 vcc, v[0:1], v[2:3]
	v_mov_b32_e32 v3, v1
	s_or_b64 s[24:25], vcc, s[24:25]
	v_mov_b32_e32 v2, v0
	s_andn2_b64 exec, exec, s[24:25]
	s_cbranch_execnz .LBB7_437
.LBB7_438:
	s_or_b64 exec, exec, s[22:23]
	v_mov_b32_e32 v3, 0
	global_load_dwordx2 v[0:1], v3, s[6:7] offset:16
	s_mov_b64 s[22:23], exec
	v_mbcnt_lo_u32_b32 v2, s22, 0
	v_mbcnt_hi_u32_b32 v2, s23, v2
	v_cmp_eq_u32_e32 vcc, 0, v2
	s_and_saveexec_b64 s[24:25], vcc
	s_cbranch_execz .LBB7_440
; %bb.439:
	s_bcnt1_i32_b64 s15, s[22:23]
	v_mov_b32_e32 v2, s15
	s_waitcnt vmcnt(0)
	global_atomic_add_x2 v[0:1], v[2:3], off offset:8
.LBB7_440:
	s_or_b64 exec, exec, s[24:25]
	s_waitcnt vmcnt(0)
	global_load_dwordx2 v[2:3], v[0:1], off offset:16
	s_waitcnt vmcnt(0)
	v_cmp_eq_u64_e32 vcc, 0, v[2:3]
	s_cbranch_vccnz .LBB7_442
; %bb.441:
	global_load_dword v0, v[0:1], off offset:24
	v_mov_b32_e32 v1, 0
	s_waitcnt vmcnt(0)
	global_store_dwordx2 v[2:3], v[0:1], off
	v_and_b32_e32 v0, 0xffffff, v0
	v_readfirstlane_b32 m0, v0
	s_sendmsg sendmsg(MSG_INTERRUPT)
.LBB7_442:
	s_or_b64 exec, exec, s[20:21]
	s_branch .LBB7_446
.LBB7_443:                              ;   in Loop: Header=BB7_446 Depth=1
	s_or_b64 exec, exec, s[20:21]
	v_readfirstlane_b32 s15, v0
	s_cmp_eq_u32 s15, 0
	s_cbranch_scc1 .LBB7_445
; %bb.444:                              ;   in Loop: Header=BB7_446 Depth=1
	s_sleep 1
	s_cbranch_execnz .LBB7_446
	s_branch .LBB7_448
.LBB7_445:
	s_branch .LBB7_448
.LBB7_446:                              ; =>This Inner Loop Header: Depth=1
	v_mov_b32_e32 v0, 1
	s_and_saveexec_b64 s[20:21], s[4:5]
	s_cbranch_execz .LBB7_443
; %bb.447:                              ;   in Loop: Header=BB7_446 Depth=1
	global_load_dword v0, v[7:8], off offset:20 glc
	s_waitcnt vmcnt(0)
	buffer_wbinvl1_vol
	v_and_b32_e32 v0, 1, v0
	s_branch .LBB7_443
.LBB7_448:
	global_load_dwordx2 v[4:5], v[9:10], off
	s_and_saveexec_b64 s[20:21], s[4:5]
	s_cbranch_execz .LBB7_451
; %bb.449:
	v_mov_b32_e32 v8, 0
	global_load_dwordx2 v[2:3], v8, s[6:7] offset:40
	global_load_dwordx2 v[9:10], v8, s[6:7] offset:24 glc
	global_load_dwordx2 v[6:7], v8, s[6:7]
	v_mov_b32_e32 v1, s19
	s_mov_b64 s[4:5], 0
	s_waitcnt vmcnt(2)
	v_add_co_u32_e32 v11, vcc, 1, v2
	v_addc_co_u32_e32 v12, vcc, 0, v3, vcc
	v_add_co_u32_e32 v0, vcc, s18, v11
	v_addc_co_u32_e32 v1, vcc, v12, v1, vcc
	v_cmp_eq_u64_e32 vcc, 0, v[0:1]
	v_cndmask_b32_e32 v1, v1, v12, vcc
	v_cndmask_b32_e32 v0, v0, v11, vcc
	v_and_b32_e32 v3, v1, v3
	v_and_b32_e32 v2, v0, v2
	v_mul_lo_u32 v3, v3, 24
	v_mul_hi_u32 v11, v2, 24
	v_mul_lo_u32 v12, v2, 24
	s_waitcnt vmcnt(1)
	v_mov_b32_e32 v2, v9
	v_add_u32_e32 v3, v11, v3
	s_waitcnt vmcnt(0)
	v_add_co_u32_e32 v6, vcc, v6, v12
	v_addc_co_u32_e32 v7, vcc, v7, v3, vcc
	global_store_dwordx2 v[6:7], v[9:10], off
	v_mov_b32_e32 v3, v10
	s_waitcnt vmcnt(0)
	global_atomic_cmpswap_x2 v[2:3], v8, v[0:3], s[6:7] offset:24 glc
	s_waitcnt vmcnt(0)
	v_cmp_ne_u64_e32 vcc, v[2:3], v[9:10]
	s_and_b64 exec, exec, vcc
	s_cbranch_execz .LBB7_451
.LBB7_450:                              ; =>This Inner Loop Header: Depth=1
	s_sleep 1
	global_store_dwordx2 v[6:7], v[2:3], off
	s_waitcnt vmcnt(0)
	global_atomic_cmpswap_x2 v[9:10], v8, v[0:3], s[6:7] offset:24 glc
	s_waitcnt vmcnt(0)
	v_cmp_eq_u64_e32 vcc, v[9:10], v[2:3]
	v_mov_b32_e32 v2, v9
	s_or_b64 s[4:5], vcc, s[4:5]
	v_mov_b32_e32 v3, v10
	s_andn2_b64 exec, exec, s[4:5]
	s_cbranch_execnz .LBB7_450
.LBB7_451:
	s_or_b64 exec, exec, s[20:21]
	s_and_b64 vcc, exec, s[10:11]
	s_cbranch_vccz .LBB7_536
; %bb.452:
	s_waitcnt vmcnt(0)
	v_and_b32_e32 v29, 2, v4
	v_mov_b32_e32 v26, 0
	v_and_b32_e32 v0, -3, v4
	v_mov_b32_e32 v1, v5
	s_mov_b64 s[20:21], 3
	v_mov_b32_e32 v8, 2
	v_mov_b32_e32 v9, 1
	s_getpc_b64 s[18:19]
	s_add_u32 s18, s18, .str.5@rel32@lo+4
	s_addc_u32 s19, s19, .str.5@rel32@hi+12
	s_branch .LBB7_454
.LBB7_453:                              ;   in Loop: Header=BB7_454 Depth=1
	s_or_b64 exec, exec, s[26:27]
	s_sub_u32 s20, s20, s22
	s_subb_u32 s21, s21, s23
	s_add_u32 s18, s18, s22
	s_addc_u32 s19, s19, s23
	s_cmp_lg_u64 s[20:21], 0
	s_cbranch_scc0 .LBB7_535
.LBB7_454:                              ; =>This Loop Header: Depth=1
                                        ;     Child Loop BB7_457 Depth 2
                                        ;     Child Loop BB7_464 Depth 2
	;; [unrolled: 1-line block ×11, first 2 shown]
	v_cmp_lt_u64_e64 s[4:5], s[20:21], 56
	v_cmp_gt_u64_e64 s[24:25], s[20:21], 7
	s_and_b64 s[4:5], s[4:5], exec
	s_cselect_b32 s23, s21, 0
	s_cselect_b32 s22, s20, 56
	s_and_b64 vcc, exec, s[24:25]
	s_cbranch_vccnz .LBB7_459
; %bb.455:                              ;   in Loop: Header=BB7_454 Depth=1
	s_waitcnt vmcnt(0)
	v_mov_b32_e32 v2, 0
	s_cmp_eq_u64 s[20:21], 0
	v_mov_b32_e32 v3, 0
	s_mov_b64 s[4:5], 0
	s_cbranch_scc1 .LBB7_458
; %bb.456:                              ;   in Loop: Header=BB7_454 Depth=1
	v_mov_b32_e32 v2, 0
	s_lshl_b64 s[24:25], s[22:23], 3
	s_mov_b64 s[26:27], 0
	v_mov_b32_e32 v3, 0
	s_mov_b64 s[28:29], s[18:19]
.LBB7_457:                              ;   Parent Loop BB7_454 Depth=1
                                        ; =>  This Inner Loop Header: Depth=2
	global_load_ubyte v6, v26, s[28:29]
	s_waitcnt vmcnt(0)
	v_and_b32_e32 v25, 0xffff, v6
	v_lshlrev_b64 v[6:7], s26, v[25:26]
	s_add_u32 s26, s26, 8
	s_addc_u32 s27, s27, 0
	s_add_u32 s28, s28, 1
	s_addc_u32 s29, s29, 0
	v_or_b32_e32 v2, v6, v2
	s_cmp_lg_u32 s24, s26
	v_or_b32_e32 v3, v7, v3
	s_cbranch_scc1 .LBB7_457
.LBB7_458:                              ;   in Loop: Header=BB7_454 Depth=1
	s_mov_b32 s15, 0
	s_andn2_b64 vcc, exec, s[4:5]
	s_mov_b64 s[4:5], s[18:19]
	s_cbranch_vccz .LBB7_460
	s_branch .LBB7_461
.LBB7_459:                              ;   in Loop: Header=BB7_454 Depth=1
                                        ; implicit-def: $vgpr2_vgpr3
                                        ; implicit-def: $sgpr15
	s_mov_b64 s[4:5], s[18:19]
.LBB7_460:                              ;   in Loop: Header=BB7_454 Depth=1
	global_load_dwordx2 v[2:3], v26, s[18:19]
	s_add_i32 s15, s22, -8
	s_add_u32 s4, s18, 8
	s_addc_u32 s5, s19, 0
.LBB7_461:                              ;   in Loop: Header=BB7_454 Depth=1
	s_cmp_gt_u32 s15, 7
	s_cbranch_scc1 .LBB7_465
; %bb.462:                              ;   in Loop: Header=BB7_454 Depth=1
	s_cmp_eq_u32 s15, 0
	s_cbranch_scc1 .LBB7_466
; %bb.463:                              ;   in Loop: Header=BB7_454 Depth=1
	v_mov_b32_e32 v10, 0
	s_mov_b64 s[24:25], 0
	v_mov_b32_e32 v11, 0
	s_mov_b64 s[26:27], 0
.LBB7_464:                              ;   Parent Loop BB7_454 Depth=1
                                        ; =>  This Inner Loop Header: Depth=2
	s_add_u32 s28, s4, s26
	s_addc_u32 s29, s5, s27
	global_load_ubyte v6, v26, s[28:29]
	s_add_u32 s26, s26, 1
	s_addc_u32 s27, s27, 0
	s_waitcnt vmcnt(0)
	v_and_b32_e32 v25, 0xffff, v6
	v_lshlrev_b64 v[6:7], s24, v[25:26]
	s_add_u32 s24, s24, 8
	s_addc_u32 s25, s25, 0
	v_or_b32_e32 v10, v6, v10
	s_cmp_lg_u32 s15, s26
	v_or_b32_e32 v11, v7, v11
	s_cbranch_scc1 .LBB7_464
	s_branch .LBB7_467
.LBB7_465:                              ;   in Loop: Header=BB7_454 Depth=1
                                        ; implicit-def: $vgpr10_vgpr11
                                        ; implicit-def: $sgpr28
	s_branch .LBB7_468
.LBB7_466:                              ;   in Loop: Header=BB7_454 Depth=1
	v_mov_b32_e32 v10, 0
	v_mov_b32_e32 v11, 0
.LBB7_467:                              ;   in Loop: Header=BB7_454 Depth=1
	s_mov_b32 s28, 0
	s_cbranch_execnz .LBB7_469
.LBB7_468:                              ;   in Loop: Header=BB7_454 Depth=1
	global_load_dwordx2 v[10:11], v26, s[4:5]
	s_add_i32 s28, s15, -8
	s_add_u32 s4, s4, 8
	s_addc_u32 s5, s5, 0
.LBB7_469:                              ;   in Loop: Header=BB7_454 Depth=1
	s_cmp_gt_u32 s28, 7
	s_cbranch_scc1 .LBB7_473
; %bb.470:                              ;   in Loop: Header=BB7_454 Depth=1
	s_cmp_eq_u32 s28, 0
	s_cbranch_scc1 .LBB7_474
; %bb.471:                              ;   in Loop: Header=BB7_454 Depth=1
	v_mov_b32_e32 v12, 0
	s_mov_b64 s[24:25], 0
	v_mov_b32_e32 v13, 0
	s_mov_b64 s[26:27], 0
.LBB7_472:                              ;   Parent Loop BB7_454 Depth=1
                                        ; =>  This Inner Loop Header: Depth=2
	s_add_u32 vcc_lo, s4, s26
	s_addc_u32 vcc_hi, s5, s27
	global_load_ubyte v6, v26, vcc
	s_add_u32 s26, s26, 1
	s_addc_u32 s27, s27, 0
	s_waitcnt vmcnt(0)
	v_and_b32_e32 v25, 0xffff, v6
	v_lshlrev_b64 v[6:7], s24, v[25:26]
	s_add_u32 s24, s24, 8
	s_addc_u32 s25, s25, 0
	v_or_b32_e32 v12, v6, v12
	s_cmp_lg_u32 s28, s26
	v_or_b32_e32 v13, v7, v13
	s_cbranch_scc1 .LBB7_472
	s_branch .LBB7_475
.LBB7_473:                              ;   in Loop: Header=BB7_454 Depth=1
                                        ; implicit-def: $sgpr15
	s_branch .LBB7_476
.LBB7_474:                              ;   in Loop: Header=BB7_454 Depth=1
	v_mov_b32_e32 v12, 0
	v_mov_b32_e32 v13, 0
.LBB7_475:                              ;   in Loop: Header=BB7_454 Depth=1
	s_mov_b32 s15, 0
	s_cbranch_execnz .LBB7_477
.LBB7_476:                              ;   in Loop: Header=BB7_454 Depth=1
	global_load_dwordx2 v[12:13], v26, s[4:5]
	s_add_i32 s15, s28, -8
	s_add_u32 s4, s4, 8
	s_addc_u32 s5, s5, 0
.LBB7_477:                              ;   in Loop: Header=BB7_454 Depth=1
	s_cmp_gt_u32 s15, 7
	s_cbranch_scc1 .LBB7_481
; %bb.478:                              ;   in Loop: Header=BB7_454 Depth=1
	s_cmp_eq_u32 s15, 0
	s_cbranch_scc1 .LBB7_482
; %bb.479:                              ;   in Loop: Header=BB7_454 Depth=1
	v_mov_b32_e32 v14, 0
	s_mov_b64 s[24:25], 0
	v_mov_b32_e32 v15, 0
	s_mov_b64 s[26:27], 0
.LBB7_480:                              ;   Parent Loop BB7_454 Depth=1
                                        ; =>  This Inner Loop Header: Depth=2
	s_add_u32 s28, s4, s26
	s_addc_u32 s29, s5, s27
	global_load_ubyte v6, v26, s[28:29]
	s_add_u32 s26, s26, 1
	s_addc_u32 s27, s27, 0
	s_waitcnt vmcnt(0)
	v_and_b32_e32 v25, 0xffff, v6
	v_lshlrev_b64 v[6:7], s24, v[25:26]
	s_add_u32 s24, s24, 8
	s_addc_u32 s25, s25, 0
	v_or_b32_e32 v14, v6, v14
	s_cmp_lg_u32 s15, s26
	v_or_b32_e32 v15, v7, v15
	s_cbranch_scc1 .LBB7_480
	s_branch .LBB7_483
.LBB7_481:                              ;   in Loop: Header=BB7_454 Depth=1
                                        ; implicit-def: $vgpr14_vgpr15
                                        ; implicit-def: $sgpr28
	s_branch .LBB7_484
.LBB7_482:                              ;   in Loop: Header=BB7_454 Depth=1
	v_mov_b32_e32 v14, 0
	v_mov_b32_e32 v15, 0
.LBB7_483:                              ;   in Loop: Header=BB7_454 Depth=1
	s_mov_b32 s28, 0
	s_cbranch_execnz .LBB7_485
.LBB7_484:                              ;   in Loop: Header=BB7_454 Depth=1
	global_load_dwordx2 v[14:15], v26, s[4:5]
	s_add_i32 s28, s15, -8
	s_add_u32 s4, s4, 8
	s_addc_u32 s5, s5, 0
.LBB7_485:                              ;   in Loop: Header=BB7_454 Depth=1
	s_cmp_gt_u32 s28, 7
	s_cbranch_scc1 .LBB7_489
; %bb.486:                              ;   in Loop: Header=BB7_454 Depth=1
	s_cmp_eq_u32 s28, 0
	s_cbranch_scc1 .LBB7_490
; %bb.487:                              ;   in Loop: Header=BB7_454 Depth=1
	v_mov_b32_e32 v16, 0
	s_mov_b64 s[24:25], 0
	v_mov_b32_e32 v17, 0
	s_mov_b64 s[26:27], 0
.LBB7_488:                              ;   Parent Loop BB7_454 Depth=1
                                        ; =>  This Inner Loop Header: Depth=2
	s_add_u32 vcc_lo, s4, s26
	s_addc_u32 vcc_hi, s5, s27
	global_load_ubyte v6, v26, vcc
	s_add_u32 s26, s26, 1
	s_addc_u32 s27, s27, 0
	s_waitcnt vmcnt(0)
	v_and_b32_e32 v25, 0xffff, v6
	v_lshlrev_b64 v[6:7], s24, v[25:26]
	s_add_u32 s24, s24, 8
	s_addc_u32 s25, s25, 0
	v_or_b32_e32 v16, v6, v16
	s_cmp_lg_u32 s28, s26
	v_or_b32_e32 v17, v7, v17
	s_cbranch_scc1 .LBB7_488
	s_branch .LBB7_491
.LBB7_489:                              ;   in Loop: Header=BB7_454 Depth=1
                                        ; implicit-def: $sgpr15
	s_branch .LBB7_492
.LBB7_490:                              ;   in Loop: Header=BB7_454 Depth=1
	v_mov_b32_e32 v16, 0
	v_mov_b32_e32 v17, 0
.LBB7_491:                              ;   in Loop: Header=BB7_454 Depth=1
	s_mov_b32 s15, 0
	s_cbranch_execnz .LBB7_493
.LBB7_492:                              ;   in Loop: Header=BB7_454 Depth=1
	global_load_dwordx2 v[16:17], v26, s[4:5]
	s_add_i32 s15, s28, -8
	s_add_u32 s4, s4, 8
	s_addc_u32 s5, s5, 0
.LBB7_493:                              ;   in Loop: Header=BB7_454 Depth=1
	s_cmp_gt_u32 s15, 7
	s_cbranch_scc1 .LBB7_497
; %bb.494:                              ;   in Loop: Header=BB7_454 Depth=1
	s_cmp_eq_u32 s15, 0
	s_cbranch_scc1 .LBB7_498
; %bb.495:                              ;   in Loop: Header=BB7_454 Depth=1
	v_mov_b32_e32 v18, 0
	s_mov_b64 s[24:25], 0
	v_mov_b32_e32 v19, 0
	s_mov_b64 s[26:27], 0
.LBB7_496:                              ;   Parent Loop BB7_454 Depth=1
                                        ; =>  This Inner Loop Header: Depth=2
	s_add_u32 s28, s4, s26
	s_addc_u32 s29, s5, s27
	global_load_ubyte v6, v26, s[28:29]
	s_add_u32 s26, s26, 1
	s_addc_u32 s27, s27, 0
	s_waitcnt vmcnt(0)
	v_and_b32_e32 v25, 0xffff, v6
	v_lshlrev_b64 v[6:7], s24, v[25:26]
	s_add_u32 s24, s24, 8
	s_addc_u32 s25, s25, 0
	v_or_b32_e32 v18, v6, v18
	s_cmp_lg_u32 s15, s26
	v_or_b32_e32 v19, v7, v19
	s_cbranch_scc1 .LBB7_496
	s_branch .LBB7_499
.LBB7_497:                              ;   in Loop: Header=BB7_454 Depth=1
                                        ; implicit-def: $vgpr18_vgpr19
                                        ; implicit-def: $sgpr28
	s_branch .LBB7_500
.LBB7_498:                              ;   in Loop: Header=BB7_454 Depth=1
	v_mov_b32_e32 v18, 0
	v_mov_b32_e32 v19, 0
.LBB7_499:                              ;   in Loop: Header=BB7_454 Depth=1
	s_mov_b32 s28, 0
	s_cbranch_execnz .LBB7_501
.LBB7_500:                              ;   in Loop: Header=BB7_454 Depth=1
	global_load_dwordx2 v[18:19], v26, s[4:5]
	s_add_i32 s28, s15, -8
	s_add_u32 s4, s4, 8
	s_addc_u32 s5, s5, 0
.LBB7_501:                              ;   in Loop: Header=BB7_454 Depth=1
	s_cmp_gt_u32 s28, 7
	s_cbranch_scc1 .LBB7_505
; %bb.502:                              ;   in Loop: Header=BB7_454 Depth=1
	s_cmp_eq_u32 s28, 0
	s_cbranch_scc1 .LBB7_506
; %bb.503:                              ;   in Loop: Header=BB7_454 Depth=1
	v_mov_b32_e32 v20, 0
	s_mov_b64 s[24:25], 0
	v_mov_b32_e32 v21, 0
	s_mov_b64 s[26:27], s[4:5]
.LBB7_504:                              ;   Parent Loop BB7_454 Depth=1
                                        ; =>  This Inner Loop Header: Depth=2
	global_load_ubyte v6, v26, s[26:27]
	s_add_i32 s28, s28, -1
	s_waitcnt vmcnt(0)
	v_and_b32_e32 v25, 0xffff, v6
	v_lshlrev_b64 v[6:7], s24, v[25:26]
	s_add_u32 s24, s24, 8
	s_addc_u32 s25, s25, 0
	s_add_u32 s26, s26, 1
	s_addc_u32 s27, s27, 0
	v_or_b32_e32 v20, v6, v20
	s_cmp_lg_u32 s28, 0
	v_or_b32_e32 v21, v7, v21
	s_cbranch_scc1 .LBB7_504
	s_branch .LBB7_507
.LBB7_505:                              ;   in Loop: Header=BB7_454 Depth=1
	s_branch .LBB7_508
.LBB7_506:                              ;   in Loop: Header=BB7_454 Depth=1
	v_mov_b32_e32 v20, 0
	v_mov_b32_e32 v21, 0
.LBB7_507:                              ;   in Loop: Header=BB7_454 Depth=1
	s_cbranch_execnz .LBB7_509
.LBB7_508:                              ;   in Loop: Header=BB7_454 Depth=1
	global_load_dwordx2 v[20:21], v26, s[4:5]
.LBB7_509:                              ;   in Loop: Header=BB7_454 Depth=1
	v_readfirstlane_b32 s4, v32
	v_mov_b32_e32 v6, 0
	v_mov_b32_e32 v7, 0
	v_cmp_eq_u32_e64 s[4:5], s4, v32
	s_and_saveexec_b64 s[24:25], s[4:5]
	s_cbranch_execz .LBB7_515
; %bb.510:                              ;   in Loop: Header=BB7_454 Depth=1
	global_load_dwordx2 v[24:25], v26, s[6:7] offset:24 glc
	s_waitcnt vmcnt(0)
	buffer_wbinvl1_vol
	global_load_dwordx2 v[6:7], v26, s[6:7] offset:40
	global_load_dwordx2 v[22:23], v26, s[6:7]
	s_waitcnt vmcnt(1)
	v_and_b32_e32 v6, v6, v24
	v_and_b32_e32 v7, v7, v25
	v_mul_lo_u32 v7, v7, 24
	v_mul_hi_u32 v27, v6, 24
	v_mul_lo_u32 v6, v6, 24
	v_add_u32_e32 v7, v27, v7
	s_waitcnt vmcnt(0)
	v_add_co_u32_e32 v6, vcc, v22, v6
	v_addc_co_u32_e32 v7, vcc, v23, v7, vcc
	global_load_dwordx2 v[22:23], v[6:7], off glc
	s_waitcnt vmcnt(0)
	global_atomic_cmpswap_x2 v[6:7], v26, v[22:25], s[6:7] offset:24 glc
	s_waitcnt vmcnt(0)
	buffer_wbinvl1_vol
	v_cmp_ne_u64_e32 vcc, v[6:7], v[24:25]
	s_and_saveexec_b64 s[26:27], vcc
	s_cbranch_execz .LBB7_514
; %bb.511:                              ;   in Loop: Header=BB7_454 Depth=1
	s_mov_b64 s[28:29], 0
.LBB7_512:                              ;   Parent Loop BB7_454 Depth=1
                                        ; =>  This Inner Loop Header: Depth=2
	s_sleep 1
	global_load_dwordx2 v[22:23], v26, s[6:7] offset:40
	global_load_dwordx2 v[27:28], v26, s[6:7]
	v_mov_b32_e32 v25, v7
	v_mov_b32_e32 v24, v6
	s_waitcnt vmcnt(1)
	v_and_b32_e32 v6, v22, v24
	s_waitcnt vmcnt(0)
	v_mad_u64_u32 v[6:7], vcc, v6, 24, v[27:28]
	v_and_b32_e32 v22, v23, v25
	v_mad_u64_u32 v[22:23], vcc, v22, 24, v[7:8]
	v_mov_b32_e32 v7, v22
	global_load_dwordx2 v[22:23], v[6:7], off glc
	s_waitcnt vmcnt(0)
	global_atomic_cmpswap_x2 v[6:7], v26, v[22:25], s[6:7] offset:24 glc
	s_waitcnt vmcnt(0)
	buffer_wbinvl1_vol
	v_cmp_eq_u64_e32 vcc, v[6:7], v[24:25]
	s_or_b64 s[28:29], vcc, s[28:29]
	s_andn2_b64 exec, exec, s[28:29]
	s_cbranch_execnz .LBB7_512
; %bb.513:                              ;   in Loop: Header=BB7_454 Depth=1
	s_or_b64 exec, exec, s[28:29]
.LBB7_514:                              ;   in Loop: Header=BB7_454 Depth=1
	s_or_b64 exec, exec, s[26:27]
.LBB7_515:                              ;   in Loop: Header=BB7_454 Depth=1
	s_or_b64 exec, exec, s[24:25]
	global_load_dwordx2 v[27:28], v26, s[6:7] offset:40
	global_load_dwordx4 v[22:25], v26, s[6:7]
	v_readfirstlane_b32 s24, v6
	v_readfirstlane_b32 s25, v7
	s_mov_b64 s[26:27], exec
	s_waitcnt vmcnt(1)
	v_readfirstlane_b32 s28, v27
	v_readfirstlane_b32 s29, v28
	s_and_b64 s[28:29], s[24:25], s[28:29]
	s_mul_i32 s15, s29, 24
	s_mul_hi_u32 vcc_lo, s28, 24
	s_mul_i32 vcc_hi, s28, 24
	s_add_i32 s15, vcc_lo, s15
	v_mov_b32_e32 v6, s15
	s_waitcnt vmcnt(0)
	v_add_co_u32_e32 v27, vcc, vcc_hi, v22
	v_addc_co_u32_e32 v28, vcc, v23, v6, vcc
	s_and_saveexec_b64 vcc, s[4:5]
	s_cbranch_execz .LBB7_517
; %bb.516:                              ;   in Loop: Header=BB7_454 Depth=1
	v_mov_b32_e32 v6, s26
	v_mov_b32_e32 v7, s27
	global_store_dwordx4 v[27:28], v[6:9], off offset:8
.LBB7_517:                              ;   in Loop: Header=BB7_454 Depth=1
	s_or_b64 exec, exec, vcc
	s_lshl_b64 s[26:27], s[28:29], 12
	v_mov_b32_e32 v6, s27
	v_add_co_u32_e32 v24, vcc, s26, v24
	v_addc_co_u32_e32 v30, vcc, v25, v6, vcc
	v_cmp_gt_u64_e64 vcc, s[20:21], 56
	v_or_b32_e32 v7, v0, v29
	s_lshl_b32 s15, s22, 2
	v_cndmask_b32_e32 v0, v7, v0, vcc
	s_add_i32 s15, s15, 28
	v_or_b32_e32 v6, 0, v1
	s_and_b32 s15, s15, 0x1e0
	v_and_b32_e32 v0, 0xffffff1f, v0
	v_cndmask_b32_e32 v1, v6, v1, vcc
	v_or_b32_e32 v0, s15, v0
	v_readfirstlane_b32 s26, v24
	v_readfirstlane_b32 s27, v30
	s_nop 4
	global_store_dwordx4 v31, v[0:3], s[26:27]
	global_store_dwordx4 v31, v[10:13], s[26:27] offset:16
	global_store_dwordx4 v31, v[14:17], s[26:27] offset:32
	global_store_dwordx4 v31, v[18:21], s[26:27] offset:48
	s_and_saveexec_b64 s[26:27], s[4:5]
	s_cbranch_execz .LBB7_525
; %bb.518:                              ;   in Loop: Header=BB7_454 Depth=1
	global_load_dwordx2 v[12:13], v26, s[6:7] offset:32 glc
	global_load_dwordx2 v[0:1], v26, s[6:7] offset:40
	v_mov_b32_e32 v10, s24
	v_mov_b32_e32 v11, s25
	s_waitcnt vmcnt(0)
	v_readfirstlane_b32 s28, v0
	v_readfirstlane_b32 s29, v1
	s_and_b64 s[28:29], s[28:29], s[24:25]
	s_mul_i32 s15, s29, 24
	s_mul_hi_u32 s29, s28, 24
	s_mul_i32 s28, s28, 24
	s_add_i32 s15, s29, s15
	v_mov_b32_e32 v0, s15
	v_add_co_u32_e32 v6, vcc, s28, v22
	v_addc_co_u32_e32 v7, vcc, v23, v0, vcc
	global_store_dwordx2 v[6:7], v[12:13], off
	s_waitcnt vmcnt(0)
	global_atomic_cmpswap_x2 v[2:3], v26, v[10:13], s[6:7] offset:32 glc
	s_waitcnt vmcnt(0)
	v_cmp_ne_u64_e32 vcc, v[2:3], v[12:13]
	s_and_saveexec_b64 s[28:29], vcc
	s_cbranch_execz .LBB7_521
; %bb.519:                              ;   in Loop: Header=BB7_454 Depth=1
	s_mov_b64 s[30:31], 0
.LBB7_520:                              ;   Parent Loop BB7_454 Depth=1
                                        ; =>  This Inner Loop Header: Depth=2
	s_sleep 1
	global_store_dwordx2 v[6:7], v[2:3], off
	v_mov_b32_e32 v0, s24
	v_mov_b32_e32 v1, s25
	s_waitcnt vmcnt(0)
	global_atomic_cmpswap_x2 v[0:1], v26, v[0:3], s[6:7] offset:32 glc
	s_waitcnt vmcnt(0)
	v_cmp_eq_u64_e32 vcc, v[0:1], v[2:3]
	v_mov_b32_e32 v3, v1
	s_or_b64 s[30:31], vcc, s[30:31]
	v_mov_b32_e32 v2, v0
	s_andn2_b64 exec, exec, s[30:31]
	s_cbranch_execnz .LBB7_520
.LBB7_521:                              ;   in Loop: Header=BB7_454 Depth=1
	s_or_b64 exec, exec, s[28:29]
	global_load_dwordx2 v[0:1], v26, s[6:7] offset:16
	s_mov_b64 s[30:31], exec
	v_mbcnt_lo_u32_b32 v2, s30, 0
	v_mbcnt_hi_u32_b32 v2, s31, v2
	v_cmp_eq_u32_e32 vcc, 0, v2
	s_and_saveexec_b64 s[28:29], vcc
	s_cbranch_execz .LBB7_523
; %bb.522:                              ;   in Loop: Header=BB7_454 Depth=1
	s_bcnt1_i32_b64 s15, s[30:31]
	v_mov_b32_e32 v25, s15
	s_waitcnt vmcnt(0)
	global_atomic_add_x2 v[0:1], v[25:26], off offset:8
.LBB7_523:                              ;   in Loop: Header=BB7_454 Depth=1
	s_or_b64 exec, exec, s[28:29]
	s_waitcnt vmcnt(0)
	global_load_dwordx2 v[2:3], v[0:1], off offset:16
	s_waitcnt vmcnt(0)
	v_cmp_eq_u64_e32 vcc, 0, v[2:3]
	s_cbranch_vccnz .LBB7_525
; %bb.524:                              ;   in Loop: Header=BB7_454 Depth=1
	global_load_dword v25, v[0:1], off offset:24
	s_waitcnt vmcnt(0)
	v_and_b32_e32 v0, 0xffffff, v25
	v_readfirstlane_b32 m0, v0
	global_store_dwordx2 v[2:3], v[25:26], off
	s_sendmsg sendmsg(MSG_INTERRUPT)
.LBB7_525:                              ;   in Loop: Header=BB7_454 Depth=1
	s_or_b64 exec, exec, s[26:27]
	v_add_co_u32_e32 v0, vcc, v24, v31
	v_addc_co_u32_e32 v1, vcc, 0, v30, vcc
	s_branch .LBB7_529
.LBB7_526:                              ;   in Loop: Header=BB7_529 Depth=2
	s_or_b64 exec, exec, s[26:27]
	v_readfirstlane_b32 s15, v2
	s_cmp_eq_u32 s15, 0
	s_cbranch_scc1 .LBB7_528
; %bb.527:                              ;   in Loop: Header=BB7_529 Depth=2
	s_sleep 1
	s_cbranch_execnz .LBB7_529
	s_branch .LBB7_531
.LBB7_528:                              ;   in Loop: Header=BB7_454 Depth=1
	s_branch .LBB7_531
.LBB7_529:                              ;   Parent Loop BB7_454 Depth=1
                                        ; =>  This Inner Loop Header: Depth=2
	v_mov_b32_e32 v2, 1
	s_and_saveexec_b64 s[26:27], s[4:5]
	s_cbranch_execz .LBB7_526
; %bb.530:                              ;   in Loop: Header=BB7_529 Depth=2
	global_load_dword v2, v[27:28], off offset:20 glc
	s_waitcnt vmcnt(0)
	buffer_wbinvl1_vol
	v_and_b32_e32 v2, 1, v2
	s_branch .LBB7_526
.LBB7_531:                              ;   in Loop: Header=BB7_454 Depth=1
	global_load_dwordx4 v[0:3], v[0:1], off
	s_and_saveexec_b64 s[26:27], s[4:5]
	s_cbranch_execz .LBB7_453
; %bb.532:                              ;   in Loop: Header=BB7_454 Depth=1
	global_load_dwordx2 v[2:3], v26, s[6:7] offset:40
	global_load_dwordx2 v[6:7], v26, s[6:7] offset:24 glc
	global_load_dwordx2 v[13:14], v26, s[6:7]
	v_mov_b32_e32 v11, s25
	s_waitcnt vmcnt(2)
	v_add_co_u32_e32 v12, vcc, 1, v2
	v_addc_co_u32_e32 v15, vcc, 0, v3, vcc
	v_add_co_u32_e32 v10, vcc, s24, v12
	v_addc_co_u32_e32 v11, vcc, v15, v11, vcc
	v_cmp_eq_u64_e32 vcc, 0, v[10:11]
	v_cndmask_b32_e32 v11, v11, v15, vcc
	v_cndmask_b32_e32 v10, v10, v12, vcc
	v_and_b32_e32 v3, v11, v3
	v_and_b32_e32 v2, v10, v2
	v_mul_lo_u32 v3, v3, 24
	v_mul_hi_u32 v15, v2, 24
	v_mul_lo_u32 v2, v2, 24
	s_waitcnt vmcnt(1)
	v_mov_b32_e32 v12, v6
	v_add_u32_e32 v3, v15, v3
	s_waitcnt vmcnt(0)
	v_add_co_u32_e32 v2, vcc, v13, v2
	v_addc_co_u32_e32 v3, vcc, v14, v3, vcc
	global_store_dwordx2 v[2:3], v[6:7], off
	v_mov_b32_e32 v13, v7
	s_waitcnt vmcnt(0)
	global_atomic_cmpswap_x2 v[12:13], v26, v[10:13], s[6:7] offset:24 glc
	s_waitcnt vmcnt(0)
	v_cmp_ne_u64_e32 vcc, v[12:13], v[6:7]
	s_and_b64 exec, exec, vcc
	s_cbranch_execz .LBB7_453
; %bb.533:                              ;   in Loop: Header=BB7_454 Depth=1
	s_mov_b64 s[4:5], 0
.LBB7_534:                              ;   Parent Loop BB7_454 Depth=1
                                        ; =>  This Inner Loop Header: Depth=2
	s_sleep 1
	global_store_dwordx2 v[2:3], v[12:13], off
	s_waitcnt vmcnt(0)
	global_atomic_cmpswap_x2 v[6:7], v26, v[10:13], s[6:7] offset:24 glc
	s_waitcnt vmcnt(0)
	v_cmp_eq_u64_e32 vcc, v[6:7], v[12:13]
	v_mov_b32_e32 v13, v7
	s_or_b64 s[4:5], vcc, s[4:5]
	v_mov_b32_e32 v12, v6
	s_andn2_b64 exec, exec, s[4:5]
	s_cbranch_execnz .LBB7_534
	s_branch .LBB7_453
.LBB7_535:
	s_branch .LBB7_563
.LBB7_536:
                                        ; implicit-def: $vgpr0_vgpr1
	s_cbranch_execz .LBB7_563
; %bb.537:
	v_readfirstlane_b32 s4, v32
	v_mov_b32_e32 v7, 0
	v_mov_b32_e32 v8, 0
	v_cmp_eq_u32_e64 s[4:5], s4, v32
	s_and_saveexec_b64 s[18:19], s[4:5]
	s_cbranch_execz .LBB7_543
; %bb.538:
	s_waitcnt vmcnt(0)
	v_mov_b32_e32 v0, 0
	global_load_dwordx2 v[9:10], v0, s[6:7] offset:24 glc
	s_waitcnt vmcnt(0)
	buffer_wbinvl1_vol
	global_load_dwordx2 v[1:2], v0, s[6:7] offset:40
	global_load_dwordx2 v[6:7], v0, s[6:7]
	s_waitcnt vmcnt(1)
	v_and_b32_e32 v1, v1, v9
	v_and_b32_e32 v2, v2, v10
	v_mul_lo_u32 v2, v2, 24
	v_mul_hi_u32 v3, v1, 24
	v_mul_lo_u32 v1, v1, 24
	v_add_u32_e32 v2, v3, v2
	s_waitcnt vmcnt(0)
	v_add_co_u32_e32 v1, vcc, v6, v1
	v_addc_co_u32_e32 v2, vcc, v7, v2, vcc
	global_load_dwordx2 v[7:8], v[1:2], off glc
	s_waitcnt vmcnt(0)
	global_atomic_cmpswap_x2 v[7:8], v0, v[7:10], s[6:7] offset:24 glc
	s_waitcnt vmcnt(0)
	buffer_wbinvl1_vol
	v_cmp_ne_u64_e32 vcc, v[7:8], v[9:10]
	s_and_saveexec_b64 s[20:21], vcc
	s_cbranch_execz .LBB7_542
; %bb.539:
	s_mov_b64 s[22:23], 0
.LBB7_540:                              ; =>This Inner Loop Header: Depth=1
	s_sleep 1
	global_load_dwordx2 v[1:2], v0, s[6:7] offset:40
	global_load_dwordx2 v[11:12], v0, s[6:7]
	v_mov_b32_e32 v10, v8
	v_mov_b32_e32 v9, v7
	s_waitcnt vmcnt(1)
	v_and_b32_e32 v1, v1, v9
	s_waitcnt vmcnt(0)
	v_mad_u64_u32 v[6:7], s[24:25], v1, 24, v[11:12]
	v_and_b32_e32 v2, v2, v10
	v_mov_b32_e32 v1, v7
	v_mad_u64_u32 v[1:2], s[24:25], v2, 24, v[1:2]
	v_mov_b32_e32 v7, v1
	global_load_dwordx2 v[7:8], v[6:7], off glc
	s_waitcnt vmcnt(0)
	global_atomic_cmpswap_x2 v[7:8], v0, v[7:10], s[6:7] offset:24 glc
	s_waitcnt vmcnt(0)
	buffer_wbinvl1_vol
	v_cmp_eq_u64_e32 vcc, v[7:8], v[9:10]
	s_or_b64 s[22:23], vcc, s[22:23]
	s_andn2_b64 exec, exec, s[22:23]
	s_cbranch_execnz .LBB7_540
; %bb.541:
	s_or_b64 exec, exec, s[22:23]
.LBB7_542:
	s_or_b64 exec, exec, s[20:21]
.LBB7_543:
	s_or_b64 exec, exec, s[18:19]
	v_mov_b32_e32 v6, 0
	global_load_dwordx2 v[9:10], v6, s[6:7] offset:40
	global_load_dwordx4 v[0:3], v6, s[6:7]
	v_readfirstlane_b32 s18, v7
	v_readfirstlane_b32 s19, v8
	s_mov_b64 s[20:21], exec
	s_waitcnt vmcnt(1)
	v_readfirstlane_b32 s22, v9
	v_readfirstlane_b32 s23, v10
	s_and_b64 s[22:23], s[18:19], s[22:23]
	s_mul_i32 s15, s23, 24
	s_mul_hi_u32 s24, s22, 24
	s_mul_i32 s25, s22, 24
	s_add_i32 s15, s24, s15
	v_mov_b32_e32 v7, s15
	s_waitcnt vmcnt(0)
	v_add_co_u32_e32 v8, vcc, s25, v0
	v_addc_co_u32_e32 v9, vcc, v1, v7, vcc
	s_and_saveexec_b64 s[24:25], s[4:5]
	s_cbranch_execz .LBB7_545
; %bb.544:
	v_mov_b32_e32 v10, s20
	v_mov_b32_e32 v11, s21
	;; [unrolled: 1-line block ×4, first 2 shown]
	global_store_dwordx4 v[8:9], v[10:13], off offset:8
.LBB7_545:
	s_or_b64 exec, exec, s[24:25]
	s_lshl_b64 s[20:21], s[22:23], 12
	v_mov_b32_e32 v7, s21
	v_add_co_u32_e32 v2, vcc, s20, v2
	v_addc_co_u32_e32 v3, vcc, v3, v7, vcc
	s_movk_i32 s15, 0xff1f
	v_and_or_b32 v4, v4, s15, 32
	v_add_co_u32_e32 v10, vcc, v2, v31
	s_mov_b32 s20, 0
	v_mov_b32_e32 v7, v6
	v_readfirstlane_b32 s24, v2
	v_readfirstlane_b32 s25, v3
	v_addc_co_u32_e32 v11, vcc, 0, v3, vcc
	s_mov_b32 s21, s20
	s_mov_b32 s22, s20
	;; [unrolled: 1-line block ×3, first 2 shown]
	s_nop 0
	global_store_dwordx4 v31, v[4:7], s[24:25]
	v_mov_b32_e32 v2, s20
	v_mov_b32_e32 v3, s21
	;; [unrolled: 1-line block ×4, first 2 shown]
	global_store_dwordx4 v31, v[2:5], s[24:25] offset:16
	global_store_dwordx4 v31, v[2:5], s[24:25] offset:32
	;; [unrolled: 1-line block ×3, first 2 shown]
	s_and_saveexec_b64 s[20:21], s[4:5]
	s_cbranch_execz .LBB7_553
; %bb.546:
	v_mov_b32_e32 v6, 0
	global_load_dwordx2 v[14:15], v6, s[6:7] offset:32 glc
	global_load_dwordx2 v[2:3], v6, s[6:7] offset:40
	v_mov_b32_e32 v12, s18
	v_mov_b32_e32 v13, s19
	s_waitcnt vmcnt(0)
	v_readfirstlane_b32 s22, v2
	v_readfirstlane_b32 s23, v3
	s_and_b64 s[22:23], s[22:23], s[18:19]
	s_mul_i32 s15, s23, 24
	s_mul_hi_u32 s23, s22, 24
	s_mul_i32 s22, s22, 24
	s_add_i32 s15, s23, s15
	v_mov_b32_e32 v2, s15
	v_add_co_u32_e32 v4, vcc, s22, v0
	v_addc_co_u32_e32 v5, vcc, v1, v2, vcc
	global_store_dwordx2 v[4:5], v[14:15], off
	s_waitcnt vmcnt(0)
	global_atomic_cmpswap_x2 v[2:3], v6, v[12:15], s[6:7] offset:32 glc
	s_waitcnt vmcnt(0)
	v_cmp_ne_u64_e32 vcc, v[2:3], v[14:15]
	s_and_saveexec_b64 s[22:23], vcc
	s_cbranch_execz .LBB7_549
; %bb.547:
	s_mov_b64 s[24:25], 0
.LBB7_548:                              ; =>This Inner Loop Header: Depth=1
	s_sleep 1
	global_store_dwordx2 v[4:5], v[2:3], off
	v_mov_b32_e32 v0, s18
	v_mov_b32_e32 v1, s19
	s_waitcnt vmcnt(0)
	global_atomic_cmpswap_x2 v[0:1], v6, v[0:3], s[6:7] offset:32 glc
	s_waitcnt vmcnt(0)
	v_cmp_eq_u64_e32 vcc, v[0:1], v[2:3]
	v_mov_b32_e32 v3, v1
	s_or_b64 s[24:25], vcc, s[24:25]
	v_mov_b32_e32 v2, v0
	s_andn2_b64 exec, exec, s[24:25]
	s_cbranch_execnz .LBB7_548
.LBB7_549:
	s_or_b64 exec, exec, s[22:23]
	v_mov_b32_e32 v3, 0
	global_load_dwordx2 v[0:1], v3, s[6:7] offset:16
	s_mov_b64 s[22:23], exec
	v_mbcnt_lo_u32_b32 v2, s22, 0
	v_mbcnt_hi_u32_b32 v2, s23, v2
	v_cmp_eq_u32_e32 vcc, 0, v2
	s_and_saveexec_b64 s[24:25], vcc
	s_cbranch_execz .LBB7_551
; %bb.550:
	s_bcnt1_i32_b64 s15, s[22:23]
	v_mov_b32_e32 v2, s15
	s_waitcnt vmcnt(0)
	global_atomic_add_x2 v[0:1], v[2:3], off offset:8
.LBB7_551:
	s_or_b64 exec, exec, s[24:25]
	s_waitcnt vmcnt(0)
	global_load_dwordx2 v[2:3], v[0:1], off offset:16
	s_waitcnt vmcnt(0)
	v_cmp_eq_u64_e32 vcc, 0, v[2:3]
	s_cbranch_vccnz .LBB7_553
; %bb.552:
	global_load_dword v0, v[0:1], off offset:24
	v_mov_b32_e32 v1, 0
	s_waitcnt vmcnt(0)
	global_store_dwordx2 v[2:3], v[0:1], off
	v_and_b32_e32 v0, 0xffffff, v0
	v_readfirstlane_b32 m0, v0
	s_sendmsg sendmsg(MSG_INTERRUPT)
.LBB7_553:
	s_or_b64 exec, exec, s[20:21]
	s_branch .LBB7_557
.LBB7_554:                              ;   in Loop: Header=BB7_557 Depth=1
	s_or_b64 exec, exec, s[20:21]
	v_readfirstlane_b32 s15, v0
	s_cmp_eq_u32 s15, 0
	s_cbranch_scc1 .LBB7_556
; %bb.555:                              ;   in Loop: Header=BB7_557 Depth=1
	s_sleep 1
	s_cbranch_execnz .LBB7_557
	s_branch .LBB7_559
.LBB7_556:
	s_branch .LBB7_559
.LBB7_557:                              ; =>This Inner Loop Header: Depth=1
	v_mov_b32_e32 v0, 1
	s_and_saveexec_b64 s[20:21], s[4:5]
	s_cbranch_execz .LBB7_554
; %bb.558:                              ;   in Loop: Header=BB7_557 Depth=1
	global_load_dword v0, v[8:9], off offset:20 glc
	s_waitcnt vmcnt(0)
	buffer_wbinvl1_vol
	v_and_b32_e32 v0, 1, v0
	s_branch .LBB7_554
.LBB7_559:
	global_load_dwordx2 v[0:1], v[10:11], off
	s_and_saveexec_b64 s[20:21], s[4:5]
	s_cbranch_execz .LBB7_562
; %bb.560:
	v_mov_b32_e32 v8, 0
	global_load_dwordx2 v[4:5], v8, s[6:7] offset:40
	global_load_dwordx2 v[9:10], v8, s[6:7] offset:24 glc
	global_load_dwordx2 v[6:7], v8, s[6:7]
	v_mov_b32_e32 v3, s19
	s_mov_b64 s[4:5], 0
	s_waitcnt vmcnt(2)
	v_add_co_u32_e32 v11, vcc, 1, v4
	v_addc_co_u32_e32 v12, vcc, 0, v5, vcc
	v_add_co_u32_e32 v2, vcc, s18, v11
	v_addc_co_u32_e32 v3, vcc, v12, v3, vcc
	v_cmp_eq_u64_e32 vcc, 0, v[2:3]
	v_cndmask_b32_e32 v3, v3, v12, vcc
	v_cndmask_b32_e32 v2, v2, v11, vcc
	v_and_b32_e32 v5, v3, v5
	v_and_b32_e32 v4, v2, v4
	v_mul_lo_u32 v5, v5, 24
	v_mul_hi_u32 v11, v4, 24
	v_mul_lo_u32 v12, v4, 24
	s_waitcnt vmcnt(1)
	v_mov_b32_e32 v4, v9
	v_add_u32_e32 v5, v11, v5
	s_waitcnt vmcnt(0)
	v_add_co_u32_e32 v6, vcc, v6, v12
	v_addc_co_u32_e32 v7, vcc, v7, v5, vcc
	global_store_dwordx2 v[6:7], v[9:10], off
	v_mov_b32_e32 v5, v10
	s_waitcnt vmcnt(0)
	global_atomic_cmpswap_x2 v[4:5], v8, v[2:5], s[6:7] offset:24 glc
	s_waitcnt vmcnt(0)
	v_cmp_ne_u64_e32 vcc, v[4:5], v[9:10]
	s_and_b64 exec, exec, vcc
	s_cbranch_execz .LBB7_562
.LBB7_561:                              ; =>This Inner Loop Header: Depth=1
	s_sleep 1
	global_store_dwordx2 v[6:7], v[4:5], off
	s_waitcnt vmcnt(0)
	global_atomic_cmpswap_x2 v[9:10], v8, v[2:5], s[6:7] offset:24 glc
	s_waitcnt vmcnt(0)
	v_cmp_eq_u64_e32 vcc, v[9:10], v[4:5]
	v_mov_b32_e32 v4, v9
	s_or_b64 s[4:5], vcc, s[4:5]
	v_mov_b32_e32 v5, v10
	s_andn2_b64 exec, exec, s[4:5]
	s_cbranch_execnz .LBB7_561
.LBB7_562:
	s_or_b64 exec, exec, s[20:21]
.LBB7_563:
	s_getpc_b64 s[18:19]
	s_add_u32 s18, s18, .str.1@rel32@lo+4
	s_addc_u32 s19, s19, .str.1@rel32@hi+12
	s_cmp_lg_u64 s[18:19], 0
	s_cbranch_scc0 .LBB7_648
; %bb.564:
	s_waitcnt vmcnt(0)
	v_and_b32_e32 v6, -3, v0
	v_mov_b32_e32 v7, v1
	s_mov_b64 s[20:21], 0x53
	v_mov_b32_e32 v26, 0
	v_mov_b32_e32 v4, 2
	;; [unrolled: 1-line block ×3, first 2 shown]
	s_branch .LBB7_566
.LBB7_565:                              ;   in Loop: Header=BB7_566 Depth=1
	s_or_b64 exec, exec, s[26:27]
	s_sub_u32 s20, s20, s22
	s_subb_u32 s21, s21, s23
	s_add_u32 s18, s18, s22
	s_addc_u32 s19, s19, s23
	s_cmp_lg_u64 s[20:21], 0
	s_cbranch_scc0 .LBB7_647
.LBB7_566:                              ; =>This Loop Header: Depth=1
                                        ;     Child Loop BB7_569 Depth 2
                                        ;     Child Loop BB7_576 Depth 2
	;; [unrolled: 1-line block ×11, first 2 shown]
	v_cmp_lt_u64_e64 s[4:5], s[20:21], 56
	v_cmp_gt_u64_e64 s[24:25], s[20:21], 7
	s_and_b64 s[4:5], s[4:5], exec
	s_cselect_b32 s23, s21, 0
	s_cselect_b32 s22, s20, 56
	s_and_b64 vcc, exec, s[24:25]
	s_cbranch_vccnz .LBB7_571
; %bb.567:                              ;   in Loop: Header=BB7_566 Depth=1
	s_waitcnt vmcnt(0)
	v_mov_b32_e32 v8, 0
	s_cmp_eq_u64 s[20:21], 0
	v_mov_b32_e32 v9, 0
	s_mov_b64 s[4:5], 0
	s_cbranch_scc1 .LBB7_570
; %bb.568:                              ;   in Loop: Header=BB7_566 Depth=1
	v_mov_b32_e32 v8, 0
	s_lshl_b64 s[24:25], s[22:23], 3
	s_mov_b64 s[26:27], 0
	v_mov_b32_e32 v9, 0
	s_mov_b64 s[28:29], s[18:19]
.LBB7_569:                              ;   Parent Loop BB7_566 Depth=1
                                        ; =>  This Inner Loop Header: Depth=2
	global_load_ubyte v2, v26, s[28:29]
	s_waitcnt vmcnt(0)
	v_and_b32_e32 v25, 0xffff, v2
	v_lshlrev_b64 v[2:3], s26, v[25:26]
	s_add_u32 s26, s26, 8
	s_addc_u32 s27, s27, 0
	s_add_u32 s28, s28, 1
	s_addc_u32 s29, s29, 0
	v_or_b32_e32 v8, v2, v8
	s_cmp_lg_u32 s24, s26
	v_or_b32_e32 v9, v3, v9
	s_cbranch_scc1 .LBB7_569
.LBB7_570:                              ;   in Loop: Header=BB7_566 Depth=1
	s_mov_b32 s15, 0
	s_andn2_b64 vcc, exec, s[4:5]
	s_mov_b64 s[4:5], s[18:19]
	s_cbranch_vccz .LBB7_572
	s_branch .LBB7_573
.LBB7_571:                              ;   in Loop: Header=BB7_566 Depth=1
                                        ; implicit-def: $sgpr15
	s_mov_b64 s[4:5], s[18:19]
.LBB7_572:                              ;   in Loop: Header=BB7_566 Depth=1
	global_load_dwordx2 v[8:9], v26, s[18:19]
	s_add_i32 s15, s22, -8
	s_add_u32 s4, s18, 8
	s_addc_u32 s5, s19, 0
.LBB7_573:                              ;   in Loop: Header=BB7_566 Depth=1
	s_cmp_gt_u32 s15, 7
	s_cbranch_scc1 .LBB7_577
; %bb.574:                              ;   in Loop: Header=BB7_566 Depth=1
	s_cmp_eq_u32 s15, 0
	s_cbranch_scc1 .LBB7_578
; %bb.575:                              ;   in Loop: Header=BB7_566 Depth=1
	v_mov_b32_e32 v10, 0
	s_mov_b64 s[24:25], 0
	v_mov_b32_e32 v11, 0
	s_mov_b64 s[26:27], 0
.LBB7_576:                              ;   Parent Loop BB7_566 Depth=1
                                        ; =>  This Inner Loop Header: Depth=2
	s_add_u32 s28, s4, s26
	s_addc_u32 s29, s5, s27
	global_load_ubyte v2, v26, s[28:29]
	s_add_u32 s26, s26, 1
	s_addc_u32 s27, s27, 0
	s_waitcnt vmcnt(0)
	v_and_b32_e32 v25, 0xffff, v2
	v_lshlrev_b64 v[2:3], s24, v[25:26]
	s_add_u32 s24, s24, 8
	s_addc_u32 s25, s25, 0
	v_or_b32_e32 v10, v2, v10
	s_cmp_lg_u32 s15, s26
	v_or_b32_e32 v11, v3, v11
	s_cbranch_scc1 .LBB7_576
	s_branch .LBB7_579
.LBB7_577:                              ;   in Loop: Header=BB7_566 Depth=1
                                        ; implicit-def: $vgpr10_vgpr11
                                        ; implicit-def: $sgpr28
	s_branch .LBB7_580
.LBB7_578:                              ;   in Loop: Header=BB7_566 Depth=1
	v_mov_b32_e32 v10, 0
	v_mov_b32_e32 v11, 0
.LBB7_579:                              ;   in Loop: Header=BB7_566 Depth=1
	s_mov_b32 s28, 0
	s_cbranch_execnz .LBB7_581
.LBB7_580:                              ;   in Loop: Header=BB7_566 Depth=1
	global_load_dwordx2 v[10:11], v26, s[4:5]
	s_add_i32 s28, s15, -8
	s_add_u32 s4, s4, 8
	s_addc_u32 s5, s5, 0
.LBB7_581:                              ;   in Loop: Header=BB7_566 Depth=1
	s_cmp_gt_u32 s28, 7
	s_cbranch_scc1 .LBB7_585
; %bb.582:                              ;   in Loop: Header=BB7_566 Depth=1
	s_cmp_eq_u32 s28, 0
	s_cbranch_scc1 .LBB7_586
; %bb.583:                              ;   in Loop: Header=BB7_566 Depth=1
	v_mov_b32_e32 v12, 0
	s_mov_b64 s[24:25], 0
	v_mov_b32_e32 v13, 0
	s_mov_b64 s[26:27], 0
.LBB7_584:                              ;   Parent Loop BB7_566 Depth=1
                                        ; =>  This Inner Loop Header: Depth=2
	s_add_u32 vcc_lo, s4, s26
	s_addc_u32 vcc_hi, s5, s27
	global_load_ubyte v2, v26, vcc
	s_add_u32 s26, s26, 1
	s_addc_u32 s27, s27, 0
	s_waitcnt vmcnt(0)
	v_and_b32_e32 v25, 0xffff, v2
	v_lshlrev_b64 v[2:3], s24, v[25:26]
	s_add_u32 s24, s24, 8
	s_addc_u32 s25, s25, 0
	v_or_b32_e32 v12, v2, v12
	s_cmp_lg_u32 s28, s26
	v_or_b32_e32 v13, v3, v13
	s_cbranch_scc1 .LBB7_584
	s_branch .LBB7_587
.LBB7_585:                              ;   in Loop: Header=BB7_566 Depth=1
                                        ; implicit-def: $sgpr15
	s_branch .LBB7_588
.LBB7_586:                              ;   in Loop: Header=BB7_566 Depth=1
	v_mov_b32_e32 v12, 0
	v_mov_b32_e32 v13, 0
.LBB7_587:                              ;   in Loop: Header=BB7_566 Depth=1
	s_mov_b32 s15, 0
	s_cbranch_execnz .LBB7_589
.LBB7_588:                              ;   in Loop: Header=BB7_566 Depth=1
	global_load_dwordx2 v[12:13], v26, s[4:5]
	s_add_i32 s15, s28, -8
	s_add_u32 s4, s4, 8
	s_addc_u32 s5, s5, 0
.LBB7_589:                              ;   in Loop: Header=BB7_566 Depth=1
	s_cmp_gt_u32 s15, 7
	s_cbranch_scc1 .LBB7_593
; %bb.590:                              ;   in Loop: Header=BB7_566 Depth=1
	s_cmp_eq_u32 s15, 0
	s_cbranch_scc1 .LBB7_594
; %bb.591:                              ;   in Loop: Header=BB7_566 Depth=1
	v_mov_b32_e32 v14, 0
	s_mov_b64 s[24:25], 0
	v_mov_b32_e32 v15, 0
	s_mov_b64 s[26:27], 0
.LBB7_592:                              ;   Parent Loop BB7_566 Depth=1
                                        ; =>  This Inner Loop Header: Depth=2
	s_add_u32 s28, s4, s26
	s_addc_u32 s29, s5, s27
	global_load_ubyte v2, v26, s[28:29]
	s_add_u32 s26, s26, 1
	s_addc_u32 s27, s27, 0
	s_waitcnt vmcnt(0)
	v_and_b32_e32 v25, 0xffff, v2
	v_lshlrev_b64 v[2:3], s24, v[25:26]
	s_add_u32 s24, s24, 8
	s_addc_u32 s25, s25, 0
	v_or_b32_e32 v14, v2, v14
	s_cmp_lg_u32 s15, s26
	v_or_b32_e32 v15, v3, v15
	s_cbranch_scc1 .LBB7_592
	s_branch .LBB7_595
.LBB7_593:                              ;   in Loop: Header=BB7_566 Depth=1
                                        ; implicit-def: $vgpr14_vgpr15
                                        ; implicit-def: $sgpr28
	s_branch .LBB7_596
.LBB7_594:                              ;   in Loop: Header=BB7_566 Depth=1
	v_mov_b32_e32 v14, 0
	v_mov_b32_e32 v15, 0
.LBB7_595:                              ;   in Loop: Header=BB7_566 Depth=1
	s_mov_b32 s28, 0
	s_cbranch_execnz .LBB7_597
.LBB7_596:                              ;   in Loop: Header=BB7_566 Depth=1
	global_load_dwordx2 v[14:15], v26, s[4:5]
	s_add_i32 s28, s15, -8
	s_add_u32 s4, s4, 8
	s_addc_u32 s5, s5, 0
.LBB7_597:                              ;   in Loop: Header=BB7_566 Depth=1
	s_cmp_gt_u32 s28, 7
	s_cbranch_scc1 .LBB7_601
; %bb.598:                              ;   in Loop: Header=BB7_566 Depth=1
	s_cmp_eq_u32 s28, 0
	s_cbranch_scc1 .LBB7_602
; %bb.599:                              ;   in Loop: Header=BB7_566 Depth=1
	v_mov_b32_e32 v16, 0
	s_mov_b64 s[24:25], 0
	v_mov_b32_e32 v17, 0
	s_mov_b64 s[26:27], 0
.LBB7_600:                              ;   Parent Loop BB7_566 Depth=1
                                        ; =>  This Inner Loop Header: Depth=2
	s_add_u32 vcc_lo, s4, s26
	s_addc_u32 vcc_hi, s5, s27
	global_load_ubyte v2, v26, vcc
	s_add_u32 s26, s26, 1
	s_addc_u32 s27, s27, 0
	s_waitcnt vmcnt(0)
	v_and_b32_e32 v25, 0xffff, v2
	v_lshlrev_b64 v[2:3], s24, v[25:26]
	s_add_u32 s24, s24, 8
	s_addc_u32 s25, s25, 0
	v_or_b32_e32 v16, v2, v16
	s_cmp_lg_u32 s28, s26
	v_or_b32_e32 v17, v3, v17
	s_cbranch_scc1 .LBB7_600
	s_branch .LBB7_603
.LBB7_601:                              ;   in Loop: Header=BB7_566 Depth=1
                                        ; implicit-def: $sgpr15
	s_branch .LBB7_604
.LBB7_602:                              ;   in Loop: Header=BB7_566 Depth=1
	v_mov_b32_e32 v16, 0
	v_mov_b32_e32 v17, 0
.LBB7_603:                              ;   in Loop: Header=BB7_566 Depth=1
	s_mov_b32 s15, 0
	s_cbranch_execnz .LBB7_605
.LBB7_604:                              ;   in Loop: Header=BB7_566 Depth=1
	global_load_dwordx2 v[16:17], v26, s[4:5]
	s_add_i32 s15, s28, -8
	s_add_u32 s4, s4, 8
	s_addc_u32 s5, s5, 0
.LBB7_605:                              ;   in Loop: Header=BB7_566 Depth=1
	s_cmp_gt_u32 s15, 7
	s_cbranch_scc1 .LBB7_609
; %bb.606:                              ;   in Loop: Header=BB7_566 Depth=1
	s_cmp_eq_u32 s15, 0
	s_cbranch_scc1 .LBB7_610
; %bb.607:                              ;   in Loop: Header=BB7_566 Depth=1
	v_mov_b32_e32 v18, 0
	s_mov_b64 s[24:25], 0
	v_mov_b32_e32 v19, 0
	s_mov_b64 s[26:27], 0
.LBB7_608:                              ;   Parent Loop BB7_566 Depth=1
                                        ; =>  This Inner Loop Header: Depth=2
	s_add_u32 s28, s4, s26
	s_addc_u32 s29, s5, s27
	global_load_ubyte v2, v26, s[28:29]
	s_add_u32 s26, s26, 1
	s_addc_u32 s27, s27, 0
	s_waitcnt vmcnt(0)
	v_and_b32_e32 v25, 0xffff, v2
	v_lshlrev_b64 v[2:3], s24, v[25:26]
	s_add_u32 s24, s24, 8
	s_addc_u32 s25, s25, 0
	v_or_b32_e32 v18, v2, v18
	s_cmp_lg_u32 s15, s26
	v_or_b32_e32 v19, v3, v19
	s_cbranch_scc1 .LBB7_608
	s_branch .LBB7_611
.LBB7_609:                              ;   in Loop: Header=BB7_566 Depth=1
                                        ; implicit-def: $vgpr18_vgpr19
                                        ; implicit-def: $sgpr28
	s_branch .LBB7_612
.LBB7_610:                              ;   in Loop: Header=BB7_566 Depth=1
	v_mov_b32_e32 v18, 0
	v_mov_b32_e32 v19, 0
.LBB7_611:                              ;   in Loop: Header=BB7_566 Depth=1
	s_mov_b32 s28, 0
	s_cbranch_execnz .LBB7_613
.LBB7_612:                              ;   in Loop: Header=BB7_566 Depth=1
	global_load_dwordx2 v[18:19], v26, s[4:5]
	s_add_i32 s28, s15, -8
	s_add_u32 s4, s4, 8
	s_addc_u32 s5, s5, 0
.LBB7_613:                              ;   in Loop: Header=BB7_566 Depth=1
	s_cmp_gt_u32 s28, 7
	s_cbranch_scc1 .LBB7_617
; %bb.614:                              ;   in Loop: Header=BB7_566 Depth=1
	s_cmp_eq_u32 s28, 0
	s_cbranch_scc1 .LBB7_618
; %bb.615:                              ;   in Loop: Header=BB7_566 Depth=1
	v_mov_b32_e32 v20, 0
	s_mov_b64 s[24:25], 0
	v_mov_b32_e32 v21, 0
	s_mov_b64 s[26:27], s[4:5]
.LBB7_616:                              ;   Parent Loop BB7_566 Depth=1
                                        ; =>  This Inner Loop Header: Depth=2
	global_load_ubyte v2, v26, s[26:27]
	s_add_i32 s28, s28, -1
	s_waitcnt vmcnt(0)
	v_and_b32_e32 v25, 0xffff, v2
	v_lshlrev_b64 v[2:3], s24, v[25:26]
	s_add_u32 s24, s24, 8
	s_addc_u32 s25, s25, 0
	s_add_u32 s26, s26, 1
	s_addc_u32 s27, s27, 0
	v_or_b32_e32 v20, v2, v20
	s_cmp_lg_u32 s28, 0
	v_or_b32_e32 v21, v3, v21
	s_cbranch_scc1 .LBB7_616
	s_branch .LBB7_619
.LBB7_617:                              ;   in Loop: Header=BB7_566 Depth=1
	s_branch .LBB7_620
.LBB7_618:                              ;   in Loop: Header=BB7_566 Depth=1
	v_mov_b32_e32 v20, 0
	v_mov_b32_e32 v21, 0
.LBB7_619:                              ;   in Loop: Header=BB7_566 Depth=1
	s_cbranch_execnz .LBB7_621
.LBB7_620:                              ;   in Loop: Header=BB7_566 Depth=1
	global_load_dwordx2 v[20:21], v26, s[4:5]
.LBB7_621:                              ;   in Loop: Header=BB7_566 Depth=1
	v_readfirstlane_b32 s4, v32
	v_mov_b32_e32 v2, 0
	v_mov_b32_e32 v3, 0
	v_cmp_eq_u32_e64 s[4:5], s4, v32
	s_and_saveexec_b64 s[24:25], s[4:5]
	s_cbranch_execz .LBB7_627
; %bb.622:                              ;   in Loop: Header=BB7_566 Depth=1
	global_load_dwordx2 v[24:25], v26, s[6:7] offset:24 glc
	s_waitcnt vmcnt(0)
	buffer_wbinvl1_vol
	global_load_dwordx2 v[2:3], v26, s[6:7] offset:40
	global_load_dwordx2 v[22:23], v26, s[6:7]
	s_waitcnt vmcnt(1)
	v_and_b32_e32 v2, v2, v24
	v_and_b32_e32 v3, v3, v25
	v_mul_lo_u32 v3, v3, 24
	v_mul_hi_u32 v27, v2, 24
	v_mul_lo_u32 v2, v2, 24
	v_add_u32_e32 v3, v27, v3
	s_waitcnt vmcnt(0)
	v_add_co_u32_e32 v2, vcc, v22, v2
	v_addc_co_u32_e32 v3, vcc, v23, v3, vcc
	global_load_dwordx2 v[22:23], v[2:3], off glc
	s_waitcnt vmcnt(0)
	global_atomic_cmpswap_x2 v[2:3], v26, v[22:25], s[6:7] offset:24 glc
	s_waitcnt vmcnt(0)
	buffer_wbinvl1_vol
	v_cmp_ne_u64_e32 vcc, v[2:3], v[24:25]
	s_and_saveexec_b64 s[26:27], vcc
	s_cbranch_execz .LBB7_626
; %bb.623:                              ;   in Loop: Header=BB7_566 Depth=1
	s_mov_b64 s[28:29], 0
.LBB7_624:                              ;   Parent Loop BB7_566 Depth=1
                                        ; =>  This Inner Loop Header: Depth=2
	s_sleep 1
	global_load_dwordx2 v[22:23], v26, s[6:7] offset:40
	global_load_dwordx2 v[27:28], v26, s[6:7]
	v_mov_b32_e32 v25, v3
	v_mov_b32_e32 v24, v2
	s_waitcnt vmcnt(1)
	v_and_b32_e32 v2, v22, v24
	s_waitcnt vmcnt(0)
	v_mad_u64_u32 v[2:3], vcc, v2, 24, v[27:28]
	v_and_b32_e32 v22, v23, v25
	v_mad_u64_u32 v[22:23], vcc, v22, 24, v[3:4]
	v_mov_b32_e32 v3, v22
	global_load_dwordx2 v[22:23], v[2:3], off glc
	s_waitcnt vmcnt(0)
	global_atomic_cmpswap_x2 v[2:3], v26, v[22:25], s[6:7] offset:24 glc
	s_waitcnt vmcnt(0)
	buffer_wbinvl1_vol
	v_cmp_eq_u64_e32 vcc, v[2:3], v[24:25]
	s_or_b64 s[28:29], vcc, s[28:29]
	s_andn2_b64 exec, exec, s[28:29]
	s_cbranch_execnz .LBB7_624
; %bb.625:                              ;   in Loop: Header=BB7_566 Depth=1
	s_or_b64 exec, exec, s[28:29]
.LBB7_626:                              ;   in Loop: Header=BB7_566 Depth=1
	s_or_b64 exec, exec, s[26:27]
.LBB7_627:                              ;   in Loop: Header=BB7_566 Depth=1
	s_or_b64 exec, exec, s[24:25]
	global_load_dwordx2 v[27:28], v26, s[6:7] offset:40
	global_load_dwordx4 v[22:25], v26, s[6:7]
	v_readfirstlane_b32 s24, v2
	v_readfirstlane_b32 s25, v3
	s_mov_b64 s[26:27], exec
	s_waitcnt vmcnt(1)
	v_readfirstlane_b32 s28, v27
	v_readfirstlane_b32 s29, v28
	s_and_b64 s[28:29], s[24:25], s[28:29]
	s_mul_i32 s15, s29, 24
	s_mul_hi_u32 vcc_lo, s28, 24
	s_mul_i32 vcc_hi, s28, 24
	s_add_i32 s15, vcc_lo, s15
	v_mov_b32_e32 v2, s15
	s_waitcnt vmcnt(0)
	v_add_co_u32_e32 v27, vcc, vcc_hi, v22
	v_addc_co_u32_e32 v28, vcc, v23, v2, vcc
	s_and_saveexec_b64 vcc, s[4:5]
	s_cbranch_execz .LBB7_629
; %bb.628:                              ;   in Loop: Header=BB7_566 Depth=1
	v_mov_b32_e32 v2, s26
	v_mov_b32_e32 v3, s27
	global_store_dwordx4 v[27:28], v[2:5], off offset:8
.LBB7_629:                              ;   in Loop: Header=BB7_566 Depth=1
	s_or_b64 exec, exec, vcc
	s_lshl_b64 s[26:27], s[28:29], 12
	v_mov_b32_e32 v2, s27
	v_add_co_u32_e32 v24, vcc, s26, v24
	v_addc_co_u32_e32 v29, vcc, v25, v2, vcc
	v_cmp_gt_u64_e64 vcc, s[20:21], 56
	v_or_b32_e32 v2, 2, v6
	s_lshl_b32 s15, s22, 2
	v_cndmask_b32_e32 v2, v2, v6, vcc
	s_add_i32 s15, s15, 28
	s_and_b32 s15, s15, 0x1e0
	v_and_b32_e32 v2, 0xffffff1f, v2
	v_or_b32_e32 v6, s15, v2
	v_readfirstlane_b32 s26, v24
	v_readfirstlane_b32 s27, v29
	s_nop 4
	global_store_dwordx4 v31, v[6:9], s[26:27]
	global_store_dwordx4 v31, v[10:13], s[26:27] offset:16
	global_store_dwordx4 v31, v[14:17], s[26:27] offset:32
	;; [unrolled: 1-line block ×3, first 2 shown]
	s_and_saveexec_b64 s[26:27], s[4:5]
	s_cbranch_execz .LBB7_637
; %bb.630:                              ;   in Loop: Header=BB7_566 Depth=1
	global_load_dwordx2 v[10:11], v26, s[6:7] offset:32 glc
	global_load_dwordx2 v[2:3], v26, s[6:7] offset:40
	v_mov_b32_e32 v8, s24
	v_mov_b32_e32 v9, s25
	s_waitcnt vmcnt(0)
	v_readfirstlane_b32 s28, v2
	v_readfirstlane_b32 s29, v3
	s_and_b64 s[28:29], s[28:29], s[24:25]
	s_mul_i32 s15, s29, 24
	s_mul_hi_u32 s29, s28, 24
	s_mul_i32 s28, s28, 24
	s_add_i32 s15, s29, s15
	v_mov_b32_e32 v3, s15
	v_add_co_u32_e32 v2, vcc, s28, v22
	v_addc_co_u32_e32 v3, vcc, v23, v3, vcc
	global_store_dwordx2 v[2:3], v[10:11], off
	s_waitcnt vmcnt(0)
	global_atomic_cmpswap_x2 v[8:9], v26, v[8:11], s[6:7] offset:32 glc
	s_waitcnt vmcnt(0)
	v_cmp_ne_u64_e32 vcc, v[8:9], v[10:11]
	s_and_saveexec_b64 s[28:29], vcc
	s_cbranch_execz .LBB7_633
; %bb.631:                              ;   in Loop: Header=BB7_566 Depth=1
	s_mov_b64 s[30:31], 0
.LBB7_632:                              ;   Parent Loop BB7_566 Depth=1
                                        ; =>  This Inner Loop Header: Depth=2
	s_sleep 1
	global_store_dwordx2 v[2:3], v[8:9], off
	v_mov_b32_e32 v6, s24
	v_mov_b32_e32 v7, s25
	s_waitcnt vmcnt(0)
	global_atomic_cmpswap_x2 v[6:7], v26, v[6:9], s[6:7] offset:32 glc
	s_waitcnt vmcnt(0)
	v_cmp_eq_u64_e32 vcc, v[6:7], v[8:9]
	v_mov_b32_e32 v9, v7
	s_or_b64 s[30:31], vcc, s[30:31]
	v_mov_b32_e32 v8, v6
	s_andn2_b64 exec, exec, s[30:31]
	s_cbranch_execnz .LBB7_632
.LBB7_633:                              ;   in Loop: Header=BB7_566 Depth=1
	s_or_b64 exec, exec, s[28:29]
	global_load_dwordx2 v[2:3], v26, s[6:7] offset:16
	s_mov_b64 s[30:31], exec
	v_mbcnt_lo_u32_b32 v6, s30, 0
	v_mbcnt_hi_u32_b32 v6, s31, v6
	v_cmp_eq_u32_e32 vcc, 0, v6
	s_and_saveexec_b64 s[28:29], vcc
	s_cbranch_execz .LBB7_635
; %bb.634:                              ;   in Loop: Header=BB7_566 Depth=1
	s_bcnt1_i32_b64 s15, s[30:31]
	v_mov_b32_e32 v25, s15
	s_waitcnt vmcnt(0)
	global_atomic_add_x2 v[2:3], v[25:26], off offset:8
.LBB7_635:                              ;   in Loop: Header=BB7_566 Depth=1
	s_or_b64 exec, exec, s[28:29]
	s_waitcnt vmcnt(0)
	global_load_dwordx2 v[6:7], v[2:3], off offset:16
	s_waitcnt vmcnt(0)
	v_cmp_eq_u64_e32 vcc, 0, v[6:7]
	s_cbranch_vccnz .LBB7_637
; %bb.636:                              ;   in Loop: Header=BB7_566 Depth=1
	global_load_dword v25, v[2:3], off offset:24
	s_waitcnt vmcnt(0)
	v_and_b32_e32 v2, 0xffffff, v25
	v_readfirstlane_b32 m0, v2
	global_store_dwordx2 v[6:7], v[25:26], off
	s_sendmsg sendmsg(MSG_INTERRUPT)
.LBB7_637:                              ;   in Loop: Header=BB7_566 Depth=1
	s_or_b64 exec, exec, s[26:27]
	v_add_co_u32_e32 v2, vcc, v24, v31
	v_addc_co_u32_e32 v3, vcc, 0, v29, vcc
	s_branch .LBB7_641
.LBB7_638:                              ;   in Loop: Header=BB7_641 Depth=2
	s_or_b64 exec, exec, s[26:27]
	v_readfirstlane_b32 s15, v6
	s_cmp_eq_u32 s15, 0
	s_cbranch_scc1 .LBB7_640
; %bb.639:                              ;   in Loop: Header=BB7_641 Depth=2
	s_sleep 1
	s_cbranch_execnz .LBB7_641
	s_branch .LBB7_643
.LBB7_640:                              ;   in Loop: Header=BB7_566 Depth=1
	s_branch .LBB7_643
.LBB7_641:                              ;   Parent Loop BB7_566 Depth=1
                                        ; =>  This Inner Loop Header: Depth=2
	v_mov_b32_e32 v6, 1
	s_and_saveexec_b64 s[26:27], s[4:5]
	s_cbranch_execz .LBB7_638
; %bb.642:                              ;   in Loop: Header=BB7_641 Depth=2
	global_load_dword v6, v[27:28], off offset:20 glc
	s_waitcnt vmcnt(0)
	buffer_wbinvl1_vol
	v_and_b32_e32 v6, 1, v6
	s_branch .LBB7_638
.LBB7_643:                              ;   in Loop: Header=BB7_566 Depth=1
	global_load_dwordx4 v[6:9], v[2:3], off
	s_and_saveexec_b64 s[26:27], s[4:5]
	s_cbranch_execz .LBB7_565
; %bb.644:                              ;   in Loop: Header=BB7_566 Depth=1
	global_load_dwordx2 v[2:3], v26, s[6:7] offset:40
	global_load_dwordx2 v[12:13], v26, s[6:7] offset:24 glc
	global_load_dwordx2 v[14:15], v26, s[6:7]
	s_waitcnt vmcnt(3)
	v_mov_b32_e32 v9, s25
	s_waitcnt vmcnt(2)
	v_add_co_u32_e32 v10, vcc, 1, v2
	v_addc_co_u32_e32 v11, vcc, 0, v3, vcc
	v_add_co_u32_e32 v8, vcc, s24, v10
	v_addc_co_u32_e32 v9, vcc, v11, v9, vcc
	v_cmp_eq_u64_e32 vcc, 0, v[8:9]
	v_cndmask_b32_e32 v9, v9, v11, vcc
	v_cndmask_b32_e32 v8, v8, v10, vcc
	v_and_b32_e32 v3, v9, v3
	v_and_b32_e32 v2, v8, v2
	v_mul_lo_u32 v3, v3, 24
	v_mul_hi_u32 v11, v2, 24
	v_mul_lo_u32 v2, v2, 24
	s_waitcnt vmcnt(1)
	v_mov_b32_e32 v10, v12
	v_add_u32_e32 v3, v11, v3
	s_waitcnt vmcnt(0)
	v_add_co_u32_e32 v2, vcc, v14, v2
	v_addc_co_u32_e32 v3, vcc, v15, v3, vcc
	global_store_dwordx2 v[2:3], v[12:13], off
	v_mov_b32_e32 v11, v13
	s_waitcnt vmcnt(0)
	global_atomic_cmpswap_x2 v[10:11], v26, v[8:11], s[6:7] offset:24 glc
	s_waitcnt vmcnt(0)
	v_cmp_ne_u64_e32 vcc, v[10:11], v[12:13]
	s_and_b64 exec, exec, vcc
	s_cbranch_execz .LBB7_565
; %bb.645:                              ;   in Loop: Header=BB7_566 Depth=1
	s_mov_b64 s[4:5], 0
.LBB7_646:                              ;   Parent Loop BB7_566 Depth=1
                                        ; =>  This Inner Loop Header: Depth=2
	s_sleep 1
	global_store_dwordx2 v[2:3], v[10:11], off
	s_waitcnt vmcnt(0)
	global_atomic_cmpswap_x2 v[12:13], v26, v[8:11], s[6:7] offset:24 glc
	s_waitcnt vmcnt(0)
	v_cmp_eq_u64_e32 vcc, v[12:13], v[10:11]
	v_mov_b32_e32 v10, v12
	s_or_b64 s[4:5], vcc, s[4:5]
	v_mov_b32_e32 v11, v13
	s_andn2_b64 exec, exec, s[4:5]
	s_cbranch_execnz .LBB7_646
	s_branch .LBB7_565
.LBB7_647:
	s_branch .LBB7_675
.LBB7_648:
	s_cbranch_execz .LBB7_675
; %bb.649:
	v_readfirstlane_b32 s4, v32
	s_waitcnt vmcnt(0)
	v_mov_b32_e32 v8, 0
	v_mov_b32_e32 v9, 0
	v_cmp_eq_u32_e64 s[4:5], s4, v32
	s_and_saveexec_b64 s[18:19], s[4:5]
	s_cbranch_execz .LBB7_655
; %bb.650:
	v_mov_b32_e32 v2, 0
	global_load_dwordx2 v[5:6], v2, s[6:7] offset:24 glc
	s_waitcnt vmcnt(0)
	buffer_wbinvl1_vol
	global_load_dwordx2 v[3:4], v2, s[6:7] offset:40
	global_load_dwordx2 v[7:8], v2, s[6:7]
	s_waitcnt vmcnt(1)
	v_and_b32_e32 v3, v3, v5
	v_and_b32_e32 v4, v4, v6
	v_mul_lo_u32 v4, v4, 24
	v_mul_hi_u32 v9, v3, 24
	v_mul_lo_u32 v3, v3, 24
	v_add_u32_e32 v4, v9, v4
	s_waitcnt vmcnt(0)
	v_add_co_u32_e32 v3, vcc, v7, v3
	v_addc_co_u32_e32 v4, vcc, v8, v4, vcc
	global_load_dwordx2 v[3:4], v[3:4], off glc
	s_waitcnt vmcnt(0)
	global_atomic_cmpswap_x2 v[8:9], v2, v[3:6], s[6:7] offset:24 glc
	s_waitcnt vmcnt(0)
	buffer_wbinvl1_vol
	v_cmp_ne_u64_e32 vcc, v[8:9], v[5:6]
	s_and_saveexec_b64 s[20:21], vcc
	s_cbranch_execz .LBB7_654
; %bb.651:
	s_mov_b64 s[22:23], 0
.LBB7_652:                              ; =>This Inner Loop Header: Depth=1
	s_sleep 1
	global_load_dwordx2 v[3:4], v2, s[6:7] offset:40
	global_load_dwordx2 v[10:11], v2, s[6:7]
	v_mov_b32_e32 v5, v8
	v_mov_b32_e32 v6, v9
	s_waitcnt vmcnt(1)
	v_and_b32_e32 v3, v3, v5
	s_waitcnt vmcnt(0)
	v_mad_u64_u32 v[7:8], s[24:25], v3, 24, v[10:11]
	v_and_b32_e32 v4, v4, v6
	v_mov_b32_e32 v3, v8
	v_mad_u64_u32 v[3:4], s[24:25], v4, 24, v[3:4]
	v_mov_b32_e32 v8, v3
	global_load_dwordx2 v[3:4], v[7:8], off glc
	s_waitcnt vmcnt(0)
	global_atomic_cmpswap_x2 v[8:9], v2, v[3:6], s[6:7] offset:24 glc
	s_waitcnt vmcnt(0)
	buffer_wbinvl1_vol
	v_cmp_eq_u64_e32 vcc, v[8:9], v[5:6]
	s_or_b64 s[22:23], vcc, s[22:23]
	s_andn2_b64 exec, exec, s[22:23]
	s_cbranch_execnz .LBB7_652
; %bb.653:
	s_or_b64 exec, exec, s[22:23]
.LBB7_654:
	s_or_b64 exec, exec, s[20:21]
.LBB7_655:
	s_or_b64 exec, exec, s[18:19]
	v_mov_b32_e32 v2, 0
	global_load_dwordx2 v[10:11], v2, s[6:7] offset:40
	global_load_dwordx4 v[4:7], v2, s[6:7]
	v_readfirstlane_b32 s18, v8
	v_readfirstlane_b32 s19, v9
	s_mov_b64 s[20:21], exec
	s_waitcnt vmcnt(1)
	v_readfirstlane_b32 s22, v10
	v_readfirstlane_b32 s23, v11
	s_and_b64 s[22:23], s[18:19], s[22:23]
	s_mul_i32 s15, s23, 24
	s_mul_hi_u32 s24, s22, 24
	s_mul_i32 s25, s22, 24
	s_add_i32 s15, s24, s15
	v_mov_b32_e32 v3, s15
	s_waitcnt vmcnt(0)
	v_add_co_u32_e32 v8, vcc, s25, v4
	v_addc_co_u32_e32 v9, vcc, v5, v3, vcc
	s_and_saveexec_b64 s[24:25], s[4:5]
	s_cbranch_execz .LBB7_657
; %bb.656:
	v_mov_b32_e32 v10, s20
	v_mov_b32_e32 v11, s21
	;; [unrolled: 1-line block ×4, first 2 shown]
	global_store_dwordx4 v[8:9], v[10:13], off offset:8
.LBB7_657:
	s_or_b64 exec, exec, s[24:25]
	s_lshl_b64 s[20:21], s[22:23], 12
	v_mov_b32_e32 v3, s21
	v_add_co_u32_e32 v6, vcc, s20, v6
	v_addc_co_u32_e32 v7, vcc, v7, v3, vcc
	s_movk_i32 s15, 0xff1d
	v_and_or_b32 v0, v0, s15, 34
	s_mov_b32 s20, 0
	v_mov_b32_e32 v3, v2
	v_readfirstlane_b32 s24, v6
	v_readfirstlane_b32 s25, v7
	s_mov_b32 s21, s20
	s_mov_b32 s22, s20
	;; [unrolled: 1-line block ×3, first 2 shown]
	s_nop 1
	global_store_dwordx4 v31, v[0:3], s[24:25]
	s_nop 0
	v_mov_b32_e32 v0, s20
	v_mov_b32_e32 v1, s21
	;; [unrolled: 1-line block ×4, first 2 shown]
	global_store_dwordx4 v31, v[0:3], s[24:25] offset:16
	global_store_dwordx4 v31, v[0:3], s[24:25] offset:32
	;; [unrolled: 1-line block ×3, first 2 shown]
	s_and_saveexec_b64 s[20:21], s[4:5]
	s_cbranch_execz .LBB7_665
; %bb.658:
	v_mov_b32_e32 v6, 0
	global_load_dwordx2 v[12:13], v6, s[6:7] offset:32 glc
	global_load_dwordx2 v[0:1], v6, s[6:7] offset:40
	v_mov_b32_e32 v10, s18
	v_mov_b32_e32 v11, s19
	s_waitcnt vmcnt(0)
	v_readfirstlane_b32 s22, v0
	v_readfirstlane_b32 s23, v1
	s_and_b64 s[22:23], s[22:23], s[18:19]
	s_mul_i32 s15, s23, 24
	s_mul_hi_u32 s23, s22, 24
	s_mul_i32 s22, s22, 24
	s_add_i32 s15, s23, s15
	v_mov_b32_e32 v0, s15
	v_add_co_u32_e32 v4, vcc, s22, v4
	v_addc_co_u32_e32 v5, vcc, v5, v0, vcc
	global_store_dwordx2 v[4:5], v[12:13], off
	s_waitcnt vmcnt(0)
	global_atomic_cmpswap_x2 v[2:3], v6, v[10:13], s[6:7] offset:32 glc
	s_waitcnt vmcnt(0)
	v_cmp_ne_u64_e32 vcc, v[2:3], v[12:13]
	s_and_saveexec_b64 s[22:23], vcc
	s_cbranch_execz .LBB7_661
; %bb.659:
	s_mov_b64 s[24:25], 0
.LBB7_660:                              ; =>This Inner Loop Header: Depth=1
	s_sleep 1
	global_store_dwordx2 v[4:5], v[2:3], off
	v_mov_b32_e32 v0, s18
	v_mov_b32_e32 v1, s19
	s_waitcnt vmcnt(0)
	global_atomic_cmpswap_x2 v[0:1], v6, v[0:3], s[6:7] offset:32 glc
	s_waitcnt vmcnt(0)
	v_cmp_eq_u64_e32 vcc, v[0:1], v[2:3]
	v_mov_b32_e32 v3, v1
	s_or_b64 s[24:25], vcc, s[24:25]
	v_mov_b32_e32 v2, v0
	s_andn2_b64 exec, exec, s[24:25]
	s_cbranch_execnz .LBB7_660
.LBB7_661:
	s_or_b64 exec, exec, s[22:23]
	v_mov_b32_e32 v3, 0
	global_load_dwordx2 v[0:1], v3, s[6:7] offset:16
	s_mov_b64 s[22:23], exec
	v_mbcnt_lo_u32_b32 v2, s22, 0
	v_mbcnt_hi_u32_b32 v2, s23, v2
	v_cmp_eq_u32_e32 vcc, 0, v2
	s_and_saveexec_b64 s[24:25], vcc
	s_cbranch_execz .LBB7_663
; %bb.662:
	s_bcnt1_i32_b64 s15, s[22:23]
	v_mov_b32_e32 v2, s15
	s_waitcnt vmcnt(0)
	global_atomic_add_x2 v[0:1], v[2:3], off offset:8
.LBB7_663:
	s_or_b64 exec, exec, s[24:25]
	s_waitcnt vmcnt(0)
	global_load_dwordx2 v[2:3], v[0:1], off offset:16
	s_waitcnt vmcnt(0)
	v_cmp_eq_u64_e32 vcc, 0, v[2:3]
	s_cbranch_vccnz .LBB7_665
; %bb.664:
	global_load_dword v0, v[0:1], off offset:24
	v_mov_b32_e32 v1, 0
	s_waitcnt vmcnt(0)
	global_store_dwordx2 v[2:3], v[0:1], off
	v_and_b32_e32 v0, 0xffffff, v0
	v_readfirstlane_b32 m0, v0
	s_sendmsg sendmsg(MSG_INTERRUPT)
.LBB7_665:
	s_or_b64 exec, exec, s[20:21]
	s_branch .LBB7_669
.LBB7_666:                              ;   in Loop: Header=BB7_669 Depth=1
	s_or_b64 exec, exec, s[20:21]
	v_readfirstlane_b32 s15, v0
	s_cmp_eq_u32 s15, 0
	s_cbranch_scc1 .LBB7_668
; %bb.667:                              ;   in Loop: Header=BB7_669 Depth=1
	s_sleep 1
	s_cbranch_execnz .LBB7_669
	s_branch .LBB7_671
.LBB7_668:
	s_branch .LBB7_671
.LBB7_669:                              ; =>This Inner Loop Header: Depth=1
	v_mov_b32_e32 v0, 1
	s_and_saveexec_b64 s[20:21], s[4:5]
	s_cbranch_execz .LBB7_666
; %bb.670:                              ;   in Loop: Header=BB7_669 Depth=1
	global_load_dword v0, v[8:9], off offset:20 glc
	s_waitcnt vmcnt(0)
	buffer_wbinvl1_vol
	v_and_b32_e32 v0, 1, v0
	s_branch .LBB7_666
.LBB7_671:
	s_and_saveexec_b64 s[20:21], s[4:5]
	s_cbranch_execz .LBB7_674
; %bb.672:
	v_mov_b32_e32 v6, 0
	global_load_dwordx2 v[2:3], v6, s[6:7] offset:40
	global_load_dwordx2 v[7:8], v6, s[6:7] offset:24 glc
	global_load_dwordx2 v[4:5], v6, s[6:7]
	v_mov_b32_e32 v1, s19
	s_mov_b64 s[4:5], 0
	s_waitcnt vmcnt(2)
	v_add_co_u32_e32 v9, vcc, 1, v2
	v_addc_co_u32_e32 v10, vcc, 0, v3, vcc
	v_add_co_u32_e32 v0, vcc, s18, v9
	v_addc_co_u32_e32 v1, vcc, v10, v1, vcc
	v_cmp_eq_u64_e32 vcc, 0, v[0:1]
	v_cndmask_b32_e32 v1, v1, v10, vcc
	v_cndmask_b32_e32 v0, v0, v9, vcc
	v_and_b32_e32 v3, v1, v3
	v_and_b32_e32 v2, v0, v2
	v_mul_lo_u32 v3, v3, 24
	v_mul_hi_u32 v9, v2, 24
	v_mul_lo_u32 v10, v2, 24
	s_waitcnt vmcnt(1)
	v_mov_b32_e32 v2, v7
	v_add_u32_e32 v3, v9, v3
	s_waitcnt vmcnt(0)
	v_add_co_u32_e32 v4, vcc, v4, v10
	v_addc_co_u32_e32 v5, vcc, v5, v3, vcc
	global_store_dwordx2 v[4:5], v[7:8], off
	v_mov_b32_e32 v3, v8
	s_waitcnt vmcnt(0)
	global_atomic_cmpswap_x2 v[2:3], v6, v[0:3], s[6:7] offset:24 glc
	s_waitcnt vmcnt(0)
	v_cmp_ne_u64_e32 vcc, v[2:3], v[7:8]
	s_and_b64 exec, exec, vcc
	s_cbranch_execz .LBB7_674
.LBB7_673:                              ; =>This Inner Loop Header: Depth=1
	s_sleep 1
	global_store_dwordx2 v[4:5], v[2:3], off
	s_waitcnt vmcnt(0)
	global_atomic_cmpswap_x2 v[7:8], v6, v[0:3], s[6:7] offset:24 glc
	s_waitcnt vmcnt(0)
	v_cmp_eq_u64_e32 vcc, v[7:8], v[2:3]
	v_mov_b32_e32 v2, v7
	s_or_b64 s[4:5], vcc, s[4:5]
	v_mov_b32_e32 v3, v8
	s_andn2_b64 exec, exec, s[4:5]
	s_cbranch_execnz .LBB7_673
.LBB7_674:
	s_or_b64 exec, exec, s[20:21]
.LBB7_675:
	v_readfirstlane_b32 s4, v32
	s_waitcnt vmcnt(0)
	v_mov_b32_e32 v5, 0
	v_mov_b32_e32 v6, 0
	v_cmp_eq_u32_e64 s[4:5], s4, v32
	s_and_saveexec_b64 s[18:19], s[4:5]
	s_cbranch_execz .LBB7_681
; %bb.676:
	v_mov_b32_e32 v0, 0
	global_load_dwordx2 v[3:4], v0, s[6:7] offset:24 glc
	s_waitcnt vmcnt(0)
	buffer_wbinvl1_vol
	global_load_dwordx2 v[1:2], v0, s[6:7] offset:40
	global_load_dwordx2 v[5:6], v0, s[6:7]
	s_waitcnt vmcnt(1)
	v_and_b32_e32 v1, v1, v3
	v_and_b32_e32 v2, v2, v4
	v_mul_lo_u32 v2, v2, 24
	v_mul_hi_u32 v7, v1, 24
	v_mul_lo_u32 v1, v1, 24
	v_add_u32_e32 v2, v7, v2
	s_waitcnt vmcnt(0)
	v_add_co_u32_e32 v1, vcc, v5, v1
	v_addc_co_u32_e32 v2, vcc, v6, v2, vcc
	global_load_dwordx2 v[1:2], v[1:2], off glc
	s_waitcnt vmcnt(0)
	global_atomic_cmpswap_x2 v[5:6], v0, v[1:4], s[6:7] offset:24 glc
	s_waitcnt vmcnt(0)
	buffer_wbinvl1_vol
	v_cmp_ne_u64_e32 vcc, v[5:6], v[3:4]
	s_and_saveexec_b64 s[20:21], vcc
	s_cbranch_execz .LBB7_680
; %bb.677:
	s_mov_b64 s[22:23], 0
.LBB7_678:                              ; =>This Inner Loop Header: Depth=1
	s_sleep 1
	global_load_dwordx2 v[1:2], v0, s[6:7] offset:40
	global_load_dwordx2 v[7:8], v0, s[6:7]
	v_mov_b32_e32 v3, v5
	v_mov_b32_e32 v4, v6
	s_waitcnt vmcnt(1)
	v_and_b32_e32 v1, v1, v3
	s_waitcnt vmcnt(0)
	v_mad_u64_u32 v[5:6], s[24:25], v1, 24, v[7:8]
	v_and_b32_e32 v2, v2, v4
	v_mov_b32_e32 v1, v6
	v_mad_u64_u32 v[1:2], s[24:25], v2, 24, v[1:2]
	v_mov_b32_e32 v6, v1
	global_load_dwordx2 v[1:2], v[5:6], off glc
	s_waitcnt vmcnt(0)
	global_atomic_cmpswap_x2 v[5:6], v0, v[1:4], s[6:7] offset:24 glc
	s_waitcnt vmcnt(0)
	buffer_wbinvl1_vol
	v_cmp_eq_u64_e32 vcc, v[5:6], v[3:4]
	s_or_b64 s[22:23], vcc, s[22:23]
	s_andn2_b64 exec, exec, s[22:23]
	s_cbranch_execnz .LBB7_678
; %bb.679:
	s_or_b64 exec, exec, s[22:23]
.LBB7_680:
	s_or_b64 exec, exec, s[20:21]
.LBB7_681:
	s_or_b64 exec, exec, s[18:19]
	v_mov_b32_e32 v4, 0
	global_load_dwordx2 v[7:8], v4, s[6:7] offset:40
	global_load_dwordx4 v[0:3], v4, s[6:7]
	v_readfirstlane_b32 s18, v5
	v_readfirstlane_b32 s19, v6
	s_mov_b64 s[20:21], exec
	s_waitcnt vmcnt(1)
	v_readfirstlane_b32 s22, v7
	v_readfirstlane_b32 s23, v8
	s_and_b64 s[22:23], s[18:19], s[22:23]
	s_mul_i32 s15, s23, 24
	s_mul_hi_u32 s24, s22, 24
	s_mul_i32 s25, s22, 24
	s_add_i32 s15, s24, s15
	v_mov_b32_e32 v5, s15
	s_waitcnt vmcnt(0)
	v_add_co_u32_e32 v7, vcc, s25, v0
	v_addc_co_u32_e32 v8, vcc, v1, v5, vcc
	s_and_saveexec_b64 s[24:25], s[4:5]
	s_cbranch_execz .LBB7_683
; %bb.682:
	v_mov_b32_e32 v9, s20
	v_mov_b32_e32 v10, s21
	;; [unrolled: 1-line block ×4, first 2 shown]
	global_store_dwordx4 v[7:8], v[9:12], off offset:8
.LBB7_683:
	s_or_b64 exec, exec, s[24:25]
	s_lshl_b64 s[20:21], s[22:23], 12
	v_mov_b32_e32 v5, s21
	v_add_co_u32_e32 v2, vcc, s20, v2
	v_addc_co_u32_e32 v11, vcc, v3, v5, vcc
	s_mov_b32 s20, 0
	v_mov_b32_e32 v3, 33
	v_mov_b32_e32 v5, v4
	;; [unrolled: 1-line block ×3, first 2 shown]
	v_readfirstlane_b32 s24, v2
	v_readfirstlane_b32 s25, v11
	v_add_co_u32_e32 v9, vcc, v2, v31
	s_mov_b32 s21, s20
	s_mov_b32 s22, s20
	s_mov_b32 s23, s20
	s_nop 0
	global_store_dwordx4 v31, v[3:6], s[24:25]
	v_mov_b32_e32 v2, s20
	v_addc_co_u32_e32 v10, vcc, 0, v11, vcc
	v_mov_b32_e32 v3, s21
	v_mov_b32_e32 v4, s22
	;; [unrolled: 1-line block ×3, first 2 shown]
	global_store_dwordx4 v31, v[2:5], s[24:25] offset:16
	global_store_dwordx4 v31, v[2:5], s[24:25] offset:32
	;; [unrolled: 1-line block ×3, first 2 shown]
	s_and_saveexec_b64 s[20:21], s[4:5]
	s_cbranch_execz .LBB7_691
; %bb.684:
	v_mov_b32_e32 v6, 0
	global_load_dwordx2 v[13:14], v6, s[6:7] offset:32 glc
	global_load_dwordx2 v[2:3], v6, s[6:7] offset:40
	v_mov_b32_e32 v11, s18
	v_mov_b32_e32 v12, s19
	s_waitcnt vmcnt(0)
	v_readfirstlane_b32 s22, v2
	v_readfirstlane_b32 s23, v3
	s_and_b64 s[22:23], s[22:23], s[18:19]
	s_mul_i32 s15, s23, 24
	s_mul_hi_u32 s23, s22, 24
	s_mul_i32 s22, s22, 24
	s_add_i32 s15, s23, s15
	v_mov_b32_e32 v2, s15
	v_add_co_u32_e32 v4, vcc, s22, v0
	v_addc_co_u32_e32 v5, vcc, v1, v2, vcc
	global_store_dwordx2 v[4:5], v[13:14], off
	s_waitcnt vmcnt(0)
	global_atomic_cmpswap_x2 v[2:3], v6, v[11:14], s[6:7] offset:32 glc
	s_waitcnt vmcnt(0)
	v_cmp_ne_u64_e32 vcc, v[2:3], v[13:14]
	s_and_saveexec_b64 s[22:23], vcc
	s_cbranch_execz .LBB7_687
; %bb.685:
	s_mov_b64 s[24:25], 0
.LBB7_686:                              ; =>This Inner Loop Header: Depth=1
	s_sleep 1
	global_store_dwordx2 v[4:5], v[2:3], off
	v_mov_b32_e32 v0, s18
	v_mov_b32_e32 v1, s19
	s_waitcnt vmcnt(0)
	global_atomic_cmpswap_x2 v[0:1], v6, v[0:3], s[6:7] offset:32 glc
	s_waitcnt vmcnt(0)
	v_cmp_eq_u64_e32 vcc, v[0:1], v[2:3]
	v_mov_b32_e32 v3, v1
	s_or_b64 s[24:25], vcc, s[24:25]
	v_mov_b32_e32 v2, v0
	s_andn2_b64 exec, exec, s[24:25]
	s_cbranch_execnz .LBB7_686
.LBB7_687:
	s_or_b64 exec, exec, s[22:23]
	v_mov_b32_e32 v3, 0
	global_load_dwordx2 v[0:1], v3, s[6:7] offset:16
	s_mov_b64 s[22:23], exec
	v_mbcnt_lo_u32_b32 v2, s22, 0
	v_mbcnt_hi_u32_b32 v2, s23, v2
	v_cmp_eq_u32_e32 vcc, 0, v2
	s_and_saveexec_b64 s[24:25], vcc
	s_cbranch_execz .LBB7_689
; %bb.688:
	s_bcnt1_i32_b64 s15, s[22:23]
	v_mov_b32_e32 v2, s15
	s_waitcnt vmcnt(0)
	global_atomic_add_x2 v[0:1], v[2:3], off offset:8
.LBB7_689:
	s_or_b64 exec, exec, s[24:25]
	s_waitcnt vmcnt(0)
	global_load_dwordx2 v[2:3], v[0:1], off offset:16
	s_waitcnt vmcnt(0)
	v_cmp_eq_u64_e32 vcc, 0, v[2:3]
	s_cbranch_vccnz .LBB7_691
; %bb.690:
	global_load_dword v0, v[0:1], off offset:24
	v_mov_b32_e32 v1, 0
	s_waitcnt vmcnt(0)
	global_store_dwordx2 v[2:3], v[0:1], off
	v_and_b32_e32 v0, 0xffffff, v0
	v_readfirstlane_b32 m0, v0
	s_sendmsg sendmsg(MSG_INTERRUPT)
.LBB7_691:
	s_or_b64 exec, exec, s[20:21]
	s_branch .LBB7_695
.LBB7_692:                              ;   in Loop: Header=BB7_695 Depth=1
	s_or_b64 exec, exec, s[20:21]
	v_readfirstlane_b32 s15, v0
	s_cmp_eq_u32 s15, 0
	s_cbranch_scc1 .LBB7_694
; %bb.693:                              ;   in Loop: Header=BB7_695 Depth=1
	s_sleep 1
	s_cbranch_execnz .LBB7_695
	s_branch .LBB7_697
.LBB7_694:
	s_branch .LBB7_697
.LBB7_695:                              ; =>This Inner Loop Header: Depth=1
	v_mov_b32_e32 v0, 1
	s_and_saveexec_b64 s[20:21], s[4:5]
	s_cbranch_execz .LBB7_692
; %bb.696:                              ;   in Loop: Header=BB7_695 Depth=1
	global_load_dword v0, v[7:8], off offset:20 glc
	s_waitcnt vmcnt(0)
	buffer_wbinvl1_vol
	v_and_b32_e32 v0, 1, v0
	s_branch .LBB7_692
.LBB7_697:
	global_load_dwordx2 v[0:1], v[9:10], off
	s_and_saveexec_b64 s[20:21], s[4:5]
	s_cbranch_execz .LBB7_700
; %bb.698:
	v_mov_b32_e32 v8, 0
	global_load_dwordx2 v[4:5], v8, s[6:7] offset:40
	global_load_dwordx2 v[9:10], v8, s[6:7] offset:24 glc
	global_load_dwordx2 v[6:7], v8, s[6:7]
	v_mov_b32_e32 v3, s19
	s_mov_b64 s[4:5], 0
	s_waitcnt vmcnt(2)
	v_add_co_u32_e32 v11, vcc, 1, v4
	v_addc_co_u32_e32 v12, vcc, 0, v5, vcc
	v_add_co_u32_e32 v2, vcc, s18, v11
	v_addc_co_u32_e32 v3, vcc, v12, v3, vcc
	v_cmp_eq_u64_e32 vcc, 0, v[2:3]
	v_cndmask_b32_e32 v3, v3, v12, vcc
	v_cndmask_b32_e32 v2, v2, v11, vcc
	v_and_b32_e32 v5, v3, v5
	v_and_b32_e32 v4, v2, v4
	v_mul_lo_u32 v5, v5, 24
	v_mul_hi_u32 v11, v4, 24
	v_mul_lo_u32 v12, v4, 24
	s_waitcnt vmcnt(1)
	v_mov_b32_e32 v4, v9
	v_add_u32_e32 v5, v11, v5
	s_waitcnt vmcnt(0)
	v_add_co_u32_e32 v6, vcc, v6, v12
	v_addc_co_u32_e32 v7, vcc, v7, v5, vcc
	global_store_dwordx2 v[6:7], v[9:10], off
	v_mov_b32_e32 v5, v10
	s_waitcnt vmcnt(0)
	global_atomic_cmpswap_x2 v[4:5], v8, v[2:5], s[6:7] offset:24 glc
	s_waitcnt vmcnt(0)
	v_cmp_ne_u64_e32 vcc, v[4:5], v[9:10]
	s_and_b64 exec, exec, vcc
	s_cbranch_execz .LBB7_700
.LBB7_699:                              ; =>This Inner Loop Header: Depth=1
	s_sleep 1
	global_store_dwordx2 v[6:7], v[4:5], off
	s_waitcnt vmcnt(0)
	global_atomic_cmpswap_x2 v[9:10], v8, v[2:5], s[6:7] offset:24 glc
	s_waitcnt vmcnt(0)
	v_cmp_eq_u64_e32 vcc, v[9:10], v[4:5]
	v_mov_b32_e32 v4, v9
	s_or_b64 s[4:5], vcc, s[4:5]
	v_mov_b32_e32 v5, v10
	s_andn2_b64 exec, exec, s[4:5]
	s_cbranch_execnz .LBB7_699
.LBB7_700:
	s_or_b64 exec, exec, s[20:21]
	s_and_b64 vcc, exec, s[16:17]
	s_cbranch_vccz .LBB7_785
; %bb.701:
	s_waitcnt vmcnt(0)
	v_and_b32_e32 v33, 2, v0
	v_mov_b32_e32 v28, 0
	v_and_b32_e32 v2, -3, v0
	v_mov_b32_e32 v3, v1
	s_mov_b64 s[20:21], 3
	v_mov_b32_e32 v6, 2
	v_mov_b32_e32 v7, 1
	s_getpc_b64 s[18:19]
	s_add_u32 s18, s18, .str.6@rel32@lo+4
	s_addc_u32 s19, s19, .str.6@rel32@hi+12
	s_branch .LBB7_703
.LBB7_702:                              ;   in Loop: Header=BB7_703 Depth=1
	s_or_b64 exec, exec, s[26:27]
	s_sub_u32 s20, s20, s22
	s_subb_u32 s21, s21, s23
	s_add_u32 s18, s18, s22
	s_addc_u32 s19, s19, s23
	s_cmp_lg_u64 s[20:21], 0
	s_cbranch_scc0 .LBB7_784
.LBB7_703:                              ; =>This Loop Header: Depth=1
                                        ;     Child Loop BB7_706 Depth 2
                                        ;     Child Loop BB7_713 Depth 2
	;; [unrolled: 1-line block ×11, first 2 shown]
	v_cmp_lt_u64_e64 s[4:5], s[20:21], 56
	v_cmp_gt_u64_e64 s[24:25], s[20:21], 7
	s_and_b64 s[4:5], s[4:5], exec
	s_cselect_b32 s23, s21, 0
	s_cselect_b32 s22, s20, 56
	s_and_b64 vcc, exec, s[24:25]
	s_cbranch_vccnz .LBB7_708
; %bb.704:                              ;   in Loop: Header=BB7_703 Depth=1
	v_mov_b32_e32 v10, 0
	s_cmp_eq_u64 s[20:21], 0
	v_mov_b32_e32 v11, 0
	s_mov_b64 s[4:5], 0
	s_cbranch_scc1 .LBB7_707
; %bb.705:                              ;   in Loop: Header=BB7_703 Depth=1
	v_mov_b32_e32 v10, 0
	s_lshl_b64 s[24:25], s[22:23], 3
	s_mov_b64 s[26:27], 0
	v_mov_b32_e32 v11, 0
	s_mov_b64 s[28:29], s[18:19]
.LBB7_706:                              ;   Parent Loop BB7_703 Depth=1
                                        ; =>  This Inner Loop Header: Depth=2
	global_load_ubyte v4, v28, s[28:29]
	s_waitcnt vmcnt(0)
	v_and_b32_e32 v27, 0xffff, v4
	v_lshlrev_b64 v[4:5], s26, v[27:28]
	s_add_u32 s26, s26, 8
	s_addc_u32 s27, s27, 0
	s_add_u32 s28, s28, 1
	s_addc_u32 s29, s29, 0
	v_or_b32_e32 v10, v4, v10
	s_cmp_lg_u32 s24, s26
	v_or_b32_e32 v11, v5, v11
	s_cbranch_scc1 .LBB7_706
.LBB7_707:                              ;   in Loop: Header=BB7_703 Depth=1
	s_mov_b32 s15, 0
	s_andn2_b64 vcc, exec, s[4:5]
	s_mov_b64 s[4:5], s[18:19]
	s_cbranch_vccz .LBB7_709
	s_branch .LBB7_710
.LBB7_708:                              ;   in Loop: Header=BB7_703 Depth=1
                                        ; implicit-def: $vgpr10_vgpr11
                                        ; implicit-def: $sgpr15
	s_mov_b64 s[4:5], s[18:19]
.LBB7_709:                              ;   in Loop: Header=BB7_703 Depth=1
	global_load_dwordx2 v[10:11], v28, s[18:19]
	s_add_i32 s15, s22, -8
	s_add_u32 s4, s18, 8
	s_addc_u32 s5, s19, 0
.LBB7_710:                              ;   in Loop: Header=BB7_703 Depth=1
	s_cmp_gt_u32 s15, 7
	s_cbranch_scc1 .LBB7_714
; %bb.711:                              ;   in Loop: Header=BB7_703 Depth=1
	s_cmp_eq_u32 s15, 0
	s_cbranch_scc1 .LBB7_715
; %bb.712:                              ;   in Loop: Header=BB7_703 Depth=1
	v_mov_b32_e32 v12, 0
	s_mov_b64 s[24:25], 0
	v_mov_b32_e32 v13, 0
	s_mov_b64 s[26:27], 0
.LBB7_713:                              ;   Parent Loop BB7_703 Depth=1
                                        ; =>  This Inner Loop Header: Depth=2
	s_add_u32 s28, s4, s26
	s_addc_u32 s29, s5, s27
	global_load_ubyte v4, v28, s[28:29]
	s_add_u32 s26, s26, 1
	s_addc_u32 s27, s27, 0
	s_waitcnt vmcnt(0)
	v_and_b32_e32 v27, 0xffff, v4
	v_lshlrev_b64 v[4:5], s24, v[27:28]
	s_add_u32 s24, s24, 8
	s_addc_u32 s25, s25, 0
	v_or_b32_e32 v12, v4, v12
	s_cmp_lg_u32 s15, s26
	v_or_b32_e32 v13, v5, v13
	s_cbranch_scc1 .LBB7_713
	s_branch .LBB7_716
.LBB7_714:                              ;   in Loop: Header=BB7_703 Depth=1
                                        ; implicit-def: $vgpr12_vgpr13
                                        ; implicit-def: $sgpr28
	s_branch .LBB7_717
.LBB7_715:                              ;   in Loop: Header=BB7_703 Depth=1
	v_mov_b32_e32 v12, 0
	v_mov_b32_e32 v13, 0
.LBB7_716:                              ;   in Loop: Header=BB7_703 Depth=1
	s_mov_b32 s28, 0
	s_cbranch_execnz .LBB7_718
.LBB7_717:                              ;   in Loop: Header=BB7_703 Depth=1
	global_load_dwordx2 v[12:13], v28, s[4:5]
	s_add_i32 s28, s15, -8
	s_add_u32 s4, s4, 8
	s_addc_u32 s5, s5, 0
.LBB7_718:                              ;   in Loop: Header=BB7_703 Depth=1
	s_cmp_gt_u32 s28, 7
	s_cbranch_scc1 .LBB7_722
; %bb.719:                              ;   in Loop: Header=BB7_703 Depth=1
	s_cmp_eq_u32 s28, 0
	s_cbranch_scc1 .LBB7_723
; %bb.720:                              ;   in Loop: Header=BB7_703 Depth=1
	v_mov_b32_e32 v14, 0
	s_mov_b64 s[24:25], 0
	v_mov_b32_e32 v15, 0
	s_mov_b64 s[26:27], 0
.LBB7_721:                              ;   Parent Loop BB7_703 Depth=1
                                        ; =>  This Inner Loop Header: Depth=2
	s_add_u32 vcc_lo, s4, s26
	s_addc_u32 vcc_hi, s5, s27
	global_load_ubyte v4, v28, vcc
	s_add_u32 s26, s26, 1
	s_addc_u32 s27, s27, 0
	s_waitcnt vmcnt(0)
	v_and_b32_e32 v27, 0xffff, v4
	v_lshlrev_b64 v[4:5], s24, v[27:28]
	s_add_u32 s24, s24, 8
	s_addc_u32 s25, s25, 0
	v_or_b32_e32 v14, v4, v14
	s_cmp_lg_u32 s28, s26
	v_or_b32_e32 v15, v5, v15
	s_cbranch_scc1 .LBB7_721
	s_branch .LBB7_724
.LBB7_722:                              ;   in Loop: Header=BB7_703 Depth=1
                                        ; implicit-def: $sgpr15
	s_branch .LBB7_725
.LBB7_723:                              ;   in Loop: Header=BB7_703 Depth=1
	v_mov_b32_e32 v14, 0
	v_mov_b32_e32 v15, 0
.LBB7_724:                              ;   in Loop: Header=BB7_703 Depth=1
	s_mov_b32 s15, 0
	s_cbranch_execnz .LBB7_726
.LBB7_725:                              ;   in Loop: Header=BB7_703 Depth=1
	global_load_dwordx2 v[14:15], v28, s[4:5]
	s_add_i32 s15, s28, -8
	s_add_u32 s4, s4, 8
	s_addc_u32 s5, s5, 0
.LBB7_726:                              ;   in Loop: Header=BB7_703 Depth=1
	s_cmp_gt_u32 s15, 7
	s_cbranch_scc1 .LBB7_730
; %bb.727:                              ;   in Loop: Header=BB7_703 Depth=1
	s_cmp_eq_u32 s15, 0
	s_cbranch_scc1 .LBB7_731
; %bb.728:                              ;   in Loop: Header=BB7_703 Depth=1
	v_mov_b32_e32 v16, 0
	s_mov_b64 s[24:25], 0
	v_mov_b32_e32 v17, 0
	s_mov_b64 s[26:27], 0
.LBB7_729:                              ;   Parent Loop BB7_703 Depth=1
                                        ; =>  This Inner Loop Header: Depth=2
	s_add_u32 s28, s4, s26
	s_addc_u32 s29, s5, s27
	global_load_ubyte v4, v28, s[28:29]
	s_add_u32 s26, s26, 1
	s_addc_u32 s27, s27, 0
	s_waitcnt vmcnt(0)
	v_and_b32_e32 v27, 0xffff, v4
	v_lshlrev_b64 v[4:5], s24, v[27:28]
	s_add_u32 s24, s24, 8
	s_addc_u32 s25, s25, 0
	v_or_b32_e32 v16, v4, v16
	s_cmp_lg_u32 s15, s26
	v_or_b32_e32 v17, v5, v17
	s_cbranch_scc1 .LBB7_729
	s_branch .LBB7_732
.LBB7_730:                              ;   in Loop: Header=BB7_703 Depth=1
                                        ; implicit-def: $vgpr16_vgpr17
                                        ; implicit-def: $sgpr28
	s_branch .LBB7_733
.LBB7_731:                              ;   in Loop: Header=BB7_703 Depth=1
	v_mov_b32_e32 v16, 0
	v_mov_b32_e32 v17, 0
.LBB7_732:                              ;   in Loop: Header=BB7_703 Depth=1
	s_mov_b32 s28, 0
	s_cbranch_execnz .LBB7_734
.LBB7_733:                              ;   in Loop: Header=BB7_703 Depth=1
	global_load_dwordx2 v[16:17], v28, s[4:5]
	s_add_i32 s28, s15, -8
	s_add_u32 s4, s4, 8
	s_addc_u32 s5, s5, 0
.LBB7_734:                              ;   in Loop: Header=BB7_703 Depth=1
	s_cmp_gt_u32 s28, 7
	s_cbranch_scc1 .LBB7_738
; %bb.735:                              ;   in Loop: Header=BB7_703 Depth=1
	s_cmp_eq_u32 s28, 0
	s_cbranch_scc1 .LBB7_739
; %bb.736:                              ;   in Loop: Header=BB7_703 Depth=1
	v_mov_b32_e32 v18, 0
	s_mov_b64 s[24:25], 0
	v_mov_b32_e32 v19, 0
	s_mov_b64 s[26:27], 0
.LBB7_737:                              ;   Parent Loop BB7_703 Depth=1
                                        ; =>  This Inner Loop Header: Depth=2
	s_add_u32 vcc_lo, s4, s26
	s_addc_u32 vcc_hi, s5, s27
	global_load_ubyte v4, v28, vcc
	s_add_u32 s26, s26, 1
	s_addc_u32 s27, s27, 0
	s_waitcnt vmcnt(0)
	v_and_b32_e32 v27, 0xffff, v4
	v_lshlrev_b64 v[4:5], s24, v[27:28]
	s_add_u32 s24, s24, 8
	s_addc_u32 s25, s25, 0
	v_or_b32_e32 v18, v4, v18
	s_cmp_lg_u32 s28, s26
	v_or_b32_e32 v19, v5, v19
	s_cbranch_scc1 .LBB7_737
	s_branch .LBB7_740
.LBB7_738:                              ;   in Loop: Header=BB7_703 Depth=1
                                        ; implicit-def: $sgpr15
	s_branch .LBB7_741
.LBB7_739:                              ;   in Loop: Header=BB7_703 Depth=1
	v_mov_b32_e32 v18, 0
	v_mov_b32_e32 v19, 0
.LBB7_740:                              ;   in Loop: Header=BB7_703 Depth=1
	s_mov_b32 s15, 0
	s_cbranch_execnz .LBB7_742
.LBB7_741:                              ;   in Loop: Header=BB7_703 Depth=1
	global_load_dwordx2 v[18:19], v28, s[4:5]
	s_add_i32 s15, s28, -8
	s_add_u32 s4, s4, 8
	s_addc_u32 s5, s5, 0
.LBB7_742:                              ;   in Loop: Header=BB7_703 Depth=1
	s_cmp_gt_u32 s15, 7
	s_cbranch_scc1 .LBB7_746
; %bb.743:                              ;   in Loop: Header=BB7_703 Depth=1
	s_cmp_eq_u32 s15, 0
	s_cbranch_scc1 .LBB7_747
; %bb.744:                              ;   in Loop: Header=BB7_703 Depth=1
	v_mov_b32_e32 v20, 0
	s_mov_b64 s[24:25], 0
	v_mov_b32_e32 v21, 0
	s_mov_b64 s[26:27], 0
.LBB7_745:                              ;   Parent Loop BB7_703 Depth=1
                                        ; =>  This Inner Loop Header: Depth=2
	s_add_u32 s28, s4, s26
	s_addc_u32 s29, s5, s27
	global_load_ubyte v4, v28, s[28:29]
	s_add_u32 s26, s26, 1
	s_addc_u32 s27, s27, 0
	s_waitcnt vmcnt(0)
	v_and_b32_e32 v27, 0xffff, v4
	v_lshlrev_b64 v[4:5], s24, v[27:28]
	s_add_u32 s24, s24, 8
	s_addc_u32 s25, s25, 0
	v_or_b32_e32 v20, v4, v20
	s_cmp_lg_u32 s15, s26
	v_or_b32_e32 v21, v5, v21
	s_cbranch_scc1 .LBB7_745
	s_branch .LBB7_748
.LBB7_746:                              ;   in Loop: Header=BB7_703 Depth=1
                                        ; implicit-def: $vgpr20_vgpr21
                                        ; implicit-def: $sgpr28
	s_branch .LBB7_749
.LBB7_747:                              ;   in Loop: Header=BB7_703 Depth=1
	v_mov_b32_e32 v20, 0
	v_mov_b32_e32 v21, 0
.LBB7_748:                              ;   in Loop: Header=BB7_703 Depth=1
	s_mov_b32 s28, 0
	s_cbranch_execnz .LBB7_750
.LBB7_749:                              ;   in Loop: Header=BB7_703 Depth=1
	global_load_dwordx2 v[20:21], v28, s[4:5]
	s_add_i32 s28, s15, -8
	s_add_u32 s4, s4, 8
	s_addc_u32 s5, s5, 0
.LBB7_750:                              ;   in Loop: Header=BB7_703 Depth=1
	s_cmp_gt_u32 s28, 7
	s_cbranch_scc1 .LBB7_754
; %bb.751:                              ;   in Loop: Header=BB7_703 Depth=1
	s_cmp_eq_u32 s28, 0
	s_cbranch_scc1 .LBB7_755
; %bb.752:                              ;   in Loop: Header=BB7_703 Depth=1
	v_mov_b32_e32 v22, 0
	s_mov_b64 s[24:25], 0
	v_mov_b32_e32 v23, 0
	s_mov_b64 s[26:27], s[4:5]
.LBB7_753:                              ;   Parent Loop BB7_703 Depth=1
                                        ; =>  This Inner Loop Header: Depth=2
	global_load_ubyte v4, v28, s[26:27]
	s_add_i32 s28, s28, -1
	s_waitcnt vmcnt(0)
	v_and_b32_e32 v27, 0xffff, v4
	v_lshlrev_b64 v[4:5], s24, v[27:28]
	s_add_u32 s24, s24, 8
	s_addc_u32 s25, s25, 0
	s_add_u32 s26, s26, 1
	s_addc_u32 s27, s27, 0
	v_or_b32_e32 v22, v4, v22
	s_cmp_lg_u32 s28, 0
	v_or_b32_e32 v23, v5, v23
	s_cbranch_scc1 .LBB7_753
	s_branch .LBB7_756
.LBB7_754:                              ;   in Loop: Header=BB7_703 Depth=1
	s_branch .LBB7_757
.LBB7_755:                              ;   in Loop: Header=BB7_703 Depth=1
	v_mov_b32_e32 v22, 0
	v_mov_b32_e32 v23, 0
.LBB7_756:                              ;   in Loop: Header=BB7_703 Depth=1
	s_cbranch_execnz .LBB7_758
.LBB7_757:                              ;   in Loop: Header=BB7_703 Depth=1
	global_load_dwordx2 v[22:23], v28, s[4:5]
.LBB7_758:                              ;   in Loop: Header=BB7_703 Depth=1
	v_readfirstlane_b32 s4, v32
	s_waitcnt vmcnt(0)
	v_mov_b32_e32 v4, 0
	v_mov_b32_e32 v5, 0
	v_cmp_eq_u32_e64 s[4:5], s4, v32
	s_and_saveexec_b64 s[24:25], s[4:5]
	s_cbranch_execz .LBB7_764
; %bb.759:                              ;   in Loop: Header=BB7_703 Depth=1
	global_load_dwordx2 v[26:27], v28, s[6:7] offset:24 glc
	s_waitcnt vmcnt(0)
	buffer_wbinvl1_vol
	global_load_dwordx2 v[4:5], v28, s[6:7] offset:40
	global_load_dwordx2 v[8:9], v28, s[6:7]
	s_waitcnt vmcnt(1)
	v_and_b32_e32 v4, v4, v26
	v_and_b32_e32 v5, v5, v27
	v_mul_lo_u32 v5, v5, 24
	v_mul_hi_u32 v24, v4, 24
	v_mul_lo_u32 v4, v4, 24
	v_add_u32_e32 v5, v24, v5
	s_waitcnt vmcnt(0)
	v_add_co_u32_e32 v4, vcc, v8, v4
	v_addc_co_u32_e32 v5, vcc, v9, v5, vcc
	global_load_dwordx2 v[24:25], v[4:5], off glc
	s_waitcnt vmcnt(0)
	global_atomic_cmpswap_x2 v[4:5], v28, v[24:27], s[6:7] offset:24 glc
	s_waitcnt vmcnt(0)
	buffer_wbinvl1_vol
	v_cmp_ne_u64_e32 vcc, v[4:5], v[26:27]
	s_and_saveexec_b64 s[26:27], vcc
	s_cbranch_execz .LBB7_763
; %bb.760:                              ;   in Loop: Header=BB7_703 Depth=1
	s_mov_b64 s[28:29], 0
.LBB7_761:                              ;   Parent Loop BB7_703 Depth=1
                                        ; =>  This Inner Loop Header: Depth=2
	s_sleep 1
	global_load_dwordx2 v[8:9], v28, s[6:7] offset:40
	global_load_dwordx2 v[24:25], v28, s[6:7]
	v_mov_b32_e32 v27, v5
	v_mov_b32_e32 v26, v4
	s_waitcnt vmcnt(1)
	v_and_b32_e32 v4, v8, v26
	s_waitcnt vmcnt(0)
	v_mad_u64_u32 v[4:5], vcc, v4, 24, v[24:25]
	v_and_b32_e32 v8, v9, v27
	v_mad_u64_u32 v[8:9], vcc, v8, 24, v[5:6]
	v_mov_b32_e32 v5, v8
	global_load_dwordx2 v[24:25], v[4:5], off glc
	s_waitcnt vmcnt(0)
	global_atomic_cmpswap_x2 v[4:5], v28, v[24:27], s[6:7] offset:24 glc
	s_waitcnt vmcnt(0)
	buffer_wbinvl1_vol
	v_cmp_eq_u64_e32 vcc, v[4:5], v[26:27]
	s_or_b64 s[28:29], vcc, s[28:29]
	s_andn2_b64 exec, exec, s[28:29]
	s_cbranch_execnz .LBB7_761
; %bb.762:                              ;   in Loop: Header=BB7_703 Depth=1
	s_or_b64 exec, exec, s[28:29]
.LBB7_763:                              ;   in Loop: Header=BB7_703 Depth=1
	s_or_b64 exec, exec, s[26:27]
.LBB7_764:                              ;   in Loop: Header=BB7_703 Depth=1
	s_or_b64 exec, exec, s[24:25]
	global_load_dwordx2 v[8:9], v28, s[6:7] offset:40
	global_load_dwordx4 v[24:27], v28, s[6:7]
	v_readfirstlane_b32 s24, v4
	v_readfirstlane_b32 s25, v5
	s_mov_b64 s[26:27], exec
	s_waitcnt vmcnt(1)
	v_readfirstlane_b32 s28, v8
	v_readfirstlane_b32 s29, v9
	s_and_b64 s[28:29], s[24:25], s[28:29]
	s_mul_i32 s15, s29, 24
	s_mul_hi_u32 vcc_lo, s28, 24
	s_mul_i32 vcc_hi, s28, 24
	s_add_i32 s15, vcc_lo, s15
	v_mov_b32_e32 v4, s15
	s_waitcnt vmcnt(0)
	v_add_co_u32_e32 v29, vcc, vcc_hi, v24
	v_addc_co_u32_e32 v30, vcc, v25, v4, vcc
	s_and_saveexec_b64 vcc, s[4:5]
	s_cbranch_execz .LBB7_766
; %bb.765:                              ;   in Loop: Header=BB7_703 Depth=1
	v_mov_b32_e32 v4, s26
	v_mov_b32_e32 v5, s27
	global_store_dwordx4 v[29:30], v[4:7], off offset:8
.LBB7_766:                              ;   in Loop: Header=BB7_703 Depth=1
	s_or_b64 exec, exec, vcc
	s_lshl_b64 s[26:27], s[28:29], 12
	v_mov_b32_e32 v4, s27
	v_add_co_u32_e32 v26, vcc, s26, v26
	v_addc_co_u32_e32 v34, vcc, v27, v4, vcc
	v_cmp_gt_u64_e64 vcc, s[20:21], 56
	v_or_b32_e32 v5, v2, v33
	s_lshl_b32 s15, s22, 2
	v_cndmask_b32_e32 v2, v5, v2, vcc
	s_add_i32 s15, s15, 28
	v_or_b32_e32 v4, 0, v3
	s_and_b32 s15, s15, 0x1e0
	v_and_b32_e32 v2, 0xffffff1f, v2
	v_cndmask_b32_e32 v9, v4, v3, vcc
	v_or_b32_e32 v8, s15, v2
	v_readfirstlane_b32 s26, v26
	v_readfirstlane_b32 s27, v34
	s_nop 4
	global_store_dwordx4 v31, v[8:11], s[26:27]
	global_store_dwordx4 v31, v[12:15], s[26:27] offset:16
	global_store_dwordx4 v31, v[16:19], s[26:27] offset:32
	;; [unrolled: 1-line block ×3, first 2 shown]
	s_and_saveexec_b64 s[26:27], s[4:5]
	s_cbranch_execz .LBB7_774
; %bb.767:                              ;   in Loop: Header=BB7_703 Depth=1
	global_load_dwordx2 v[12:13], v28, s[6:7] offset:32 glc
	global_load_dwordx2 v[2:3], v28, s[6:7] offset:40
	v_mov_b32_e32 v10, s24
	v_mov_b32_e32 v11, s25
	s_waitcnt vmcnt(0)
	v_readfirstlane_b32 s28, v2
	v_readfirstlane_b32 s29, v3
	s_and_b64 s[28:29], s[28:29], s[24:25]
	s_mul_i32 s15, s29, 24
	s_mul_hi_u32 s29, s28, 24
	s_mul_i32 s28, s28, 24
	s_add_i32 s15, s29, s15
	v_mov_b32_e32 v2, s15
	v_add_co_u32_e32 v8, vcc, s28, v24
	v_addc_co_u32_e32 v9, vcc, v25, v2, vcc
	global_store_dwordx2 v[8:9], v[12:13], off
	s_waitcnt vmcnt(0)
	global_atomic_cmpswap_x2 v[4:5], v28, v[10:13], s[6:7] offset:32 glc
	s_waitcnt vmcnt(0)
	v_cmp_ne_u64_e32 vcc, v[4:5], v[12:13]
	s_and_saveexec_b64 s[28:29], vcc
	s_cbranch_execz .LBB7_770
; %bb.768:                              ;   in Loop: Header=BB7_703 Depth=1
	s_mov_b64 s[30:31], 0
.LBB7_769:                              ;   Parent Loop BB7_703 Depth=1
                                        ; =>  This Inner Loop Header: Depth=2
	s_sleep 1
	global_store_dwordx2 v[8:9], v[4:5], off
	v_mov_b32_e32 v2, s24
	v_mov_b32_e32 v3, s25
	s_waitcnt vmcnt(0)
	global_atomic_cmpswap_x2 v[2:3], v28, v[2:5], s[6:7] offset:32 glc
	s_waitcnt vmcnt(0)
	v_cmp_eq_u64_e32 vcc, v[2:3], v[4:5]
	v_mov_b32_e32 v5, v3
	s_or_b64 s[30:31], vcc, s[30:31]
	v_mov_b32_e32 v4, v2
	s_andn2_b64 exec, exec, s[30:31]
	s_cbranch_execnz .LBB7_769
.LBB7_770:                              ;   in Loop: Header=BB7_703 Depth=1
	s_or_b64 exec, exec, s[28:29]
	global_load_dwordx2 v[2:3], v28, s[6:7] offset:16
	s_mov_b64 s[30:31], exec
	v_mbcnt_lo_u32_b32 v4, s30, 0
	v_mbcnt_hi_u32_b32 v4, s31, v4
	v_cmp_eq_u32_e32 vcc, 0, v4
	s_and_saveexec_b64 s[28:29], vcc
	s_cbranch_execz .LBB7_772
; %bb.771:                              ;   in Loop: Header=BB7_703 Depth=1
	s_bcnt1_i32_b64 s15, s[30:31]
	v_mov_b32_e32 v27, s15
	s_waitcnt vmcnt(0)
	global_atomic_add_x2 v[2:3], v[27:28], off offset:8
.LBB7_772:                              ;   in Loop: Header=BB7_703 Depth=1
	s_or_b64 exec, exec, s[28:29]
	s_waitcnt vmcnt(0)
	global_load_dwordx2 v[4:5], v[2:3], off offset:16
	s_waitcnt vmcnt(0)
	v_cmp_eq_u64_e32 vcc, 0, v[4:5]
	s_cbranch_vccnz .LBB7_774
; %bb.773:                              ;   in Loop: Header=BB7_703 Depth=1
	global_load_dword v27, v[2:3], off offset:24
	s_waitcnt vmcnt(0)
	v_and_b32_e32 v2, 0xffffff, v27
	v_readfirstlane_b32 m0, v2
	global_store_dwordx2 v[4:5], v[27:28], off
	s_sendmsg sendmsg(MSG_INTERRUPT)
.LBB7_774:                              ;   in Loop: Header=BB7_703 Depth=1
	s_or_b64 exec, exec, s[26:27]
	v_add_co_u32_e32 v2, vcc, v26, v31
	v_addc_co_u32_e32 v3, vcc, 0, v34, vcc
	s_branch .LBB7_778
.LBB7_775:                              ;   in Loop: Header=BB7_778 Depth=2
	s_or_b64 exec, exec, s[26:27]
	v_readfirstlane_b32 s15, v4
	s_cmp_eq_u32 s15, 0
	s_cbranch_scc1 .LBB7_777
; %bb.776:                              ;   in Loop: Header=BB7_778 Depth=2
	s_sleep 1
	s_cbranch_execnz .LBB7_778
	s_branch .LBB7_780
.LBB7_777:                              ;   in Loop: Header=BB7_703 Depth=1
	s_branch .LBB7_780
.LBB7_778:                              ;   Parent Loop BB7_703 Depth=1
                                        ; =>  This Inner Loop Header: Depth=2
	v_mov_b32_e32 v4, 1
	s_and_saveexec_b64 s[26:27], s[4:5]
	s_cbranch_execz .LBB7_775
; %bb.779:                              ;   in Loop: Header=BB7_778 Depth=2
	global_load_dword v4, v[29:30], off offset:20 glc
	s_waitcnt vmcnt(0)
	buffer_wbinvl1_vol
	v_and_b32_e32 v4, 1, v4
	s_branch .LBB7_775
.LBB7_780:                              ;   in Loop: Header=BB7_703 Depth=1
	global_load_dwordx4 v[2:5], v[2:3], off
	s_and_saveexec_b64 s[26:27], s[4:5]
	s_cbranch_execz .LBB7_702
; %bb.781:                              ;   in Loop: Header=BB7_703 Depth=1
	global_load_dwordx2 v[4:5], v28, s[6:7] offset:40
	global_load_dwordx2 v[12:13], v28, s[6:7] offset:24 glc
	global_load_dwordx2 v[14:15], v28, s[6:7]
	v_mov_b32_e32 v9, s25
	s_waitcnt vmcnt(2)
	v_add_co_u32_e32 v10, vcc, 1, v4
	v_addc_co_u32_e32 v11, vcc, 0, v5, vcc
	v_add_co_u32_e32 v8, vcc, s24, v10
	v_addc_co_u32_e32 v9, vcc, v11, v9, vcc
	v_cmp_eq_u64_e32 vcc, 0, v[8:9]
	v_cndmask_b32_e32 v9, v9, v11, vcc
	v_cndmask_b32_e32 v8, v8, v10, vcc
	v_and_b32_e32 v5, v9, v5
	v_and_b32_e32 v4, v8, v4
	v_mul_lo_u32 v5, v5, 24
	v_mul_hi_u32 v11, v4, 24
	v_mul_lo_u32 v4, v4, 24
	s_waitcnt vmcnt(1)
	v_mov_b32_e32 v10, v12
	v_add_u32_e32 v5, v11, v5
	s_waitcnt vmcnt(0)
	v_add_co_u32_e32 v4, vcc, v14, v4
	v_addc_co_u32_e32 v5, vcc, v15, v5, vcc
	global_store_dwordx2 v[4:5], v[12:13], off
	v_mov_b32_e32 v11, v13
	s_waitcnt vmcnt(0)
	global_atomic_cmpswap_x2 v[10:11], v28, v[8:11], s[6:7] offset:24 glc
	s_waitcnt vmcnt(0)
	v_cmp_ne_u64_e32 vcc, v[10:11], v[12:13]
	s_and_b64 exec, exec, vcc
	s_cbranch_execz .LBB7_702
; %bb.782:                              ;   in Loop: Header=BB7_703 Depth=1
	s_mov_b64 s[4:5], 0
.LBB7_783:                              ;   Parent Loop BB7_703 Depth=1
                                        ; =>  This Inner Loop Header: Depth=2
	s_sleep 1
	global_store_dwordx2 v[4:5], v[10:11], off
	s_waitcnt vmcnt(0)
	global_atomic_cmpswap_x2 v[12:13], v28, v[8:11], s[6:7] offset:24 glc
	s_waitcnt vmcnt(0)
	v_cmp_eq_u64_e32 vcc, v[12:13], v[10:11]
	v_mov_b32_e32 v10, v12
	s_or_b64 s[4:5], vcc, s[4:5]
	v_mov_b32_e32 v11, v13
	s_andn2_b64 exec, exec, s[4:5]
	s_cbranch_execnz .LBB7_783
	s_branch .LBB7_702
.LBB7_784:
	s_branch .LBB7_812
.LBB7_785:
                                        ; implicit-def: $vgpr2_vgpr3
	s_cbranch_execz .LBB7_812
; %bb.786:
	v_readfirstlane_b32 s4, v32
	v_mov_b32_e32 v8, 0
	v_mov_b32_e32 v9, 0
	v_cmp_eq_u32_e64 s[4:5], s4, v32
	s_and_saveexec_b64 s[18:19], s[4:5]
	s_cbranch_execz .LBB7_792
; %bb.787:
	s_waitcnt vmcnt(0)
	v_mov_b32_e32 v2, 0
	global_load_dwordx2 v[5:6], v2, s[6:7] offset:24 glc
	s_waitcnt vmcnt(0)
	buffer_wbinvl1_vol
	global_load_dwordx2 v[3:4], v2, s[6:7] offset:40
	global_load_dwordx2 v[7:8], v2, s[6:7]
	s_waitcnt vmcnt(1)
	v_and_b32_e32 v3, v3, v5
	v_and_b32_e32 v4, v4, v6
	v_mul_lo_u32 v4, v4, 24
	v_mul_hi_u32 v9, v3, 24
	v_mul_lo_u32 v3, v3, 24
	v_add_u32_e32 v4, v9, v4
	s_waitcnt vmcnt(0)
	v_add_co_u32_e32 v3, vcc, v7, v3
	v_addc_co_u32_e32 v4, vcc, v8, v4, vcc
	global_load_dwordx2 v[3:4], v[3:4], off glc
	s_waitcnt vmcnt(0)
	global_atomic_cmpswap_x2 v[8:9], v2, v[3:6], s[6:7] offset:24 glc
	s_waitcnt vmcnt(0)
	buffer_wbinvl1_vol
	v_cmp_ne_u64_e32 vcc, v[8:9], v[5:6]
	s_and_saveexec_b64 s[20:21], vcc
	s_cbranch_execz .LBB7_791
; %bb.788:
	s_mov_b64 s[22:23], 0
.LBB7_789:                              ; =>This Inner Loop Header: Depth=1
	s_sleep 1
	global_load_dwordx2 v[3:4], v2, s[6:7] offset:40
	global_load_dwordx2 v[10:11], v2, s[6:7]
	v_mov_b32_e32 v5, v8
	v_mov_b32_e32 v6, v9
	s_waitcnt vmcnt(1)
	v_and_b32_e32 v3, v3, v5
	s_waitcnt vmcnt(0)
	v_mad_u64_u32 v[7:8], s[24:25], v3, 24, v[10:11]
	v_and_b32_e32 v4, v4, v6
	v_mov_b32_e32 v3, v8
	v_mad_u64_u32 v[3:4], s[24:25], v4, 24, v[3:4]
	v_mov_b32_e32 v8, v3
	global_load_dwordx2 v[3:4], v[7:8], off glc
	s_waitcnt vmcnt(0)
	global_atomic_cmpswap_x2 v[8:9], v2, v[3:6], s[6:7] offset:24 glc
	s_waitcnt vmcnt(0)
	buffer_wbinvl1_vol
	v_cmp_eq_u64_e32 vcc, v[8:9], v[5:6]
	s_or_b64 s[22:23], vcc, s[22:23]
	s_andn2_b64 exec, exec, s[22:23]
	s_cbranch_execnz .LBB7_789
; %bb.790:
	s_or_b64 exec, exec, s[22:23]
.LBB7_791:
	s_or_b64 exec, exec, s[20:21]
.LBB7_792:
	s_or_b64 exec, exec, s[18:19]
	s_waitcnt vmcnt(0)
	v_mov_b32_e32 v2, 0
	global_load_dwordx2 v[10:11], v2, s[6:7] offset:40
	global_load_dwordx4 v[4:7], v2, s[6:7]
	v_readfirstlane_b32 s18, v8
	v_readfirstlane_b32 s19, v9
	s_mov_b64 s[20:21], exec
	s_waitcnt vmcnt(1)
	v_readfirstlane_b32 s22, v10
	v_readfirstlane_b32 s23, v11
	s_and_b64 s[22:23], s[18:19], s[22:23]
	s_mul_i32 s15, s23, 24
	s_mul_hi_u32 s24, s22, 24
	s_mul_i32 s25, s22, 24
	s_add_i32 s15, s24, s15
	v_mov_b32_e32 v3, s15
	s_waitcnt vmcnt(0)
	v_add_co_u32_e32 v8, vcc, s25, v4
	v_addc_co_u32_e32 v9, vcc, v5, v3, vcc
	s_and_saveexec_b64 s[24:25], s[4:5]
	s_cbranch_execz .LBB7_794
; %bb.793:
	v_mov_b32_e32 v10, s20
	v_mov_b32_e32 v11, s21
	;; [unrolled: 1-line block ×4, first 2 shown]
	global_store_dwordx4 v[8:9], v[10:13], off offset:8
.LBB7_794:
	s_or_b64 exec, exec, s[24:25]
	s_lshl_b64 s[20:21], s[22:23], 12
	v_mov_b32_e32 v3, s21
	v_add_co_u32_e32 v10, vcc, s20, v6
	v_addc_co_u32_e32 v11, vcc, v7, v3, vcc
	s_movk_i32 s15, 0xff1f
	v_and_or_b32 v0, v0, s15, 32
	s_mov_b32 s20, 0
	v_mov_b32_e32 v3, v2
	v_readfirstlane_b32 s24, v10
	v_readfirstlane_b32 s25, v11
	v_add_co_u32_e32 v6, vcc, v10, v31
	s_mov_b32 s21, s20
	s_mov_b32 s22, s20
	;; [unrolled: 1-line block ×3, first 2 shown]
	s_nop 0
	global_store_dwordx4 v31, v[0:3], s[24:25]
	v_addc_co_u32_e32 v7, vcc, 0, v11, vcc
	v_mov_b32_e32 v0, s20
	v_mov_b32_e32 v1, s21
	;; [unrolled: 1-line block ×4, first 2 shown]
	global_store_dwordx4 v31, v[0:3], s[24:25] offset:16
	global_store_dwordx4 v31, v[0:3], s[24:25] offset:32
	global_store_dwordx4 v31, v[0:3], s[24:25] offset:48
	s_and_saveexec_b64 s[20:21], s[4:5]
	s_cbranch_execz .LBB7_802
; %bb.795:
	v_mov_b32_e32 v10, 0
	global_load_dwordx2 v[13:14], v10, s[6:7] offset:32 glc
	global_load_dwordx2 v[0:1], v10, s[6:7] offset:40
	v_mov_b32_e32 v11, s18
	v_mov_b32_e32 v12, s19
	s_waitcnt vmcnt(0)
	v_readfirstlane_b32 s22, v0
	v_readfirstlane_b32 s23, v1
	s_and_b64 s[22:23], s[22:23], s[18:19]
	s_mul_i32 s15, s23, 24
	s_mul_hi_u32 s23, s22, 24
	s_mul_i32 s22, s22, 24
	s_add_i32 s15, s23, s15
	v_mov_b32_e32 v0, s15
	v_add_co_u32_e32 v4, vcc, s22, v4
	v_addc_co_u32_e32 v5, vcc, v5, v0, vcc
	global_store_dwordx2 v[4:5], v[13:14], off
	s_waitcnt vmcnt(0)
	global_atomic_cmpswap_x2 v[2:3], v10, v[11:14], s[6:7] offset:32 glc
	s_waitcnt vmcnt(0)
	v_cmp_ne_u64_e32 vcc, v[2:3], v[13:14]
	s_and_saveexec_b64 s[22:23], vcc
	s_cbranch_execz .LBB7_798
; %bb.796:
	s_mov_b64 s[24:25], 0
.LBB7_797:                              ; =>This Inner Loop Header: Depth=1
	s_sleep 1
	global_store_dwordx2 v[4:5], v[2:3], off
	v_mov_b32_e32 v0, s18
	v_mov_b32_e32 v1, s19
	s_waitcnt vmcnt(0)
	global_atomic_cmpswap_x2 v[0:1], v10, v[0:3], s[6:7] offset:32 glc
	s_waitcnt vmcnt(0)
	v_cmp_eq_u64_e32 vcc, v[0:1], v[2:3]
	v_mov_b32_e32 v3, v1
	s_or_b64 s[24:25], vcc, s[24:25]
	v_mov_b32_e32 v2, v0
	s_andn2_b64 exec, exec, s[24:25]
	s_cbranch_execnz .LBB7_797
.LBB7_798:
	s_or_b64 exec, exec, s[22:23]
	v_mov_b32_e32 v3, 0
	global_load_dwordx2 v[0:1], v3, s[6:7] offset:16
	s_mov_b64 s[22:23], exec
	v_mbcnt_lo_u32_b32 v2, s22, 0
	v_mbcnt_hi_u32_b32 v2, s23, v2
	v_cmp_eq_u32_e32 vcc, 0, v2
	s_and_saveexec_b64 s[24:25], vcc
	s_cbranch_execz .LBB7_800
; %bb.799:
	s_bcnt1_i32_b64 s15, s[22:23]
	v_mov_b32_e32 v2, s15
	s_waitcnt vmcnt(0)
	global_atomic_add_x2 v[0:1], v[2:3], off offset:8
.LBB7_800:
	s_or_b64 exec, exec, s[24:25]
	s_waitcnt vmcnt(0)
	global_load_dwordx2 v[2:3], v[0:1], off offset:16
	s_waitcnt vmcnt(0)
	v_cmp_eq_u64_e32 vcc, 0, v[2:3]
	s_cbranch_vccnz .LBB7_802
; %bb.801:
	global_load_dword v0, v[0:1], off offset:24
	v_mov_b32_e32 v1, 0
	s_waitcnt vmcnt(0)
	global_store_dwordx2 v[2:3], v[0:1], off
	v_and_b32_e32 v0, 0xffffff, v0
	v_readfirstlane_b32 m0, v0
	s_sendmsg sendmsg(MSG_INTERRUPT)
.LBB7_802:
	s_or_b64 exec, exec, s[20:21]
	s_branch .LBB7_806
.LBB7_803:                              ;   in Loop: Header=BB7_806 Depth=1
	s_or_b64 exec, exec, s[20:21]
	v_readfirstlane_b32 s15, v0
	s_cmp_eq_u32 s15, 0
	s_cbranch_scc1 .LBB7_805
; %bb.804:                              ;   in Loop: Header=BB7_806 Depth=1
	s_sleep 1
	s_cbranch_execnz .LBB7_806
	s_branch .LBB7_808
.LBB7_805:
	s_branch .LBB7_808
.LBB7_806:                              ; =>This Inner Loop Header: Depth=1
	v_mov_b32_e32 v0, 1
	s_and_saveexec_b64 s[20:21], s[4:5]
	s_cbranch_execz .LBB7_803
; %bb.807:                              ;   in Loop: Header=BB7_806 Depth=1
	global_load_dword v0, v[8:9], off offset:20 glc
	s_waitcnt vmcnt(0)
	buffer_wbinvl1_vol
	v_and_b32_e32 v0, 1, v0
	s_branch .LBB7_803
.LBB7_808:
	global_load_dwordx2 v[2:3], v[6:7], off
	s_and_saveexec_b64 s[20:21], s[4:5]
	s_cbranch_execz .LBB7_811
; %bb.809:
	v_mov_b32_e32 v8, 0
	global_load_dwordx2 v[0:1], v8, s[6:7] offset:40
	global_load_dwordx2 v[9:10], v8, s[6:7] offset:24 glc
	global_load_dwordx2 v[11:12], v8, s[6:7]
	v_mov_b32_e32 v5, s19
	s_mov_b64 s[4:5], 0
	s_waitcnt vmcnt(2)
	v_add_co_u32_e32 v6, vcc, 1, v0
	v_addc_co_u32_e32 v7, vcc, 0, v1, vcc
	v_add_co_u32_e32 v4, vcc, s18, v6
	v_addc_co_u32_e32 v5, vcc, v7, v5, vcc
	v_cmp_eq_u64_e32 vcc, 0, v[4:5]
	v_cndmask_b32_e32 v5, v5, v7, vcc
	v_cndmask_b32_e32 v4, v4, v6, vcc
	v_and_b32_e32 v1, v5, v1
	v_and_b32_e32 v0, v4, v0
	v_mul_lo_u32 v1, v1, 24
	v_mul_hi_u32 v7, v0, 24
	v_mul_lo_u32 v0, v0, 24
	s_waitcnt vmcnt(1)
	v_mov_b32_e32 v6, v9
	v_add_u32_e32 v1, v7, v1
	s_waitcnt vmcnt(0)
	v_add_co_u32_e32 v0, vcc, v11, v0
	v_addc_co_u32_e32 v1, vcc, v12, v1, vcc
	global_store_dwordx2 v[0:1], v[9:10], off
	v_mov_b32_e32 v7, v10
	s_waitcnt vmcnt(0)
	global_atomic_cmpswap_x2 v[6:7], v8, v[4:7], s[6:7] offset:24 glc
	s_waitcnt vmcnt(0)
	v_cmp_ne_u64_e32 vcc, v[6:7], v[9:10]
	s_and_b64 exec, exec, vcc
	s_cbranch_execz .LBB7_811
.LBB7_810:                              ; =>This Inner Loop Header: Depth=1
	s_sleep 1
	global_store_dwordx2 v[0:1], v[6:7], off
	s_waitcnt vmcnt(0)
	global_atomic_cmpswap_x2 v[9:10], v8, v[4:7], s[6:7] offset:24 glc
	s_waitcnt vmcnt(0)
	v_cmp_eq_u64_e32 vcc, v[9:10], v[6:7]
	v_mov_b32_e32 v6, v9
	s_or_b64 s[4:5], vcc, s[4:5]
	v_mov_b32_e32 v7, v10
	s_andn2_b64 exec, exec, s[4:5]
	s_cbranch_execnz .LBB7_810
.LBB7_811:
	s_or_b64 exec, exec, s[20:21]
.LBB7_812:
	v_readfirstlane_b32 s4, v32
	s_waitcnt vmcnt(0)
	v_mov_b32_e32 v0, 0
	v_mov_b32_e32 v1, 0
	v_cmp_eq_u32_e64 s[4:5], s4, v32
	s_and_saveexec_b64 s[18:19], s[4:5]
	s_cbranch_execz .LBB7_818
; %bb.813:
	v_mov_b32_e32 v4, 0
	global_load_dwordx2 v[7:8], v4, s[6:7] offset:24 glc
	s_waitcnt vmcnt(0)
	buffer_wbinvl1_vol
	global_load_dwordx2 v[0:1], v4, s[6:7] offset:40
	global_load_dwordx2 v[5:6], v4, s[6:7]
	s_waitcnt vmcnt(1)
	v_and_b32_e32 v0, v0, v7
	v_and_b32_e32 v1, v1, v8
	v_mul_lo_u32 v1, v1, 24
	v_mul_hi_u32 v9, v0, 24
	v_mul_lo_u32 v0, v0, 24
	v_add_u32_e32 v1, v9, v1
	s_waitcnt vmcnt(0)
	v_add_co_u32_e32 v0, vcc, v5, v0
	v_addc_co_u32_e32 v1, vcc, v6, v1, vcc
	global_load_dwordx2 v[5:6], v[0:1], off glc
	s_waitcnt vmcnt(0)
	global_atomic_cmpswap_x2 v[0:1], v4, v[5:8], s[6:7] offset:24 glc
	s_waitcnt vmcnt(0)
	buffer_wbinvl1_vol
	v_cmp_ne_u64_e32 vcc, v[0:1], v[7:8]
	s_and_saveexec_b64 s[20:21], vcc
	s_cbranch_execz .LBB7_817
; %bb.814:
	s_mov_b64 s[22:23], 0
.LBB7_815:                              ; =>This Inner Loop Header: Depth=1
	s_sleep 1
	global_load_dwordx2 v[5:6], v4, s[6:7] offset:40
	global_load_dwordx2 v[9:10], v4, s[6:7]
	v_mov_b32_e32 v8, v1
	v_mov_b32_e32 v7, v0
	s_waitcnt vmcnt(1)
	v_and_b32_e32 v0, v5, v7
	s_waitcnt vmcnt(0)
	v_mad_u64_u32 v[0:1], s[24:25], v0, 24, v[9:10]
	v_and_b32_e32 v5, v6, v8
	v_mad_u64_u32 v[5:6], s[24:25], v5, 24, v[1:2]
	v_mov_b32_e32 v1, v5
	global_load_dwordx2 v[5:6], v[0:1], off glc
	s_waitcnt vmcnt(0)
	global_atomic_cmpswap_x2 v[0:1], v4, v[5:8], s[6:7] offset:24 glc
	s_waitcnt vmcnt(0)
	buffer_wbinvl1_vol
	v_cmp_eq_u64_e32 vcc, v[0:1], v[7:8]
	s_or_b64 s[22:23], vcc, s[22:23]
	s_andn2_b64 exec, exec, s[22:23]
	s_cbranch_execnz .LBB7_815
; %bb.816:
	s_or_b64 exec, exec, s[22:23]
.LBB7_817:
	s_or_b64 exec, exec, s[20:21]
.LBB7_818:
	s_or_b64 exec, exec, s[18:19]
	v_mov_b32_e32 v5, 0
	global_load_dwordx2 v[10:11], v5, s[6:7] offset:40
	global_load_dwordx4 v[6:9], v5, s[6:7]
	v_readfirstlane_b32 s18, v0
	v_readfirstlane_b32 s19, v1
	s_mov_b64 s[20:21], exec
	s_waitcnt vmcnt(1)
	v_readfirstlane_b32 s22, v10
	v_readfirstlane_b32 s23, v11
	s_and_b64 s[22:23], s[18:19], s[22:23]
	s_mul_i32 s15, s23, 24
	s_mul_hi_u32 s24, s22, 24
	s_mul_i32 s25, s22, 24
	s_add_i32 s15, s24, s15
	v_mov_b32_e32 v0, s15
	s_waitcnt vmcnt(0)
	v_add_co_u32_e32 v10, vcc, s25, v6
	v_addc_co_u32_e32 v11, vcc, v7, v0, vcc
	s_and_saveexec_b64 s[24:25], s[4:5]
	s_cbranch_execz .LBB7_820
; %bb.819:
	v_mov_b32_e32 v12, s20
	v_mov_b32_e32 v13, s21
	v_mov_b32_e32 v14, 2
	v_mov_b32_e32 v15, 1
	global_store_dwordx4 v[10:11], v[12:15], off offset:8
.LBB7_820:
	s_or_b64 exec, exec, s[24:25]
	s_lshl_b64 s[20:21], s[22:23], 12
	v_mov_b32_e32 v0, s21
	v_add_co_u32_e32 v1, vcc, s20, v8
	v_addc_co_u32_e32 v0, vcc, v9, v0, vcc
	s_movk_i32 s15, 0xff1d
	v_and_or_b32 v2, v2, s15, 34
	s_mov_b32 s20, 0
	v_mov_b32_e32 v4, 58
	v_readfirstlane_b32 s24, v1
	v_readfirstlane_b32 s25, v0
	s_mov_b32 s21, s20
	s_mov_b32 s22, s20
	;; [unrolled: 1-line block ×3, first 2 shown]
	s_nop 1
	global_store_dwordx4 v31, v[2:5], s[24:25]
	v_mov_b32_e32 v0, s20
	v_mov_b32_e32 v1, s21
	;; [unrolled: 1-line block ×4, first 2 shown]
	global_store_dwordx4 v31, v[0:3], s[24:25] offset:16
	global_store_dwordx4 v31, v[0:3], s[24:25] offset:32
	;; [unrolled: 1-line block ×3, first 2 shown]
	s_and_saveexec_b64 s[20:21], s[4:5]
	s_cbranch_execz .LBB7_828
; %bb.821:
	v_mov_b32_e32 v8, 0
	global_load_dwordx2 v[14:15], v8, s[6:7] offset:32 glc
	global_load_dwordx2 v[0:1], v8, s[6:7] offset:40
	v_mov_b32_e32 v12, s18
	v_mov_b32_e32 v13, s19
	s_waitcnt vmcnt(0)
	v_readfirstlane_b32 s22, v0
	v_readfirstlane_b32 s23, v1
	s_and_b64 s[22:23], s[22:23], s[18:19]
	s_mul_i32 s15, s23, 24
	s_mul_hi_u32 s23, s22, 24
	s_mul_i32 s22, s22, 24
	s_add_i32 s15, s23, s15
	v_mov_b32_e32 v0, s15
	v_add_co_u32_e32 v4, vcc, s22, v6
	v_addc_co_u32_e32 v5, vcc, v7, v0, vcc
	global_store_dwordx2 v[4:5], v[14:15], off
	s_waitcnt vmcnt(0)
	global_atomic_cmpswap_x2 v[2:3], v8, v[12:15], s[6:7] offset:32 glc
	s_waitcnt vmcnt(0)
	v_cmp_ne_u64_e32 vcc, v[2:3], v[14:15]
	s_and_saveexec_b64 s[22:23], vcc
	s_cbranch_execz .LBB7_824
; %bb.822:
	s_mov_b64 s[24:25], 0
.LBB7_823:                              ; =>This Inner Loop Header: Depth=1
	s_sleep 1
	global_store_dwordx2 v[4:5], v[2:3], off
	v_mov_b32_e32 v0, s18
	v_mov_b32_e32 v1, s19
	s_waitcnt vmcnt(0)
	global_atomic_cmpswap_x2 v[0:1], v8, v[0:3], s[6:7] offset:32 glc
	s_waitcnt vmcnt(0)
	v_cmp_eq_u64_e32 vcc, v[0:1], v[2:3]
	v_mov_b32_e32 v3, v1
	s_or_b64 s[24:25], vcc, s[24:25]
	v_mov_b32_e32 v2, v0
	s_andn2_b64 exec, exec, s[24:25]
	s_cbranch_execnz .LBB7_823
.LBB7_824:
	s_or_b64 exec, exec, s[22:23]
	v_mov_b32_e32 v3, 0
	global_load_dwordx2 v[0:1], v3, s[6:7] offset:16
	s_mov_b64 s[22:23], exec
	v_mbcnt_lo_u32_b32 v2, s22, 0
	v_mbcnt_hi_u32_b32 v2, s23, v2
	v_cmp_eq_u32_e32 vcc, 0, v2
	s_and_saveexec_b64 s[24:25], vcc
	s_cbranch_execz .LBB7_826
; %bb.825:
	s_bcnt1_i32_b64 s15, s[22:23]
	v_mov_b32_e32 v2, s15
	s_waitcnt vmcnt(0)
	global_atomic_add_x2 v[0:1], v[2:3], off offset:8
.LBB7_826:
	s_or_b64 exec, exec, s[24:25]
	s_waitcnt vmcnt(0)
	global_load_dwordx2 v[2:3], v[0:1], off offset:16
	s_waitcnt vmcnt(0)
	v_cmp_eq_u64_e32 vcc, 0, v[2:3]
	s_cbranch_vccnz .LBB7_828
; %bb.827:
	global_load_dword v0, v[0:1], off offset:24
	v_mov_b32_e32 v1, 0
	s_waitcnt vmcnt(0)
	global_store_dwordx2 v[2:3], v[0:1], off
	v_and_b32_e32 v0, 0xffffff, v0
	v_readfirstlane_b32 m0, v0
	s_sendmsg sendmsg(MSG_INTERRUPT)
.LBB7_828:
	s_or_b64 exec, exec, s[20:21]
	s_branch .LBB7_832
.LBB7_829:                              ;   in Loop: Header=BB7_832 Depth=1
	s_or_b64 exec, exec, s[20:21]
	v_readfirstlane_b32 s15, v0
	s_cmp_eq_u32 s15, 0
	s_cbranch_scc1 .LBB7_831
; %bb.830:                              ;   in Loop: Header=BB7_832 Depth=1
	s_sleep 1
	s_cbranch_execnz .LBB7_832
	s_branch .LBB7_834
.LBB7_831:
	s_branch .LBB7_834
.LBB7_832:                              ; =>This Inner Loop Header: Depth=1
	v_mov_b32_e32 v0, 1
	s_and_saveexec_b64 s[20:21], s[4:5]
	s_cbranch_execz .LBB7_829
; %bb.833:                              ;   in Loop: Header=BB7_832 Depth=1
	global_load_dword v0, v[10:11], off offset:20 glc
	s_waitcnt vmcnt(0)
	buffer_wbinvl1_vol
	v_and_b32_e32 v0, 1, v0
	s_branch .LBB7_829
.LBB7_834:
	s_and_saveexec_b64 s[20:21], s[4:5]
	s_cbranch_execz .LBB7_837
; %bb.835:
	v_mov_b32_e32 v6, 0
	global_load_dwordx2 v[2:3], v6, s[6:7] offset:40
	global_load_dwordx2 v[7:8], v6, s[6:7] offset:24 glc
	global_load_dwordx2 v[4:5], v6, s[6:7]
	v_mov_b32_e32 v1, s19
	s_mov_b64 s[4:5], 0
	s_waitcnt vmcnt(2)
	v_add_co_u32_e32 v9, vcc, 1, v2
	v_addc_co_u32_e32 v10, vcc, 0, v3, vcc
	v_add_co_u32_e32 v0, vcc, s18, v9
	v_addc_co_u32_e32 v1, vcc, v10, v1, vcc
	v_cmp_eq_u64_e32 vcc, 0, v[0:1]
	v_cndmask_b32_e32 v1, v1, v10, vcc
	v_cndmask_b32_e32 v0, v0, v9, vcc
	v_and_b32_e32 v3, v1, v3
	v_and_b32_e32 v2, v0, v2
	v_mul_lo_u32 v3, v3, 24
	v_mul_hi_u32 v9, v2, 24
	v_mul_lo_u32 v10, v2, 24
	s_waitcnt vmcnt(1)
	v_mov_b32_e32 v2, v7
	v_add_u32_e32 v3, v9, v3
	s_waitcnt vmcnt(0)
	v_add_co_u32_e32 v4, vcc, v4, v10
	v_addc_co_u32_e32 v5, vcc, v5, v3, vcc
	global_store_dwordx2 v[4:5], v[7:8], off
	v_mov_b32_e32 v3, v8
	s_waitcnt vmcnt(0)
	global_atomic_cmpswap_x2 v[2:3], v6, v[0:3], s[6:7] offset:24 glc
	s_waitcnt vmcnt(0)
	v_cmp_ne_u64_e32 vcc, v[2:3], v[7:8]
	s_and_b64 exec, exec, vcc
	s_cbranch_execz .LBB7_837
.LBB7_836:                              ; =>This Inner Loop Header: Depth=1
	s_sleep 1
	global_store_dwordx2 v[4:5], v[2:3], off
	s_waitcnt vmcnt(0)
	global_atomic_cmpswap_x2 v[7:8], v6, v[0:3], s[6:7] offset:24 glc
	s_waitcnt vmcnt(0)
	v_cmp_eq_u64_e32 vcc, v[7:8], v[2:3]
	v_mov_b32_e32 v2, v7
	s_or_b64 s[4:5], vcc, s[4:5]
	v_mov_b32_e32 v3, v8
	s_andn2_b64 exec, exec, s[4:5]
	s_cbranch_execnz .LBB7_836
.LBB7_837:
	s_or_b64 exec, exec, s[20:21]
	v_readfirstlane_b32 s4, v32
	v_mov_b32_e32 v5, 0
	v_mov_b32_e32 v6, 0
	v_cmp_eq_u32_e64 s[4:5], s4, v32
	s_and_saveexec_b64 s[18:19], s[4:5]
	s_cbranch_execz .LBB7_843
; %bb.838:
	v_mov_b32_e32 v0, 0
	global_load_dwordx2 v[3:4], v0, s[6:7] offset:24 glc
	s_waitcnt vmcnt(0)
	buffer_wbinvl1_vol
	global_load_dwordx2 v[1:2], v0, s[6:7] offset:40
	global_load_dwordx2 v[5:6], v0, s[6:7]
	s_waitcnt vmcnt(1)
	v_and_b32_e32 v1, v1, v3
	v_and_b32_e32 v2, v2, v4
	v_mul_lo_u32 v2, v2, 24
	v_mul_hi_u32 v7, v1, 24
	v_mul_lo_u32 v1, v1, 24
	v_add_u32_e32 v2, v7, v2
	s_waitcnt vmcnt(0)
	v_add_co_u32_e32 v1, vcc, v5, v1
	v_addc_co_u32_e32 v2, vcc, v6, v2, vcc
	global_load_dwordx2 v[1:2], v[1:2], off glc
	s_waitcnt vmcnt(0)
	global_atomic_cmpswap_x2 v[5:6], v0, v[1:4], s[6:7] offset:24 glc
	s_waitcnt vmcnt(0)
	buffer_wbinvl1_vol
	v_cmp_ne_u64_e32 vcc, v[5:6], v[3:4]
	s_and_saveexec_b64 s[20:21], vcc
	s_cbranch_execz .LBB7_842
; %bb.839:
	s_mov_b64 s[22:23], 0
.LBB7_840:                              ; =>This Inner Loop Header: Depth=1
	s_sleep 1
	global_load_dwordx2 v[1:2], v0, s[6:7] offset:40
	global_load_dwordx2 v[7:8], v0, s[6:7]
	v_mov_b32_e32 v3, v5
	v_mov_b32_e32 v4, v6
	s_waitcnt vmcnt(1)
	v_and_b32_e32 v1, v1, v3
	s_waitcnt vmcnt(0)
	v_mad_u64_u32 v[5:6], s[24:25], v1, 24, v[7:8]
	v_and_b32_e32 v2, v2, v4
	v_mov_b32_e32 v1, v6
	v_mad_u64_u32 v[1:2], s[24:25], v2, 24, v[1:2]
	v_mov_b32_e32 v6, v1
	global_load_dwordx2 v[1:2], v[5:6], off glc
	s_waitcnt vmcnt(0)
	global_atomic_cmpswap_x2 v[5:6], v0, v[1:4], s[6:7] offset:24 glc
	s_waitcnt vmcnt(0)
	buffer_wbinvl1_vol
	v_cmp_eq_u64_e32 vcc, v[5:6], v[3:4]
	s_or_b64 s[22:23], vcc, s[22:23]
	s_andn2_b64 exec, exec, s[22:23]
	s_cbranch_execnz .LBB7_840
; %bb.841:
	s_or_b64 exec, exec, s[22:23]
.LBB7_842:
	s_or_b64 exec, exec, s[20:21]
.LBB7_843:
	s_or_b64 exec, exec, s[18:19]
	v_mov_b32_e32 v4, 0
	global_load_dwordx2 v[7:8], v4, s[6:7] offset:40
	global_load_dwordx4 v[0:3], v4, s[6:7]
	v_readfirstlane_b32 s18, v5
	v_readfirstlane_b32 s19, v6
	s_mov_b64 s[20:21], exec
	s_waitcnt vmcnt(1)
	v_readfirstlane_b32 s22, v7
	v_readfirstlane_b32 s23, v8
	s_and_b64 s[22:23], s[18:19], s[22:23]
	s_mul_i32 s15, s23, 24
	s_mul_hi_u32 s24, s22, 24
	s_mul_i32 s25, s22, 24
	s_add_i32 s15, s24, s15
	v_mov_b32_e32 v5, s15
	s_waitcnt vmcnt(0)
	v_add_co_u32_e32 v7, vcc, s25, v0
	v_addc_co_u32_e32 v8, vcc, v1, v5, vcc
	s_and_saveexec_b64 s[24:25], s[4:5]
	s_cbranch_execz .LBB7_845
; %bb.844:
	v_mov_b32_e32 v9, s20
	v_mov_b32_e32 v10, s21
	;; [unrolled: 1-line block ×4, first 2 shown]
	global_store_dwordx4 v[7:8], v[9:12], off offset:8
.LBB7_845:
	s_or_b64 exec, exec, s[24:25]
	s_lshl_b64 s[20:21], s[22:23], 12
	v_mov_b32_e32 v5, s21
	v_add_co_u32_e32 v2, vcc, s20, v2
	v_addc_co_u32_e32 v11, vcc, v3, v5, vcc
	s_mov_b32 s20, 0
	v_mov_b32_e32 v3, 33
	v_mov_b32_e32 v5, v4
	;; [unrolled: 1-line block ×3, first 2 shown]
	v_readfirstlane_b32 s24, v2
	v_readfirstlane_b32 s25, v11
	v_add_co_u32_e32 v9, vcc, v2, v31
	s_mov_b32 s21, s20
	s_mov_b32 s22, s20
	;; [unrolled: 1-line block ×3, first 2 shown]
	s_nop 0
	global_store_dwordx4 v31, v[3:6], s[24:25]
	v_mov_b32_e32 v2, s20
	v_addc_co_u32_e32 v10, vcc, 0, v11, vcc
	v_mov_b32_e32 v3, s21
	v_mov_b32_e32 v4, s22
	;; [unrolled: 1-line block ×3, first 2 shown]
	global_store_dwordx4 v31, v[2:5], s[24:25] offset:16
	global_store_dwordx4 v31, v[2:5], s[24:25] offset:32
	;; [unrolled: 1-line block ×3, first 2 shown]
	s_and_saveexec_b64 s[20:21], s[4:5]
	s_cbranch_execz .LBB7_853
; %bb.846:
	v_mov_b32_e32 v6, 0
	global_load_dwordx2 v[13:14], v6, s[6:7] offset:32 glc
	global_load_dwordx2 v[2:3], v6, s[6:7] offset:40
	v_mov_b32_e32 v11, s18
	v_mov_b32_e32 v12, s19
	s_waitcnt vmcnt(0)
	v_readfirstlane_b32 s22, v2
	v_readfirstlane_b32 s23, v3
	s_and_b64 s[22:23], s[22:23], s[18:19]
	s_mul_i32 s15, s23, 24
	s_mul_hi_u32 s23, s22, 24
	s_mul_i32 s22, s22, 24
	s_add_i32 s15, s23, s15
	v_mov_b32_e32 v2, s15
	v_add_co_u32_e32 v4, vcc, s22, v0
	v_addc_co_u32_e32 v5, vcc, v1, v2, vcc
	global_store_dwordx2 v[4:5], v[13:14], off
	s_waitcnt vmcnt(0)
	global_atomic_cmpswap_x2 v[2:3], v6, v[11:14], s[6:7] offset:32 glc
	s_waitcnt vmcnt(0)
	v_cmp_ne_u64_e32 vcc, v[2:3], v[13:14]
	s_and_saveexec_b64 s[22:23], vcc
	s_cbranch_execz .LBB7_849
; %bb.847:
	s_mov_b64 s[24:25], 0
.LBB7_848:                              ; =>This Inner Loop Header: Depth=1
	s_sleep 1
	global_store_dwordx2 v[4:5], v[2:3], off
	v_mov_b32_e32 v0, s18
	v_mov_b32_e32 v1, s19
	s_waitcnt vmcnt(0)
	global_atomic_cmpswap_x2 v[0:1], v6, v[0:3], s[6:7] offset:32 glc
	s_waitcnt vmcnt(0)
	v_cmp_eq_u64_e32 vcc, v[0:1], v[2:3]
	v_mov_b32_e32 v3, v1
	s_or_b64 s[24:25], vcc, s[24:25]
	v_mov_b32_e32 v2, v0
	s_andn2_b64 exec, exec, s[24:25]
	s_cbranch_execnz .LBB7_848
.LBB7_849:
	s_or_b64 exec, exec, s[22:23]
	v_mov_b32_e32 v3, 0
	global_load_dwordx2 v[0:1], v3, s[6:7] offset:16
	s_mov_b64 s[22:23], exec
	v_mbcnt_lo_u32_b32 v2, s22, 0
	v_mbcnt_hi_u32_b32 v2, s23, v2
	v_cmp_eq_u32_e32 vcc, 0, v2
	s_and_saveexec_b64 s[24:25], vcc
	s_cbranch_execz .LBB7_851
; %bb.850:
	s_bcnt1_i32_b64 s15, s[22:23]
	v_mov_b32_e32 v2, s15
	s_waitcnt vmcnt(0)
	global_atomic_add_x2 v[0:1], v[2:3], off offset:8
.LBB7_851:
	s_or_b64 exec, exec, s[24:25]
	s_waitcnt vmcnt(0)
	global_load_dwordx2 v[2:3], v[0:1], off offset:16
	s_waitcnt vmcnt(0)
	v_cmp_eq_u64_e32 vcc, 0, v[2:3]
	s_cbranch_vccnz .LBB7_853
; %bb.852:
	global_load_dword v0, v[0:1], off offset:24
	v_mov_b32_e32 v1, 0
	s_waitcnt vmcnt(0)
	global_store_dwordx2 v[2:3], v[0:1], off
	v_and_b32_e32 v0, 0xffffff, v0
	v_readfirstlane_b32 m0, v0
	s_sendmsg sendmsg(MSG_INTERRUPT)
.LBB7_853:
	s_or_b64 exec, exec, s[20:21]
	s_branch .LBB7_857
.LBB7_854:                              ;   in Loop: Header=BB7_857 Depth=1
	s_or_b64 exec, exec, s[20:21]
	v_readfirstlane_b32 s15, v0
	s_cmp_eq_u32 s15, 0
	s_cbranch_scc1 .LBB7_856
; %bb.855:                              ;   in Loop: Header=BB7_857 Depth=1
	s_sleep 1
	s_cbranch_execnz .LBB7_857
	s_branch .LBB7_859
.LBB7_856:
	s_branch .LBB7_859
.LBB7_857:                              ; =>This Inner Loop Header: Depth=1
	v_mov_b32_e32 v0, 1
	s_and_saveexec_b64 s[20:21], s[4:5]
	s_cbranch_execz .LBB7_854
; %bb.858:                              ;   in Loop: Header=BB7_857 Depth=1
	global_load_dword v0, v[7:8], off offset:20 glc
	s_waitcnt vmcnt(0)
	buffer_wbinvl1_vol
	v_and_b32_e32 v0, 1, v0
	s_branch .LBB7_854
.LBB7_859:
	global_load_dwordx2 v[0:1], v[9:10], off
	s_and_saveexec_b64 s[20:21], s[4:5]
	s_cbranch_execz .LBB7_862
; %bb.860:
	v_mov_b32_e32 v8, 0
	global_load_dwordx2 v[4:5], v8, s[6:7] offset:40
	global_load_dwordx2 v[9:10], v8, s[6:7] offset:24 glc
	global_load_dwordx2 v[6:7], v8, s[6:7]
	v_mov_b32_e32 v3, s19
	s_mov_b64 s[4:5], 0
	s_waitcnt vmcnt(2)
	v_add_co_u32_e32 v11, vcc, 1, v4
	v_addc_co_u32_e32 v12, vcc, 0, v5, vcc
	v_add_co_u32_e32 v2, vcc, s18, v11
	v_addc_co_u32_e32 v3, vcc, v12, v3, vcc
	v_cmp_eq_u64_e32 vcc, 0, v[2:3]
	v_cndmask_b32_e32 v3, v3, v12, vcc
	v_cndmask_b32_e32 v2, v2, v11, vcc
	v_and_b32_e32 v5, v3, v5
	v_and_b32_e32 v4, v2, v4
	v_mul_lo_u32 v5, v5, 24
	v_mul_hi_u32 v11, v4, 24
	v_mul_lo_u32 v12, v4, 24
	s_waitcnt vmcnt(1)
	v_mov_b32_e32 v4, v9
	v_add_u32_e32 v5, v11, v5
	s_waitcnt vmcnt(0)
	v_add_co_u32_e32 v6, vcc, v6, v12
	v_addc_co_u32_e32 v7, vcc, v7, v5, vcc
	global_store_dwordx2 v[6:7], v[9:10], off
	v_mov_b32_e32 v5, v10
	s_waitcnt vmcnt(0)
	global_atomic_cmpswap_x2 v[4:5], v8, v[2:5], s[6:7] offset:24 glc
	s_waitcnt vmcnt(0)
	v_cmp_ne_u64_e32 vcc, v[4:5], v[9:10]
	s_and_b64 exec, exec, vcc
	s_cbranch_execz .LBB7_862
.LBB7_861:                              ; =>This Inner Loop Header: Depth=1
	s_sleep 1
	global_store_dwordx2 v[6:7], v[4:5], off
	s_waitcnt vmcnt(0)
	global_atomic_cmpswap_x2 v[9:10], v8, v[2:5], s[6:7] offset:24 glc
	s_waitcnt vmcnt(0)
	v_cmp_eq_u64_e32 vcc, v[9:10], v[4:5]
	v_mov_b32_e32 v4, v9
	s_or_b64 s[4:5], vcc, s[4:5]
	v_mov_b32_e32 v5, v10
	s_andn2_b64 exec, exec, s[4:5]
	s_cbranch_execnz .LBB7_861
.LBB7_862:
	s_or_b64 exec, exec, s[20:21]
	s_getpc_b64 s[18:19]
	s_add_u32 s18, s18, .str.7@rel32@lo+4
	s_addc_u32 s19, s19, .str.7@rel32@hi+12
	s_cmp_lg_u64 s[18:19], 0
	s_cbranch_scc0 .LBB7_947
; %bb.863:
	s_waitcnt vmcnt(0)
	v_and_b32_e32 v33, 2, v0
	v_mov_b32_e32 v28, 0
	v_and_b32_e32 v2, -3, v0
	v_mov_b32_e32 v3, v1
	s_mov_b64 s[20:21], 4
	v_mov_b32_e32 v6, 2
	v_mov_b32_e32 v7, 1
	s_branch .LBB7_865
.LBB7_864:                              ;   in Loop: Header=BB7_865 Depth=1
	s_or_b64 exec, exec, s[26:27]
	s_sub_u32 s20, s20, s22
	s_subb_u32 s21, s21, s23
	s_add_u32 s18, s18, s22
	s_addc_u32 s19, s19, s23
	s_cmp_lg_u64 s[20:21], 0
	s_cbranch_scc0 .LBB7_946
.LBB7_865:                              ; =>This Loop Header: Depth=1
                                        ;     Child Loop BB7_868 Depth 2
                                        ;     Child Loop BB7_875 Depth 2
	;; [unrolled: 1-line block ×11, first 2 shown]
	v_cmp_lt_u64_e64 s[4:5], s[20:21], 56
	v_cmp_gt_u64_e64 s[24:25], s[20:21], 7
	s_and_b64 s[4:5], s[4:5], exec
	s_cselect_b32 s23, s21, 0
	s_cselect_b32 s22, s20, 56
	s_and_b64 vcc, exec, s[24:25]
	s_cbranch_vccnz .LBB7_870
; %bb.866:                              ;   in Loop: Header=BB7_865 Depth=1
	v_mov_b32_e32 v10, 0
	s_cmp_eq_u64 s[20:21], 0
	v_mov_b32_e32 v11, 0
	s_mov_b64 s[4:5], 0
	s_cbranch_scc1 .LBB7_869
; %bb.867:                              ;   in Loop: Header=BB7_865 Depth=1
	v_mov_b32_e32 v10, 0
	s_lshl_b64 s[24:25], s[22:23], 3
	s_mov_b64 s[26:27], 0
	v_mov_b32_e32 v11, 0
	s_mov_b64 s[28:29], s[18:19]
.LBB7_868:                              ;   Parent Loop BB7_865 Depth=1
                                        ; =>  This Inner Loop Header: Depth=2
	global_load_ubyte v4, v28, s[28:29]
	s_waitcnt vmcnt(0)
	v_and_b32_e32 v27, 0xffff, v4
	v_lshlrev_b64 v[4:5], s26, v[27:28]
	s_add_u32 s26, s26, 8
	s_addc_u32 s27, s27, 0
	s_add_u32 s28, s28, 1
	s_addc_u32 s29, s29, 0
	v_or_b32_e32 v10, v4, v10
	s_cmp_lg_u32 s24, s26
	v_or_b32_e32 v11, v5, v11
	s_cbranch_scc1 .LBB7_868
.LBB7_869:                              ;   in Loop: Header=BB7_865 Depth=1
	s_mov_b32 s15, 0
	s_andn2_b64 vcc, exec, s[4:5]
	s_mov_b64 s[4:5], s[18:19]
	s_cbranch_vccz .LBB7_871
	s_branch .LBB7_872
.LBB7_870:                              ;   in Loop: Header=BB7_865 Depth=1
                                        ; implicit-def: $vgpr10_vgpr11
                                        ; implicit-def: $sgpr15
	s_mov_b64 s[4:5], s[18:19]
.LBB7_871:                              ;   in Loop: Header=BB7_865 Depth=1
	global_load_dwordx2 v[10:11], v28, s[18:19]
	s_add_i32 s15, s22, -8
	s_add_u32 s4, s18, 8
	s_addc_u32 s5, s19, 0
.LBB7_872:                              ;   in Loop: Header=BB7_865 Depth=1
	s_cmp_gt_u32 s15, 7
	s_cbranch_scc1 .LBB7_876
; %bb.873:                              ;   in Loop: Header=BB7_865 Depth=1
	s_cmp_eq_u32 s15, 0
	s_cbranch_scc1 .LBB7_877
; %bb.874:                              ;   in Loop: Header=BB7_865 Depth=1
	v_mov_b32_e32 v12, 0
	s_mov_b64 s[24:25], 0
	v_mov_b32_e32 v13, 0
	s_mov_b64 s[26:27], 0
.LBB7_875:                              ;   Parent Loop BB7_865 Depth=1
                                        ; =>  This Inner Loop Header: Depth=2
	s_add_u32 s28, s4, s26
	s_addc_u32 s29, s5, s27
	global_load_ubyte v4, v28, s[28:29]
	s_add_u32 s26, s26, 1
	s_addc_u32 s27, s27, 0
	s_waitcnt vmcnt(0)
	v_and_b32_e32 v27, 0xffff, v4
	v_lshlrev_b64 v[4:5], s24, v[27:28]
	s_add_u32 s24, s24, 8
	s_addc_u32 s25, s25, 0
	v_or_b32_e32 v12, v4, v12
	s_cmp_lg_u32 s15, s26
	v_or_b32_e32 v13, v5, v13
	s_cbranch_scc1 .LBB7_875
	s_branch .LBB7_878
.LBB7_876:                              ;   in Loop: Header=BB7_865 Depth=1
                                        ; implicit-def: $vgpr12_vgpr13
                                        ; implicit-def: $sgpr28
	s_branch .LBB7_879
.LBB7_877:                              ;   in Loop: Header=BB7_865 Depth=1
	v_mov_b32_e32 v12, 0
	v_mov_b32_e32 v13, 0
.LBB7_878:                              ;   in Loop: Header=BB7_865 Depth=1
	s_mov_b32 s28, 0
	s_cbranch_execnz .LBB7_880
.LBB7_879:                              ;   in Loop: Header=BB7_865 Depth=1
	global_load_dwordx2 v[12:13], v28, s[4:5]
	s_add_i32 s28, s15, -8
	s_add_u32 s4, s4, 8
	s_addc_u32 s5, s5, 0
.LBB7_880:                              ;   in Loop: Header=BB7_865 Depth=1
	s_cmp_gt_u32 s28, 7
	s_cbranch_scc1 .LBB7_884
; %bb.881:                              ;   in Loop: Header=BB7_865 Depth=1
	s_cmp_eq_u32 s28, 0
	s_cbranch_scc1 .LBB7_885
; %bb.882:                              ;   in Loop: Header=BB7_865 Depth=1
	v_mov_b32_e32 v14, 0
	s_mov_b64 s[24:25], 0
	v_mov_b32_e32 v15, 0
	s_mov_b64 s[26:27], 0
.LBB7_883:                              ;   Parent Loop BB7_865 Depth=1
                                        ; =>  This Inner Loop Header: Depth=2
	s_add_u32 vcc_lo, s4, s26
	s_addc_u32 vcc_hi, s5, s27
	global_load_ubyte v4, v28, vcc
	s_add_u32 s26, s26, 1
	s_addc_u32 s27, s27, 0
	s_waitcnt vmcnt(0)
	v_and_b32_e32 v27, 0xffff, v4
	v_lshlrev_b64 v[4:5], s24, v[27:28]
	s_add_u32 s24, s24, 8
	s_addc_u32 s25, s25, 0
	v_or_b32_e32 v14, v4, v14
	s_cmp_lg_u32 s28, s26
	v_or_b32_e32 v15, v5, v15
	s_cbranch_scc1 .LBB7_883
	s_branch .LBB7_886
.LBB7_884:                              ;   in Loop: Header=BB7_865 Depth=1
                                        ; implicit-def: $sgpr15
	s_branch .LBB7_887
.LBB7_885:                              ;   in Loop: Header=BB7_865 Depth=1
	v_mov_b32_e32 v14, 0
	v_mov_b32_e32 v15, 0
.LBB7_886:                              ;   in Loop: Header=BB7_865 Depth=1
	s_mov_b32 s15, 0
	s_cbranch_execnz .LBB7_888
.LBB7_887:                              ;   in Loop: Header=BB7_865 Depth=1
	global_load_dwordx2 v[14:15], v28, s[4:5]
	s_add_i32 s15, s28, -8
	s_add_u32 s4, s4, 8
	s_addc_u32 s5, s5, 0
.LBB7_888:                              ;   in Loop: Header=BB7_865 Depth=1
	s_cmp_gt_u32 s15, 7
	s_cbranch_scc1 .LBB7_892
; %bb.889:                              ;   in Loop: Header=BB7_865 Depth=1
	s_cmp_eq_u32 s15, 0
	s_cbranch_scc1 .LBB7_893
; %bb.890:                              ;   in Loop: Header=BB7_865 Depth=1
	v_mov_b32_e32 v16, 0
	s_mov_b64 s[24:25], 0
	v_mov_b32_e32 v17, 0
	s_mov_b64 s[26:27], 0
.LBB7_891:                              ;   Parent Loop BB7_865 Depth=1
                                        ; =>  This Inner Loop Header: Depth=2
	s_add_u32 s28, s4, s26
	s_addc_u32 s29, s5, s27
	global_load_ubyte v4, v28, s[28:29]
	s_add_u32 s26, s26, 1
	s_addc_u32 s27, s27, 0
	s_waitcnt vmcnt(0)
	v_and_b32_e32 v27, 0xffff, v4
	v_lshlrev_b64 v[4:5], s24, v[27:28]
	s_add_u32 s24, s24, 8
	s_addc_u32 s25, s25, 0
	v_or_b32_e32 v16, v4, v16
	s_cmp_lg_u32 s15, s26
	v_or_b32_e32 v17, v5, v17
	s_cbranch_scc1 .LBB7_891
	s_branch .LBB7_894
.LBB7_892:                              ;   in Loop: Header=BB7_865 Depth=1
                                        ; implicit-def: $vgpr16_vgpr17
                                        ; implicit-def: $sgpr28
	s_branch .LBB7_895
.LBB7_893:                              ;   in Loop: Header=BB7_865 Depth=1
	v_mov_b32_e32 v16, 0
	v_mov_b32_e32 v17, 0
.LBB7_894:                              ;   in Loop: Header=BB7_865 Depth=1
	s_mov_b32 s28, 0
	s_cbranch_execnz .LBB7_896
.LBB7_895:                              ;   in Loop: Header=BB7_865 Depth=1
	global_load_dwordx2 v[16:17], v28, s[4:5]
	s_add_i32 s28, s15, -8
	s_add_u32 s4, s4, 8
	s_addc_u32 s5, s5, 0
.LBB7_896:                              ;   in Loop: Header=BB7_865 Depth=1
	s_cmp_gt_u32 s28, 7
	s_cbranch_scc1 .LBB7_900
; %bb.897:                              ;   in Loop: Header=BB7_865 Depth=1
	s_cmp_eq_u32 s28, 0
	s_cbranch_scc1 .LBB7_901
; %bb.898:                              ;   in Loop: Header=BB7_865 Depth=1
	v_mov_b32_e32 v18, 0
	s_mov_b64 s[24:25], 0
	v_mov_b32_e32 v19, 0
	s_mov_b64 s[26:27], 0
.LBB7_899:                              ;   Parent Loop BB7_865 Depth=1
                                        ; =>  This Inner Loop Header: Depth=2
	s_add_u32 vcc_lo, s4, s26
	s_addc_u32 vcc_hi, s5, s27
	global_load_ubyte v4, v28, vcc
	s_add_u32 s26, s26, 1
	s_addc_u32 s27, s27, 0
	s_waitcnt vmcnt(0)
	v_and_b32_e32 v27, 0xffff, v4
	v_lshlrev_b64 v[4:5], s24, v[27:28]
	s_add_u32 s24, s24, 8
	s_addc_u32 s25, s25, 0
	v_or_b32_e32 v18, v4, v18
	s_cmp_lg_u32 s28, s26
	v_or_b32_e32 v19, v5, v19
	s_cbranch_scc1 .LBB7_899
	s_branch .LBB7_902
.LBB7_900:                              ;   in Loop: Header=BB7_865 Depth=1
                                        ; implicit-def: $sgpr15
	s_branch .LBB7_903
.LBB7_901:                              ;   in Loop: Header=BB7_865 Depth=1
	v_mov_b32_e32 v18, 0
	v_mov_b32_e32 v19, 0
.LBB7_902:                              ;   in Loop: Header=BB7_865 Depth=1
	s_mov_b32 s15, 0
	s_cbranch_execnz .LBB7_904
.LBB7_903:                              ;   in Loop: Header=BB7_865 Depth=1
	global_load_dwordx2 v[18:19], v28, s[4:5]
	s_add_i32 s15, s28, -8
	s_add_u32 s4, s4, 8
	s_addc_u32 s5, s5, 0
.LBB7_904:                              ;   in Loop: Header=BB7_865 Depth=1
	s_cmp_gt_u32 s15, 7
	s_cbranch_scc1 .LBB7_908
; %bb.905:                              ;   in Loop: Header=BB7_865 Depth=1
	s_cmp_eq_u32 s15, 0
	s_cbranch_scc1 .LBB7_909
; %bb.906:                              ;   in Loop: Header=BB7_865 Depth=1
	v_mov_b32_e32 v20, 0
	s_mov_b64 s[24:25], 0
	v_mov_b32_e32 v21, 0
	s_mov_b64 s[26:27], 0
.LBB7_907:                              ;   Parent Loop BB7_865 Depth=1
                                        ; =>  This Inner Loop Header: Depth=2
	s_add_u32 s28, s4, s26
	s_addc_u32 s29, s5, s27
	global_load_ubyte v4, v28, s[28:29]
	s_add_u32 s26, s26, 1
	s_addc_u32 s27, s27, 0
	s_waitcnt vmcnt(0)
	v_and_b32_e32 v27, 0xffff, v4
	v_lshlrev_b64 v[4:5], s24, v[27:28]
	s_add_u32 s24, s24, 8
	s_addc_u32 s25, s25, 0
	v_or_b32_e32 v20, v4, v20
	s_cmp_lg_u32 s15, s26
	v_or_b32_e32 v21, v5, v21
	s_cbranch_scc1 .LBB7_907
	s_branch .LBB7_910
.LBB7_908:                              ;   in Loop: Header=BB7_865 Depth=1
                                        ; implicit-def: $vgpr20_vgpr21
                                        ; implicit-def: $sgpr28
	s_branch .LBB7_911
.LBB7_909:                              ;   in Loop: Header=BB7_865 Depth=1
	v_mov_b32_e32 v20, 0
	v_mov_b32_e32 v21, 0
.LBB7_910:                              ;   in Loop: Header=BB7_865 Depth=1
	s_mov_b32 s28, 0
	s_cbranch_execnz .LBB7_912
.LBB7_911:                              ;   in Loop: Header=BB7_865 Depth=1
	global_load_dwordx2 v[20:21], v28, s[4:5]
	s_add_i32 s28, s15, -8
	s_add_u32 s4, s4, 8
	s_addc_u32 s5, s5, 0
.LBB7_912:                              ;   in Loop: Header=BB7_865 Depth=1
	s_cmp_gt_u32 s28, 7
	s_cbranch_scc1 .LBB7_916
; %bb.913:                              ;   in Loop: Header=BB7_865 Depth=1
	s_cmp_eq_u32 s28, 0
	s_cbranch_scc1 .LBB7_917
; %bb.914:                              ;   in Loop: Header=BB7_865 Depth=1
	v_mov_b32_e32 v22, 0
	s_mov_b64 s[24:25], 0
	v_mov_b32_e32 v23, 0
	s_mov_b64 s[26:27], s[4:5]
.LBB7_915:                              ;   Parent Loop BB7_865 Depth=1
                                        ; =>  This Inner Loop Header: Depth=2
	global_load_ubyte v4, v28, s[26:27]
	s_add_i32 s28, s28, -1
	s_waitcnt vmcnt(0)
	v_and_b32_e32 v27, 0xffff, v4
	v_lshlrev_b64 v[4:5], s24, v[27:28]
	s_add_u32 s24, s24, 8
	s_addc_u32 s25, s25, 0
	s_add_u32 s26, s26, 1
	s_addc_u32 s27, s27, 0
	v_or_b32_e32 v22, v4, v22
	s_cmp_lg_u32 s28, 0
	v_or_b32_e32 v23, v5, v23
	s_cbranch_scc1 .LBB7_915
	s_branch .LBB7_918
.LBB7_916:                              ;   in Loop: Header=BB7_865 Depth=1
	s_branch .LBB7_919
.LBB7_917:                              ;   in Loop: Header=BB7_865 Depth=1
	v_mov_b32_e32 v22, 0
	v_mov_b32_e32 v23, 0
.LBB7_918:                              ;   in Loop: Header=BB7_865 Depth=1
	s_cbranch_execnz .LBB7_920
.LBB7_919:                              ;   in Loop: Header=BB7_865 Depth=1
	global_load_dwordx2 v[22:23], v28, s[4:5]
.LBB7_920:                              ;   in Loop: Header=BB7_865 Depth=1
	v_readfirstlane_b32 s4, v32
	s_waitcnt vmcnt(0)
	v_mov_b32_e32 v4, 0
	v_mov_b32_e32 v5, 0
	v_cmp_eq_u32_e64 s[4:5], s4, v32
	s_and_saveexec_b64 s[24:25], s[4:5]
	s_cbranch_execz .LBB7_926
; %bb.921:                              ;   in Loop: Header=BB7_865 Depth=1
	global_load_dwordx2 v[26:27], v28, s[6:7] offset:24 glc
	s_waitcnt vmcnt(0)
	buffer_wbinvl1_vol
	global_load_dwordx2 v[4:5], v28, s[6:7] offset:40
	global_load_dwordx2 v[8:9], v28, s[6:7]
	s_waitcnt vmcnt(1)
	v_and_b32_e32 v4, v4, v26
	v_and_b32_e32 v5, v5, v27
	v_mul_lo_u32 v5, v5, 24
	v_mul_hi_u32 v24, v4, 24
	v_mul_lo_u32 v4, v4, 24
	v_add_u32_e32 v5, v24, v5
	s_waitcnt vmcnt(0)
	v_add_co_u32_e32 v4, vcc, v8, v4
	v_addc_co_u32_e32 v5, vcc, v9, v5, vcc
	global_load_dwordx2 v[24:25], v[4:5], off glc
	s_waitcnt vmcnt(0)
	global_atomic_cmpswap_x2 v[4:5], v28, v[24:27], s[6:7] offset:24 glc
	s_waitcnt vmcnt(0)
	buffer_wbinvl1_vol
	v_cmp_ne_u64_e32 vcc, v[4:5], v[26:27]
	s_and_saveexec_b64 s[26:27], vcc
	s_cbranch_execz .LBB7_925
; %bb.922:                              ;   in Loop: Header=BB7_865 Depth=1
	s_mov_b64 s[28:29], 0
.LBB7_923:                              ;   Parent Loop BB7_865 Depth=1
                                        ; =>  This Inner Loop Header: Depth=2
	s_sleep 1
	global_load_dwordx2 v[8:9], v28, s[6:7] offset:40
	global_load_dwordx2 v[24:25], v28, s[6:7]
	v_mov_b32_e32 v27, v5
	v_mov_b32_e32 v26, v4
	s_waitcnt vmcnt(1)
	v_and_b32_e32 v4, v8, v26
	s_waitcnt vmcnt(0)
	v_mad_u64_u32 v[4:5], vcc, v4, 24, v[24:25]
	v_and_b32_e32 v8, v9, v27
	v_mad_u64_u32 v[8:9], vcc, v8, 24, v[5:6]
	v_mov_b32_e32 v5, v8
	global_load_dwordx2 v[24:25], v[4:5], off glc
	s_waitcnt vmcnt(0)
	global_atomic_cmpswap_x2 v[4:5], v28, v[24:27], s[6:7] offset:24 glc
	s_waitcnt vmcnt(0)
	buffer_wbinvl1_vol
	v_cmp_eq_u64_e32 vcc, v[4:5], v[26:27]
	s_or_b64 s[28:29], vcc, s[28:29]
	s_andn2_b64 exec, exec, s[28:29]
	s_cbranch_execnz .LBB7_923
; %bb.924:                              ;   in Loop: Header=BB7_865 Depth=1
	s_or_b64 exec, exec, s[28:29]
.LBB7_925:                              ;   in Loop: Header=BB7_865 Depth=1
	s_or_b64 exec, exec, s[26:27]
.LBB7_926:                              ;   in Loop: Header=BB7_865 Depth=1
	s_or_b64 exec, exec, s[24:25]
	global_load_dwordx2 v[8:9], v28, s[6:7] offset:40
	global_load_dwordx4 v[24:27], v28, s[6:7]
	v_readfirstlane_b32 s24, v4
	v_readfirstlane_b32 s25, v5
	s_mov_b64 s[26:27], exec
	s_waitcnt vmcnt(1)
	v_readfirstlane_b32 s28, v8
	v_readfirstlane_b32 s29, v9
	s_and_b64 s[28:29], s[24:25], s[28:29]
	s_mul_i32 s15, s29, 24
	s_mul_hi_u32 vcc_lo, s28, 24
	s_mul_i32 vcc_hi, s28, 24
	s_add_i32 s15, vcc_lo, s15
	v_mov_b32_e32 v4, s15
	s_waitcnt vmcnt(0)
	v_add_co_u32_e32 v29, vcc, vcc_hi, v24
	v_addc_co_u32_e32 v30, vcc, v25, v4, vcc
	s_and_saveexec_b64 vcc, s[4:5]
	s_cbranch_execz .LBB7_928
; %bb.927:                              ;   in Loop: Header=BB7_865 Depth=1
	v_mov_b32_e32 v4, s26
	v_mov_b32_e32 v5, s27
	global_store_dwordx4 v[29:30], v[4:7], off offset:8
.LBB7_928:                              ;   in Loop: Header=BB7_865 Depth=1
	s_or_b64 exec, exec, vcc
	s_lshl_b64 s[26:27], s[28:29], 12
	v_mov_b32_e32 v4, s27
	v_add_co_u32_e32 v26, vcc, s26, v26
	v_addc_co_u32_e32 v34, vcc, v27, v4, vcc
	v_cmp_gt_u64_e64 vcc, s[20:21], 56
	v_or_b32_e32 v5, v2, v33
	s_lshl_b32 s15, s22, 2
	v_cndmask_b32_e32 v2, v5, v2, vcc
	s_add_i32 s15, s15, 28
	v_or_b32_e32 v4, 0, v3
	s_and_b32 s15, s15, 0x1e0
	v_and_b32_e32 v2, 0xffffff1f, v2
	v_cndmask_b32_e32 v9, v4, v3, vcc
	v_or_b32_e32 v8, s15, v2
	v_readfirstlane_b32 s26, v26
	v_readfirstlane_b32 s27, v34
	s_nop 4
	global_store_dwordx4 v31, v[8:11], s[26:27]
	global_store_dwordx4 v31, v[12:15], s[26:27] offset:16
	global_store_dwordx4 v31, v[16:19], s[26:27] offset:32
	;; [unrolled: 1-line block ×3, first 2 shown]
	s_and_saveexec_b64 s[26:27], s[4:5]
	s_cbranch_execz .LBB7_936
; %bb.929:                              ;   in Loop: Header=BB7_865 Depth=1
	global_load_dwordx2 v[12:13], v28, s[6:7] offset:32 glc
	global_load_dwordx2 v[2:3], v28, s[6:7] offset:40
	v_mov_b32_e32 v10, s24
	v_mov_b32_e32 v11, s25
	s_waitcnt vmcnt(0)
	v_readfirstlane_b32 s28, v2
	v_readfirstlane_b32 s29, v3
	s_and_b64 s[28:29], s[28:29], s[24:25]
	s_mul_i32 s15, s29, 24
	s_mul_hi_u32 s29, s28, 24
	s_mul_i32 s28, s28, 24
	s_add_i32 s15, s29, s15
	v_mov_b32_e32 v2, s15
	v_add_co_u32_e32 v8, vcc, s28, v24
	v_addc_co_u32_e32 v9, vcc, v25, v2, vcc
	global_store_dwordx2 v[8:9], v[12:13], off
	s_waitcnt vmcnt(0)
	global_atomic_cmpswap_x2 v[4:5], v28, v[10:13], s[6:7] offset:32 glc
	s_waitcnt vmcnt(0)
	v_cmp_ne_u64_e32 vcc, v[4:5], v[12:13]
	s_and_saveexec_b64 s[28:29], vcc
	s_cbranch_execz .LBB7_932
; %bb.930:                              ;   in Loop: Header=BB7_865 Depth=1
	s_mov_b64 s[30:31], 0
.LBB7_931:                              ;   Parent Loop BB7_865 Depth=1
                                        ; =>  This Inner Loop Header: Depth=2
	s_sleep 1
	global_store_dwordx2 v[8:9], v[4:5], off
	v_mov_b32_e32 v2, s24
	v_mov_b32_e32 v3, s25
	s_waitcnt vmcnt(0)
	global_atomic_cmpswap_x2 v[2:3], v28, v[2:5], s[6:7] offset:32 glc
	s_waitcnt vmcnt(0)
	v_cmp_eq_u64_e32 vcc, v[2:3], v[4:5]
	v_mov_b32_e32 v5, v3
	s_or_b64 s[30:31], vcc, s[30:31]
	v_mov_b32_e32 v4, v2
	s_andn2_b64 exec, exec, s[30:31]
	s_cbranch_execnz .LBB7_931
.LBB7_932:                              ;   in Loop: Header=BB7_865 Depth=1
	s_or_b64 exec, exec, s[28:29]
	global_load_dwordx2 v[2:3], v28, s[6:7] offset:16
	s_mov_b64 s[30:31], exec
	v_mbcnt_lo_u32_b32 v4, s30, 0
	v_mbcnt_hi_u32_b32 v4, s31, v4
	v_cmp_eq_u32_e32 vcc, 0, v4
	s_and_saveexec_b64 s[28:29], vcc
	s_cbranch_execz .LBB7_934
; %bb.933:                              ;   in Loop: Header=BB7_865 Depth=1
	s_bcnt1_i32_b64 s15, s[30:31]
	v_mov_b32_e32 v27, s15
	s_waitcnt vmcnt(0)
	global_atomic_add_x2 v[2:3], v[27:28], off offset:8
.LBB7_934:                              ;   in Loop: Header=BB7_865 Depth=1
	s_or_b64 exec, exec, s[28:29]
	s_waitcnt vmcnt(0)
	global_load_dwordx2 v[4:5], v[2:3], off offset:16
	s_waitcnt vmcnt(0)
	v_cmp_eq_u64_e32 vcc, 0, v[4:5]
	s_cbranch_vccnz .LBB7_936
; %bb.935:                              ;   in Loop: Header=BB7_865 Depth=1
	global_load_dword v27, v[2:3], off offset:24
	s_waitcnt vmcnt(0)
	v_and_b32_e32 v2, 0xffffff, v27
	v_readfirstlane_b32 m0, v2
	global_store_dwordx2 v[4:5], v[27:28], off
	s_sendmsg sendmsg(MSG_INTERRUPT)
.LBB7_936:                              ;   in Loop: Header=BB7_865 Depth=1
	s_or_b64 exec, exec, s[26:27]
	v_add_co_u32_e32 v2, vcc, v26, v31
	v_addc_co_u32_e32 v3, vcc, 0, v34, vcc
	s_branch .LBB7_940
.LBB7_937:                              ;   in Loop: Header=BB7_940 Depth=2
	s_or_b64 exec, exec, s[26:27]
	v_readfirstlane_b32 s15, v4
	s_cmp_eq_u32 s15, 0
	s_cbranch_scc1 .LBB7_939
; %bb.938:                              ;   in Loop: Header=BB7_940 Depth=2
	s_sleep 1
	s_cbranch_execnz .LBB7_940
	s_branch .LBB7_942
.LBB7_939:                              ;   in Loop: Header=BB7_865 Depth=1
	s_branch .LBB7_942
.LBB7_940:                              ;   Parent Loop BB7_865 Depth=1
                                        ; =>  This Inner Loop Header: Depth=2
	v_mov_b32_e32 v4, 1
	s_and_saveexec_b64 s[26:27], s[4:5]
	s_cbranch_execz .LBB7_937
; %bb.941:                              ;   in Loop: Header=BB7_940 Depth=2
	global_load_dword v4, v[29:30], off offset:20 glc
	s_waitcnt vmcnt(0)
	buffer_wbinvl1_vol
	v_and_b32_e32 v4, 1, v4
	s_branch .LBB7_937
.LBB7_942:                              ;   in Loop: Header=BB7_865 Depth=1
	global_load_dwordx4 v[2:5], v[2:3], off
	s_and_saveexec_b64 s[26:27], s[4:5]
	s_cbranch_execz .LBB7_864
; %bb.943:                              ;   in Loop: Header=BB7_865 Depth=1
	global_load_dwordx2 v[4:5], v28, s[6:7] offset:40
	global_load_dwordx2 v[12:13], v28, s[6:7] offset:24 glc
	global_load_dwordx2 v[14:15], v28, s[6:7]
	v_mov_b32_e32 v9, s25
	s_waitcnt vmcnt(2)
	v_add_co_u32_e32 v10, vcc, 1, v4
	v_addc_co_u32_e32 v11, vcc, 0, v5, vcc
	v_add_co_u32_e32 v8, vcc, s24, v10
	v_addc_co_u32_e32 v9, vcc, v11, v9, vcc
	v_cmp_eq_u64_e32 vcc, 0, v[8:9]
	v_cndmask_b32_e32 v9, v9, v11, vcc
	v_cndmask_b32_e32 v8, v8, v10, vcc
	v_and_b32_e32 v5, v9, v5
	v_and_b32_e32 v4, v8, v4
	v_mul_lo_u32 v5, v5, 24
	v_mul_hi_u32 v11, v4, 24
	v_mul_lo_u32 v4, v4, 24
	s_waitcnt vmcnt(1)
	v_mov_b32_e32 v10, v12
	v_add_u32_e32 v5, v11, v5
	s_waitcnt vmcnt(0)
	v_add_co_u32_e32 v4, vcc, v14, v4
	v_addc_co_u32_e32 v5, vcc, v15, v5, vcc
	global_store_dwordx2 v[4:5], v[12:13], off
	v_mov_b32_e32 v11, v13
	s_waitcnt vmcnt(0)
	global_atomic_cmpswap_x2 v[10:11], v28, v[8:11], s[6:7] offset:24 glc
	s_waitcnt vmcnt(0)
	v_cmp_ne_u64_e32 vcc, v[10:11], v[12:13]
	s_and_b64 exec, exec, vcc
	s_cbranch_execz .LBB7_864
; %bb.944:                              ;   in Loop: Header=BB7_865 Depth=1
	s_mov_b64 s[4:5], 0
.LBB7_945:                              ;   Parent Loop BB7_865 Depth=1
                                        ; =>  This Inner Loop Header: Depth=2
	s_sleep 1
	global_store_dwordx2 v[4:5], v[10:11], off
	s_waitcnt vmcnt(0)
	global_atomic_cmpswap_x2 v[12:13], v28, v[8:11], s[6:7] offset:24 glc
	s_waitcnt vmcnt(0)
	v_cmp_eq_u64_e32 vcc, v[12:13], v[10:11]
	v_mov_b32_e32 v10, v12
	s_or_b64 s[4:5], vcc, s[4:5]
	v_mov_b32_e32 v11, v13
	s_andn2_b64 exec, exec, s[4:5]
	s_cbranch_execnz .LBB7_945
	s_branch .LBB7_864
.LBB7_946:
	s_branch .LBB7_974
.LBB7_947:
                                        ; implicit-def: $vgpr2_vgpr3
	s_cbranch_execz .LBB7_974
; %bb.948:
	v_readfirstlane_b32 s4, v32
	v_mov_b32_e32 v8, 0
	v_mov_b32_e32 v9, 0
	v_cmp_eq_u32_e64 s[4:5], s4, v32
	s_and_saveexec_b64 s[18:19], s[4:5]
	s_cbranch_execz .LBB7_954
; %bb.949:
	s_waitcnt vmcnt(0)
	v_mov_b32_e32 v2, 0
	global_load_dwordx2 v[5:6], v2, s[6:7] offset:24 glc
	s_waitcnt vmcnt(0)
	buffer_wbinvl1_vol
	global_load_dwordx2 v[3:4], v2, s[6:7] offset:40
	global_load_dwordx2 v[7:8], v2, s[6:7]
	s_waitcnt vmcnt(1)
	v_and_b32_e32 v3, v3, v5
	v_and_b32_e32 v4, v4, v6
	v_mul_lo_u32 v4, v4, 24
	v_mul_hi_u32 v9, v3, 24
	v_mul_lo_u32 v3, v3, 24
	v_add_u32_e32 v4, v9, v4
	s_waitcnt vmcnt(0)
	v_add_co_u32_e32 v3, vcc, v7, v3
	v_addc_co_u32_e32 v4, vcc, v8, v4, vcc
	global_load_dwordx2 v[3:4], v[3:4], off glc
	s_waitcnt vmcnt(0)
	global_atomic_cmpswap_x2 v[8:9], v2, v[3:6], s[6:7] offset:24 glc
	s_waitcnt vmcnt(0)
	buffer_wbinvl1_vol
	v_cmp_ne_u64_e32 vcc, v[8:9], v[5:6]
	s_and_saveexec_b64 s[20:21], vcc
	s_cbranch_execz .LBB7_953
; %bb.950:
	s_mov_b64 s[22:23], 0
.LBB7_951:                              ; =>This Inner Loop Header: Depth=1
	s_sleep 1
	global_load_dwordx2 v[3:4], v2, s[6:7] offset:40
	global_load_dwordx2 v[10:11], v2, s[6:7]
	v_mov_b32_e32 v5, v8
	v_mov_b32_e32 v6, v9
	s_waitcnt vmcnt(1)
	v_and_b32_e32 v3, v3, v5
	s_waitcnt vmcnt(0)
	v_mad_u64_u32 v[7:8], s[24:25], v3, 24, v[10:11]
	v_and_b32_e32 v4, v4, v6
	v_mov_b32_e32 v3, v8
	v_mad_u64_u32 v[3:4], s[24:25], v4, 24, v[3:4]
	v_mov_b32_e32 v8, v3
	global_load_dwordx2 v[3:4], v[7:8], off glc
	s_waitcnt vmcnt(0)
	global_atomic_cmpswap_x2 v[8:9], v2, v[3:6], s[6:7] offset:24 glc
	s_waitcnt vmcnt(0)
	buffer_wbinvl1_vol
	v_cmp_eq_u64_e32 vcc, v[8:9], v[5:6]
	s_or_b64 s[22:23], vcc, s[22:23]
	s_andn2_b64 exec, exec, s[22:23]
	s_cbranch_execnz .LBB7_951
; %bb.952:
	s_or_b64 exec, exec, s[22:23]
.LBB7_953:
	s_or_b64 exec, exec, s[20:21]
.LBB7_954:
	s_or_b64 exec, exec, s[18:19]
	s_waitcnt vmcnt(0)
	v_mov_b32_e32 v2, 0
	global_load_dwordx2 v[10:11], v2, s[6:7] offset:40
	global_load_dwordx4 v[4:7], v2, s[6:7]
	v_readfirstlane_b32 s18, v8
	v_readfirstlane_b32 s19, v9
	s_mov_b64 s[20:21], exec
	s_waitcnt vmcnt(1)
	v_readfirstlane_b32 s22, v10
	v_readfirstlane_b32 s23, v11
	s_and_b64 s[22:23], s[18:19], s[22:23]
	s_mul_i32 s15, s23, 24
	s_mul_hi_u32 s24, s22, 24
	s_mul_i32 s25, s22, 24
	s_add_i32 s15, s24, s15
	v_mov_b32_e32 v3, s15
	s_waitcnt vmcnt(0)
	v_add_co_u32_e32 v8, vcc, s25, v4
	v_addc_co_u32_e32 v9, vcc, v5, v3, vcc
	s_and_saveexec_b64 s[24:25], s[4:5]
	s_cbranch_execz .LBB7_956
; %bb.955:
	v_mov_b32_e32 v10, s20
	v_mov_b32_e32 v11, s21
	;; [unrolled: 1-line block ×4, first 2 shown]
	global_store_dwordx4 v[8:9], v[10:13], off offset:8
.LBB7_956:
	s_or_b64 exec, exec, s[24:25]
	s_lshl_b64 s[20:21], s[22:23], 12
	v_mov_b32_e32 v3, s21
	v_add_co_u32_e32 v10, vcc, s20, v6
	v_addc_co_u32_e32 v11, vcc, v7, v3, vcc
	s_movk_i32 s15, 0xff1f
	v_and_or_b32 v0, v0, s15, 32
	s_mov_b32 s20, 0
	v_mov_b32_e32 v3, v2
	v_readfirstlane_b32 s24, v10
	v_readfirstlane_b32 s25, v11
	v_add_co_u32_e32 v6, vcc, v10, v31
	s_mov_b32 s21, s20
	s_mov_b32 s22, s20
	;; [unrolled: 1-line block ×3, first 2 shown]
	s_nop 0
	global_store_dwordx4 v31, v[0:3], s[24:25]
	v_addc_co_u32_e32 v7, vcc, 0, v11, vcc
	v_mov_b32_e32 v0, s20
	v_mov_b32_e32 v1, s21
	;; [unrolled: 1-line block ×4, first 2 shown]
	global_store_dwordx4 v31, v[0:3], s[24:25] offset:16
	global_store_dwordx4 v31, v[0:3], s[24:25] offset:32
	;; [unrolled: 1-line block ×3, first 2 shown]
	s_and_saveexec_b64 s[20:21], s[4:5]
	s_cbranch_execz .LBB7_964
; %bb.957:
	v_mov_b32_e32 v10, 0
	global_load_dwordx2 v[13:14], v10, s[6:7] offset:32 glc
	global_load_dwordx2 v[0:1], v10, s[6:7] offset:40
	v_mov_b32_e32 v11, s18
	v_mov_b32_e32 v12, s19
	s_waitcnt vmcnt(0)
	v_readfirstlane_b32 s22, v0
	v_readfirstlane_b32 s23, v1
	s_and_b64 s[22:23], s[22:23], s[18:19]
	s_mul_i32 s15, s23, 24
	s_mul_hi_u32 s23, s22, 24
	s_mul_i32 s22, s22, 24
	s_add_i32 s15, s23, s15
	v_mov_b32_e32 v0, s15
	v_add_co_u32_e32 v4, vcc, s22, v4
	v_addc_co_u32_e32 v5, vcc, v5, v0, vcc
	global_store_dwordx2 v[4:5], v[13:14], off
	s_waitcnt vmcnt(0)
	global_atomic_cmpswap_x2 v[2:3], v10, v[11:14], s[6:7] offset:32 glc
	s_waitcnt vmcnt(0)
	v_cmp_ne_u64_e32 vcc, v[2:3], v[13:14]
	s_and_saveexec_b64 s[22:23], vcc
	s_cbranch_execz .LBB7_960
; %bb.958:
	s_mov_b64 s[24:25], 0
.LBB7_959:                              ; =>This Inner Loop Header: Depth=1
	s_sleep 1
	global_store_dwordx2 v[4:5], v[2:3], off
	v_mov_b32_e32 v0, s18
	v_mov_b32_e32 v1, s19
	s_waitcnt vmcnt(0)
	global_atomic_cmpswap_x2 v[0:1], v10, v[0:3], s[6:7] offset:32 glc
	s_waitcnt vmcnt(0)
	v_cmp_eq_u64_e32 vcc, v[0:1], v[2:3]
	v_mov_b32_e32 v3, v1
	s_or_b64 s[24:25], vcc, s[24:25]
	v_mov_b32_e32 v2, v0
	s_andn2_b64 exec, exec, s[24:25]
	s_cbranch_execnz .LBB7_959
.LBB7_960:
	s_or_b64 exec, exec, s[22:23]
	v_mov_b32_e32 v3, 0
	global_load_dwordx2 v[0:1], v3, s[6:7] offset:16
	s_mov_b64 s[22:23], exec
	v_mbcnt_lo_u32_b32 v2, s22, 0
	v_mbcnt_hi_u32_b32 v2, s23, v2
	v_cmp_eq_u32_e32 vcc, 0, v2
	s_and_saveexec_b64 s[24:25], vcc
	s_cbranch_execz .LBB7_962
; %bb.961:
	s_bcnt1_i32_b64 s15, s[22:23]
	v_mov_b32_e32 v2, s15
	s_waitcnt vmcnt(0)
	global_atomic_add_x2 v[0:1], v[2:3], off offset:8
.LBB7_962:
	s_or_b64 exec, exec, s[24:25]
	s_waitcnt vmcnt(0)
	global_load_dwordx2 v[2:3], v[0:1], off offset:16
	s_waitcnt vmcnt(0)
	v_cmp_eq_u64_e32 vcc, 0, v[2:3]
	s_cbranch_vccnz .LBB7_964
; %bb.963:
	global_load_dword v0, v[0:1], off offset:24
	v_mov_b32_e32 v1, 0
	s_waitcnt vmcnt(0)
	global_store_dwordx2 v[2:3], v[0:1], off
	v_and_b32_e32 v0, 0xffffff, v0
	v_readfirstlane_b32 m0, v0
	s_sendmsg sendmsg(MSG_INTERRUPT)
.LBB7_964:
	s_or_b64 exec, exec, s[20:21]
	s_branch .LBB7_968
.LBB7_965:                              ;   in Loop: Header=BB7_968 Depth=1
	s_or_b64 exec, exec, s[20:21]
	v_readfirstlane_b32 s15, v0
	s_cmp_eq_u32 s15, 0
	s_cbranch_scc1 .LBB7_967
; %bb.966:                              ;   in Loop: Header=BB7_968 Depth=1
	s_sleep 1
	s_cbranch_execnz .LBB7_968
	s_branch .LBB7_970
.LBB7_967:
	s_branch .LBB7_970
.LBB7_968:                              ; =>This Inner Loop Header: Depth=1
	v_mov_b32_e32 v0, 1
	s_and_saveexec_b64 s[20:21], s[4:5]
	s_cbranch_execz .LBB7_965
; %bb.969:                              ;   in Loop: Header=BB7_968 Depth=1
	global_load_dword v0, v[8:9], off offset:20 glc
	s_waitcnt vmcnt(0)
	buffer_wbinvl1_vol
	v_and_b32_e32 v0, 1, v0
	s_branch .LBB7_965
.LBB7_970:
	global_load_dwordx2 v[2:3], v[6:7], off
	s_and_saveexec_b64 s[20:21], s[4:5]
	s_cbranch_execz .LBB7_973
; %bb.971:
	v_mov_b32_e32 v8, 0
	global_load_dwordx2 v[0:1], v8, s[6:7] offset:40
	global_load_dwordx2 v[9:10], v8, s[6:7] offset:24 glc
	global_load_dwordx2 v[11:12], v8, s[6:7]
	v_mov_b32_e32 v5, s19
	s_mov_b64 s[4:5], 0
	s_waitcnt vmcnt(2)
	v_add_co_u32_e32 v6, vcc, 1, v0
	v_addc_co_u32_e32 v7, vcc, 0, v1, vcc
	v_add_co_u32_e32 v4, vcc, s18, v6
	v_addc_co_u32_e32 v5, vcc, v7, v5, vcc
	v_cmp_eq_u64_e32 vcc, 0, v[4:5]
	v_cndmask_b32_e32 v5, v5, v7, vcc
	v_cndmask_b32_e32 v4, v4, v6, vcc
	v_and_b32_e32 v1, v5, v1
	v_and_b32_e32 v0, v4, v0
	v_mul_lo_u32 v1, v1, 24
	v_mul_hi_u32 v7, v0, 24
	v_mul_lo_u32 v0, v0, 24
	s_waitcnt vmcnt(1)
	v_mov_b32_e32 v6, v9
	v_add_u32_e32 v1, v7, v1
	s_waitcnt vmcnt(0)
	v_add_co_u32_e32 v0, vcc, v11, v0
	v_addc_co_u32_e32 v1, vcc, v12, v1, vcc
	global_store_dwordx2 v[0:1], v[9:10], off
	v_mov_b32_e32 v7, v10
	s_waitcnt vmcnt(0)
	global_atomic_cmpswap_x2 v[6:7], v8, v[4:7], s[6:7] offset:24 glc
	s_waitcnt vmcnt(0)
	v_cmp_ne_u64_e32 vcc, v[6:7], v[9:10]
	s_and_b64 exec, exec, vcc
	s_cbranch_execz .LBB7_973
.LBB7_972:                              ; =>This Inner Loop Header: Depth=1
	s_sleep 1
	global_store_dwordx2 v[0:1], v[6:7], off
	s_waitcnt vmcnt(0)
	global_atomic_cmpswap_x2 v[9:10], v8, v[4:7], s[6:7] offset:24 glc
	s_waitcnt vmcnt(0)
	v_cmp_eq_u64_e32 vcc, v[9:10], v[6:7]
	v_mov_b32_e32 v6, v9
	s_or_b64 s[4:5], vcc, s[4:5]
	v_mov_b32_e32 v7, v10
	s_andn2_b64 exec, exec, s[4:5]
	s_cbranch_execnz .LBB7_972
.LBB7_973:
	s_or_b64 exec, exec, s[20:21]
.LBB7_974:
	v_readfirstlane_b32 s4, v32
	s_waitcnt vmcnt(0)
	v_mov_b32_e32 v0, 0
	v_mov_b32_e32 v1, 0
	v_cmp_eq_u32_e64 s[4:5], s4, v32
	s_and_saveexec_b64 s[18:19], s[4:5]
	s_cbranch_execz .LBB7_980
; %bb.975:
	v_mov_b32_e32 v4, 0
	global_load_dwordx2 v[7:8], v4, s[6:7] offset:24 glc
	s_waitcnt vmcnt(0)
	buffer_wbinvl1_vol
	global_load_dwordx2 v[0:1], v4, s[6:7] offset:40
	global_load_dwordx2 v[5:6], v4, s[6:7]
	s_waitcnt vmcnt(1)
	v_and_b32_e32 v0, v0, v7
	v_and_b32_e32 v1, v1, v8
	v_mul_lo_u32 v1, v1, 24
	v_mul_hi_u32 v9, v0, 24
	v_mul_lo_u32 v0, v0, 24
	v_add_u32_e32 v1, v9, v1
	s_waitcnt vmcnt(0)
	v_add_co_u32_e32 v0, vcc, v5, v0
	v_addc_co_u32_e32 v1, vcc, v6, v1, vcc
	global_load_dwordx2 v[5:6], v[0:1], off glc
	s_waitcnt vmcnt(0)
	global_atomic_cmpswap_x2 v[0:1], v4, v[5:8], s[6:7] offset:24 glc
	s_waitcnt vmcnt(0)
	buffer_wbinvl1_vol
	v_cmp_ne_u64_e32 vcc, v[0:1], v[7:8]
	s_and_saveexec_b64 s[20:21], vcc
	s_cbranch_execz .LBB7_979
; %bb.976:
	s_mov_b64 s[22:23], 0
.LBB7_977:                              ; =>This Inner Loop Header: Depth=1
	s_sleep 1
	global_load_dwordx2 v[5:6], v4, s[6:7] offset:40
	global_load_dwordx2 v[9:10], v4, s[6:7]
	v_mov_b32_e32 v8, v1
	v_mov_b32_e32 v7, v0
	s_waitcnt vmcnt(1)
	v_and_b32_e32 v0, v5, v7
	s_waitcnt vmcnt(0)
	v_mad_u64_u32 v[0:1], s[24:25], v0, 24, v[9:10]
	v_and_b32_e32 v5, v6, v8
	v_mad_u64_u32 v[5:6], s[24:25], v5, 24, v[1:2]
	v_mov_b32_e32 v1, v5
	global_load_dwordx2 v[5:6], v[0:1], off glc
	s_waitcnt vmcnt(0)
	global_atomic_cmpswap_x2 v[0:1], v4, v[5:8], s[6:7] offset:24 glc
	s_waitcnt vmcnt(0)
	buffer_wbinvl1_vol
	v_cmp_eq_u64_e32 vcc, v[0:1], v[7:8]
	s_or_b64 s[22:23], vcc, s[22:23]
	s_andn2_b64 exec, exec, s[22:23]
	s_cbranch_execnz .LBB7_977
; %bb.978:
	s_or_b64 exec, exec, s[22:23]
.LBB7_979:
	s_or_b64 exec, exec, s[20:21]
.LBB7_980:
	s_or_b64 exec, exec, s[18:19]
	v_mov_b32_e32 v5, 0
	global_load_dwordx2 v[10:11], v5, s[6:7] offset:40
	global_load_dwordx4 v[6:9], v5, s[6:7]
	v_readfirstlane_b32 s18, v0
	v_readfirstlane_b32 s19, v1
	s_mov_b64 s[20:21], exec
	s_waitcnt vmcnt(1)
	v_readfirstlane_b32 s22, v10
	v_readfirstlane_b32 s23, v11
	s_and_b64 s[22:23], s[18:19], s[22:23]
	s_mul_i32 s15, s23, 24
	s_mul_hi_u32 s24, s22, 24
	s_mul_i32 s25, s22, 24
	s_add_i32 s15, s24, s15
	v_mov_b32_e32 v0, s15
	s_waitcnt vmcnt(0)
	v_add_co_u32_e32 v10, vcc, s25, v6
	v_addc_co_u32_e32 v11, vcc, v7, v0, vcc
	s_and_saveexec_b64 s[24:25], s[4:5]
	s_cbranch_execz .LBB7_982
; %bb.981:
	v_mov_b32_e32 v12, s20
	v_mov_b32_e32 v13, s21
	;; [unrolled: 1-line block ×4, first 2 shown]
	global_store_dwordx4 v[10:11], v[12:15], off offset:8
.LBB7_982:
	s_or_b64 exec, exec, s[24:25]
	s_lshl_b64 s[20:21], s[22:23], 12
	v_mov_b32_e32 v0, s21
	v_add_co_u32_e32 v1, vcc, s20, v8
	v_addc_co_u32_e32 v0, vcc, v9, v0, vcc
	s_movk_i32 s15, 0xff1d
	v_and_or_b32 v2, v2, s15, 34
	s_mov_b32 s20, 0
	v_mov_b32_e32 v4, 0x464
	v_readfirstlane_b32 s24, v1
	v_readfirstlane_b32 s25, v0
	s_mov_b32 s21, s20
	s_mov_b32 s22, s20
	s_mov_b32 s23, s20
	s_nop 1
	global_store_dwordx4 v31, v[2:5], s[24:25]
	v_mov_b32_e32 v0, s20
	v_mov_b32_e32 v1, s21
	;; [unrolled: 1-line block ×4, first 2 shown]
	global_store_dwordx4 v31, v[0:3], s[24:25] offset:16
	global_store_dwordx4 v31, v[0:3], s[24:25] offset:32
	;; [unrolled: 1-line block ×3, first 2 shown]
	s_and_saveexec_b64 s[20:21], s[4:5]
	s_cbranch_execz .LBB7_990
; %bb.983:
	v_mov_b32_e32 v8, 0
	global_load_dwordx2 v[14:15], v8, s[6:7] offset:32 glc
	global_load_dwordx2 v[0:1], v8, s[6:7] offset:40
	v_mov_b32_e32 v12, s18
	v_mov_b32_e32 v13, s19
	s_waitcnt vmcnt(0)
	v_readfirstlane_b32 s22, v0
	v_readfirstlane_b32 s23, v1
	s_and_b64 s[22:23], s[22:23], s[18:19]
	s_mul_i32 s15, s23, 24
	s_mul_hi_u32 s23, s22, 24
	s_mul_i32 s22, s22, 24
	s_add_i32 s15, s23, s15
	v_mov_b32_e32 v0, s15
	v_add_co_u32_e32 v4, vcc, s22, v6
	v_addc_co_u32_e32 v5, vcc, v7, v0, vcc
	global_store_dwordx2 v[4:5], v[14:15], off
	s_waitcnt vmcnt(0)
	global_atomic_cmpswap_x2 v[2:3], v8, v[12:15], s[6:7] offset:32 glc
	s_waitcnt vmcnt(0)
	v_cmp_ne_u64_e32 vcc, v[2:3], v[14:15]
	s_and_saveexec_b64 s[22:23], vcc
	s_cbranch_execz .LBB7_986
; %bb.984:
	s_mov_b64 s[24:25], 0
.LBB7_985:                              ; =>This Inner Loop Header: Depth=1
	s_sleep 1
	global_store_dwordx2 v[4:5], v[2:3], off
	v_mov_b32_e32 v0, s18
	v_mov_b32_e32 v1, s19
	s_waitcnt vmcnt(0)
	global_atomic_cmpswap_x2 v[0:1], v8, v[0:3], s[6:7] offset:32 glc
	s_waitcnt vmcnt(0)
	v_cmp_eq_u64_e32 vcc, v[0:1], v[2:3]
	v_mov_b32_e32 v3, v1
	s_or_b64 s[24:25], vcc, s[24:25]
	v_mov_b32_e32 v2, v0
	s_andn2_b64 exec, exec, s[24:25]
	s_cbranch_execnz .LBB7_985
.LBB7_986:
	s_or_b64 exec, exec, s[22:23]
	v_mov_b32_e32 v3, 0
	global_load_dwordx2 v[0:1], v3, s[6:7] offset:16
	s_mov_b64 s[22:23], exec
	v_mbcnt_lo_u32_b32 v2, s22, 0
	v_mbcnt_hi_u32_b32 v2, s23, v2
	v_cmp_eq_u32_e32 vcc, 0, v2
	s_and_saveexec_b64 s[24:25], vcc
	s_cbranch_execz .LBB7_988
; %bb.987:
	s_bcnt1_i32_b64 s15, s[22:23]
	v_mov_b32_e32 v2, s15
	s_waitcnt vmcnt(0)
	global_atomic_add_x2 v[0:1], v[2:3], off offset:8
.LBB7_988:
	s_or_b64 exec, exec, s[24:25]
	s_waitcnt vmcnt(0)
	global_load_dwordx2 v[2:3], v[0:1], off offset:16
	s_waitcnt vmcnt(0)
	v_cmp_eq_u64_e32 vcc, 0, v[2:3]
	s_cbranch_vccnz .LBB7_990
; %bb.989:
	global_load_dword v0, v[0:1], off offset:24
	v_mov_b32_e32 v1, 0
	s_waitcnt vmcnt(0)
	global_store_dwordx2 v[2:3], v[0:1], off
	v_and_b32_e32 v0, 0xffffff, v0
	v_readfirstlane_b32 m0, v0
	s_sendmsg sendmsg(MSG_INTERRUPT)
.LBB7_990:
	s_or_b64 exec, exec, s[20:21]
	s_branch .LBB7_994
.LBB7_991:                              ;   in Loop: Header=BB7_994 Depth=1
	s_or_b64 exec, exec, s[20:21]
	v_readfirstlane_b32 s15, v0
	s_cmp_eq_u32 s15, 0
	s_cbranch_scc1 .LBB7_993
; %bb.992:                              ;   in Loop: Header=BB7_994 Depth=1
	s_sleep 1
	s_cbranch_execnz .LBB7_994
	s_branch .LBB7_996
.LBB7_993:
	s_branch .LBB7_996
.LBB7_994:                              ; =>This Inner Loop Header: Depth=1
	v_mov_b32_e32 v0, 1
	s_and_saveexec_b64 s[20:21], s[4:5]
	s_cbranch_execz .LBB7_991
; %bb.995:                              ;   in Loop: Header=BB7_994 Depth=1
	global_load_dword v0, v[10:11], off offset:20 glc
	s_waitcnt vmcnt(0)
	buffer_wbinvl1_vol
	v_and_b32_e32 v0, 1, v0
	s_branch .LBB7_991
.LBB7_996:
	s_and_saveexec_b64 s[20:21], s[4:5]
	s_cbranch_execz .LBB7_999
; %bb.997:
	v_mov_b32_e32 v6, 0
	global_load_dwordx2 v[2:3], v6, s[6:7] offset:40
	global_load_dwordx2 v[7:8], v6, s[6:7] offset:24 glc
	global_load_dwordx2 v[4:5], v6, s[6:7]
	v_mov_b32_e32 v1, s19
	s_mov_b64 s[4:5], 0
	s_waitcnt vmcnt(2)
	v_add_co_u32_e32 v9, vcc, 1, v2
	v_addc_co_u32_e32 v10, vcc, 0, v3, vcc
	v_add_co_u32_e32 v0, vcc, s18, v9
	v_addc_co_u32_e32 v1, vcc, v10, v1, vcc
	v_cmp_eq_u64_e32 vcc, 0, v[0:1]
	v_cndmask_b32_e32 v1, v1, v10, vcc
	v_cndmask_b32_e32 v0, v0, v9, vcc
	v_and_b32_e32 v3, v1, v3
	v_and_b32_e32 v2, v0, v2
	v_mul_lo_u32 v3, v3, 24
	v_mul_hi_u32 v9, v2, 24
	v_mul_lo_u32 v10, v2, 24
	s_waitcnt vmcnt(1)
	v_mov_b32_e32 v2, v7
	v_add_u32_e32 v3, v9, v3
	s_waitcnt vmcnt(0)
	v_add_co_u32_e32 v4, vcc, v4, v10
	v_addc_co_u32_e32 v5, vcc, v5, v3, vcc
	global_store_dwordx2 v[4:5], v[7:8], off
	v_mov_b32_e32 v3, v8
	s_waitcnt vmcnt(0)
	global_atomic_cmpswap_x2 v[2:3], v6, v[0:3], s[6:7] offset:24 glc
	s_waitcnt vmcnt(0)
	v_cmp_ne_u64_e32 vcc, v[2:3], v[7:8]
	s_and_b64 exec, exec, vcc
	s_cbranch_execz .LBB7_999
.LBB7_998:                              ; =>This Inner Loop Header: Depth=1
	s_sleep 1
	global_store_dwordx2 v[4:5], v[2:3], off
	s_waitcnt vmcnt(0)
	global_atomic_cmpswap_x2 v[7:8], v6, v[0:3], s[6:7] offset:24 glc
	s_waitcnt vmcnt(0)
	v_cmp_eq_u64_e32 vcc, v[7:8], v[2:3]
	v_mov_b32_e32 v2, v7
	s_or_b64 s[4:5], vcc, s[4:5]
	v_mov_b32_e32 v3, v8
	s_andn2_b64 exec, exec, s[4:5]
	s_cbranch_execnz .LBB7_998
.LBB7_999:
	s_or_b64 exec, exec, s[20:21]
	v_readfirstlane_b32 s4, v32
	v_mov_b32_e32 v5, 0
	v_mov_b32_e32 v6, 0
	v_cmp_eq_u32_e64 s[4:5], s4, v32
	s_and_saveexec_b64 s[18:19], s[4:5]
	s_cbranch_execz .LBB7_1005
; %bb.1000:
	v_mov_b32_e32 v0, 0
	global_load_dwordx2 v[3:4], v0, s[6:7] offset:24 glc
	s_waitcnt vmcnt(0)
	buffer_wbinvl1_vol
	global_load_dwordx2 v[1:2], v0, s[6:7] offset:40
	global_load_dwordx2 v[5:6], v0, s[6:7]
	s_waitcnt vmcnt(1)
	v_and_b32_e32 v1, v1, v3
	v_and_b32_e32 v2, v2, v4
	v_mul_lo_u32 v2, v2, 24
	v_mul_hi_u32 v7, v1, 24
	v_mul_lo_u32 v1, v1, 24
	v_add_u32_e32 v2, v7, v2
	s_waitcnt vmcnt(0)
	v_add_co_u32_e32 v1, vcc, v5, v1
	v_addc_co_u32_e32 v2, vcc, v6, v2, vcc
	global_load_dwordx2 v[1:2], v[1:2], off glc
	s_waitcnt vmcnt(0)
	global_atomic_cmpswap_x2 v[5:6], v0, v[1:4], s[6:7] offset:24 glc
	s_waitcnt vmcnt(0)
	buffer_wbinvl1_vol
	v_cmp_ne_u64_e32 vcc, v[5:6], v[3:4]
	s_and_saveexec_b64 s[20:21], vcc
	s_cbranch_execz .LBB7_1004
; %bb.1001:
	s_mov_b64 s[22:23], 0
.LBB7_1002:                             ; =>This Inner Loop Header: Depth=1
	s_sleep 1
	global_load_dwordx2 v[1:2], v0, s[6:7] offset:40
	global_load_dwordx2 v[7:8], v0, s[6:7]
	v_mov_b32_e32 v3, v5
	v_mov_b32_e32 v4, v6
	s_waitcnt vmcnt(1)
	v_and_b32_e32 v1, v1, v3
	s_waitcnt vmcnt(0)
	v_mad_u64_u32 v[5:6], s[24:25], v1, 24, v[7:8]
	v_and_b32_e32 v2, v2, v4
	v_mov_b32_e32 v1, v6
	v_mad_u64_u32 v[1:2], s[24:25], v2, 24, v[1:2]
	v_mov_b32_e32 v6, v1
	global_load_dwordx2 v[1:2], v[5:6], off glc
	s_waitcnt vmcnt(0)
	global_atomic_cmpswap_x2 v[5:6], v0, v[1:4], s[6:7] offset:24 glc
	s_waitcnt vmcnt(0)
	buffer_wbinvl1_vol
	v_cmp_eq_u64_e32 vcc, v[5:6], v[3:4]
	s_or_b64 s[22:23], vcc, s[22:23]
	s_andn2_b64 exec, exec, s[22:23]
	s_cbranch_execnz .LBB7_1002
; %bb.1003:
	s_or_b64 exec, exec, s[22:23]
.LBB7_1004:
	s_or_b64 exec, exec, s[20:21]
.LBB7_1005:
	s_or_b64 exec, exec, s[18:19]
	v_mov_b32_e32 v4, 0
	global_load_dwordx2 v[7:8], v4, s[6:7] offset:40
	global_load_dwordx4 v[0:3], v4, s[6:7]
	v_readfirstlane_b32 s18, v5
	v_readfirstlane_b32 s19, v6
	s_mov_b64 s[20:21], exec
	s_waitcnt vmcnt(1)
	v_readfirstlane_b32 s22, v7
	v_readfirstlane_b32 s23, v8
	s_and_b64 s[22:23], s[18:19], s[22:23]
	s_mul_i32 s15, s23, 24
	s_mul_hi_u32 s24, s22, 24
	s_mul_i32 s25, s22, 24
	s_add_i32 s15, s24, s15
	v_mov_b32_e32 v5, s15
	s_waitcnt vmcnt(0)
	v_add_co_u32_e32 v7, vcc, s25, v0
	v_addc_co_u32_e32 v8, vcc, v1, v5, vcc
	s_and_saveexec_b64 s[24:25], s[4:5]
	s_cbranch_execz .LBB7_1007
; %bb.1006:
	v_mov_b32_e32 v9, s20
	v_mov_b32_e32 v10, s21
	;; [unrolled: 1-line block ×4, first 2 shown]
	global_store_dwordx4 v[7:8], v[9:12], off offset:8
.LBB7_1007:
	s_or_b64 exec, exec, s[24:25]
	s_lshl_b64 s[20:21], s[22:23], 12
	v_mov_b32_e32 v5, s21
	v_add_co_u32_e32 v2, vcc, s20, v2
	v_addc_co_u32_e32 v11, vcc, v3, v5, vcc
	s_mov_b32 s20, 0
	v_mov_b32_e32 v3, 33
	v_mov_b32_e32 v5, v4
	;; [unrolled: 1-line block ×3, first 2 shown]
	v_readfirstlane_b32 s24, v2
	v_readfirstlane_b32 s25, v11
	v_add_co_u32_e32 v9, vcc, v2, v31
	s_mov_b32 s21, s20
	s_mov_b32 s22, s20
	;; [unrolled: 1-line block ×3, first 2 shown]
	s_nop 0
	global_store_dwordx4 v31, v[3:6], s[24:25]
	v_mov_b32_e32 v2, s20
	v_addc_co_u32_e32 v10, vcc, 0, v11, vcc
	v_mov_b32_e32 v3, s21
	v_mov_b32_e32 v4, s22
	;; [unrolled: 1-line block ×3, first 2 shown]
	global_store_dwordx4 v31, v[2:5], s[24:25] offset:16
	global_store_dwordx4 v31, v[2:5], s[24:25] offset:32
	;; [unrolled: 1-line block ×3, first 2 shown]
	s_and_saveexec_b64 s[20:21], s[4:5]
	s_cbranch_execz .LBB7_1015
; %bb.1008:
	v_mov_b32_e32 v6, 0
	global_load_dwordx2 v[13:14], v6, s[6:7] offset:32 glc
	global_load_dwordx2 v[2:3], v6, s[6:7] offset:40
	v_mov_b32_e32 v11, s18
	v_mov_b32_e32 v12, s19
	s_waitcnt vmcnt(0)
	v_readfirstlane_b32 s22, v2
	v_readfirstlane_b32 s23, v3
	s_and_b64 s[22:23], s[22:23], s[18:19]
	s_mul_i32 s15, s23, 24
	s_mul_hi_u32 s23, s22, 24
	s_mul_i32 s22, s22, 24
	s_add_i32 s15, s23, s15
	v_mov_b32_e32 v2, s15
	v_add_co_u32_e32 v4, vcc, s22, v0
	v_addc_co_u32_e32 v5, vcc, v1, v2, vcc
	global_store_dwordx2 v[4:5], v[13:14], off
	s_waitcnt vmcnt(0)
	global_atomic_cmpswap_x2 v[2:3], v6, v[11:14], s[6:7] offset:32 glc
	s_waitcnt vmcnt(0)
	v_cmp_ne_u64_e32 vcc, v[2:3], v[13:14]
	s_and_saveexec_b64 s[22:23], vcc
	s_cbranch_execz .LBB7_1011
; %bb.1009:
	s_mov_b64 s[24:25], 0
.LBB7_1010:                             ; =>This Inner Loop Header: Depth=1
	s_sleep 1
	global_store_dwordx2 v[4:5], v[2:3], off
	v_mov_b32_e32 v0, s18
	v_mov_b32_e32 v1, s19
	s_waitcnt vmcnt(0)
	global_atomic_cmpswap_x2 v[0:1], v6, v[0:3], s[6:7] offset:32 glc
	s_waitcnt vmcnt(0)
	v_cmp_eq_u64_e32 vcc, v[0:1], v[2:3]
	v_mov_b32_e32 v3, v1
	s_or_b64 s[24:25], vcc, s[24:25]
	v_mov_b32_e32 v2, v0
	s_andn2_b64 exec, exec, s[24:25]
	s_cbranch_execnz .LBB7_1010
.LBB7_1011:
	s_or_b64 exec, exec, s[22:23]
	v_mov_b32_e32 v3, 0
	global_load_dwordx2 v[0:1], v3, s[6:7] offset:16
	s_mov_b64 s[22:23], exec
	v_mbcnt_lo_u32_b32 v2, s22, 0
	v_mbcnt_hi_u32_b32 v2, s23, v2
	v_cmp_eq_u32_e32 vcc, 0, v2
	s_and_saveexec_b64 s[24:25], vcc
	s_cbranch_execz .LBB7_1013
; %bb.1012:
	s_bcnt1_i32_b64 s15, s[22:23]
	v_mov_b32_e32 v2, s15
	s_waitcnt vmcnt(0)
	global_atomic_add_x2 v[0:1], v[2:3], off offset:8
.LBB7_1013:
	s_or_b64 exec, exec, s[24:25]
	s_waitcnt vmcnt(0)
	global_load_dwordx2 v[2:3], v[0:1], off offset:16
	s_waitcnt vmcnt(0)
	v_cmp_eq_u64_e32 vcc, 0, v[2:3]
	s_cbranch_vccnz .LBB7_1015
; %bb.1014:
	global_load_dword v0, v[0:1], off offset:24
	v_mov_b32_e32 v1, 0
	s_waitcnt vmcnt(0)
	global_store_dwordx2 v[2:3], v[0:1], off
	v_and_b32_e32 v0, 0xffffff, v0
	v_readfirstlane_b32 m0, v0
	s_sendmsg sendmsg(MSG_INTERRUPT)
.LBB7_1015:
	s_or_b64 exec, exec, s[20:21]
	s_branch .LBB7_1019
.LBB7_1016:                             ;   in Loop: Header=BB7_1019 Depth=1
	s_or_b64 exec, exec, s[20:21]
	v_readfirstlane_b32 s15, v0
	s_cmp_eq_u32 s15, 0
	s_cbranch_scc1 .LBB7_1018
; %bb.1017:                             ;   in Loop: Header=BB7_1019 Depth=1
	s_sleep 1
	s_cbranch_execnz .LBB7_1019
	s_branch .LBB7_1021
.LBB7_1018:
	s_branch .LBB7_1021
.LBB7_1019:                             ; =>This Inner Loop Header: Depth=1
	v_mov_b32_e32 v0, 1
	s_and_saveexec_b64 s[20:21], s[4:5]
	s_cbranch_execz .LBB7_1016
; %bb.1020:                             ;   in Loop: Header=BB7_1019 Depth=1
	global_load_dword v0, v[7:8], off offset:20 glc
	s_waitcnt vmcnt(0)
	buffer_wbinvl1_vol
	v_and_b32_e32 v0, 1, v0
	s_branch .LBB7_1016
.LBB7_1021:
	global_load_dwordx2 v[0:1], v[9:10], off
	s_and_saveexec_b64 s[20:21], s[4:5]
	s_cbranch_execz .LBB7_1024
; %bb.1022:
	v_mov_b32_e32 v8, 0
	global_load_dwordx2 v[4:5], v8, s[6:7] offset:40
	global_load_dwordx2 v[9:10], v8, s[6:7] offset:24 glc
	global_load_dwordx2 v[6:7], v8, s[6:7]
	v_mov_b32_e32 v3, s19
	s_mov_b64 s[4:5], 0
	s_waitcnt vmcnt(2)
	v_add_co_u32_e32 v11, vcc, 1, v4
	v_addc_co_u32_e32 v12, vcc, 0, v5, vcc
	v_add_co_u32_e32 v2, vcc, s18, v11
	v_addc_co_u32_e32 v3, vcc, v12, v3, vcc
	v_cmp_eq_u64_e32 vcc, 0, v[2:3]
	v_cndmask_b32_e32 v3, v3, v12, vcc
	v_cndmask_b32_e32 v2, v2, v11, vcc
	v_and_b32_e32 v5, v3, v5
	v_and_b32_e32 v4, v2, v4
	v_mul_lo_u32 v5, v5, 24
	v_mul_hi_u32 v11, v4, 24
	v_mul_lo_u32 v12, v4, 24
	s_waitcnt vmcnt(1)
	v_mov_b32_e32 v4, v9
	v_add_u32_e32 v5, v11, v5
	s_waitcnt vmcnt(0)
	v_add_co_u32_e32 v6, vcc, v6, v12
	v_addc_co_u32_e32 v7, vcc, v7, v5, vcc
	global_store_dwordx2 v[6:7], v[9:10], off
	v_mov_b32_e32 v5, v10
	s_waitcnt vmcnt(0)
	global_atomic_cmpswap_x2 v[4:5], v8, v[2:5], s[6:7] offset:24 glc
	s_waitcnt vmcnt(0)
	v_cmp_ne_u64_e32 vcc, v[4:5], v[9:10]
	s_and_b64 exec, exec, vcc
	s_cbranch_execz .LBB7_1024
.LBB7_1023:                             ; =>This Inner Loop Header: Depth=1
	s_sleep 1
	global_store_dwordx2 v[6:7], v[4:5], off
	s_waitcnt vmcnt(0)
	global_atomic_cmpswap_x2 v[9:10], v8, v[2:5], s[6:7] offset:24 glc
	s_waitcnt vmcnt(0)
	v_cmp_eq_u64_e32 vcc, v[9:10], v[4:5]
	v_mov_b32_e32 v4, v9
	s_or_b64 s[4:5], vcc, s[4:5]
	v_mov_b32_e32 v5, v10
	s_andn2_b64 exec, exec, s[4:5]
	s_cbranch_execnz .LBB7_1023
.LBB7_1024:
	s_or_b64 exec, exec, s[20:21]
	s_and_b64 vcc, exec, s[16:17]
	s_cbranch_vccz .LBB7_1109
; %bb.1025:
	s_waitcnt vmcnt(0)
	v_and_b32_e32 v33, 2, v0
	v_mov_b32_e32 v28, 0
	v_and_b32_e32 v2, -3, v0
	v_mov_b32_e32 v3, v1
	s_mov_b64 s[20:21], 3
	v_mov_b32_e32 v6, 2
	v_mov_b32_e32 v7, 1
	s_getpc_b64 s[18:19]
	s_add_u32 s18, s18, .str.6@rel32@lo+4
	s_addc_u32 s19, s19, .str.6@rel32@hi+12
	s_branch .LBB7_1027
.LBB7_1026:                             ;   in Loop: Header=BB7_1027 Depth=1
	s_or_b64 exec, exec, s[26:27]
	s_sub_u32 s20, s20, s22
	s_subb_u32 s21, s21, s23
	s_add_u32 s18, s18, s22
	s_addc_u32 s19, s19, s23
	s_cmp_lg_u64 s[20:21], 0
	s_cbranch_scc0 .LBB7_1108
.LBB7_1027:                             ; =>This Loop Header: Depth=1
                                        ;     Child Loop BB7_1030 Depth 2
                                        ;     Child Loop BB7_1037 Depth 2
	;; [unrolled: 1-line block ×11, first 2 shown]
	v_cmp_lt_u64_e64 s[4:5], s[20:21], 56
	v_cmp_gt_u64_e64 s[24:25], s[20:21], 7
	s_and_b64 s[4:5], s[4:5], exec
	s_cselect_b32 s23, s21, 0
	s_cselect_b32 s22, s20, 56
	s_and_b64 vcc, exec, s[24:25]
	s_cbranch_vccnz .LBB7_1032
; %bb.1028:                             ;   in Loop: Header=BB7_1027 Depth=1
	v_mov_b32_e32 v10, 0
	s_cmp_eq_u64 s[20:21], 0
	v_mov_b32_e32 v11, 0
	s_mov_b64 s[4:5], 0
	s_cbranch_scc1 .LBB7_1031
; %bb.1029:                             ;   in Loop: Header=BB7_1027 Depth=1
	v_mov_b32_e32 v10, 0
	s_lshl_b64 s[24:25], s[22:23], 3
	s_mov_b64 s[26:27], 0
	v_mov_b32_e32 v11, 0
	s_mov_b64 s[28:29], s[18:19]
.LBB7_1030:                             ;   Parent Loop BB7_1027 Depth=1
                                        ; =>  This Inner Loop Header: Depth=2
	global_load_ubyte v4, v28, s[28:29]
	s_waitcnt vmcnt(0)
	v_and_b32_e32 v27, 0xffff, v4
	v_lshlrev_b64 v[4:5], s26, v[27:28]
	s_add_u32 s26, s26, 8
	s_addc_u32 s27, s27, 0
	s_add_u32 s28, s28, 1
	s_addc_u32 s29, s29, 0
	v_or_b32_e32 v10, v4, v10
	s_cmp_lg_u32 s24, s26
	v_or_b32_e32 v11, v5, v11
	s_cbranch_scc1 .LBB7_1030
.LBB7_1031:                             ;   in Loop: Header=BB7_1027 Depth=1
	s_mov_b32 s15, 0
	s_andn2_b64 vcc, exec, s[4:5]
	s_mov_b64 s[4:5], s[18:19]
	s_cbranch_vccz .LBB7_1033
	s_branch .LBB7_1034
.LBB7_1032:                             ;   in Loop: Header=BB7_1027 Depth=1
                                        ; implicit-def: $vgpr10_vgpr11
                                        ; implicit-def: $sgpr15
	s_mov_b64 s[4:5], s[18:19]
.LBB7_1033:                             ;   in Loop: Header=BB7_1027 Depth=1
	global_load_dwordx2 v[10:11], v28, s[18:19]
	s_add_i32 s15, s22, -8
	s_add_u32 s4, s18, 8
	s_addc_u32 s5, s19, 0
.LBB7_1034:                             ;   in Loop: Header=BB7_1027 Depth=1
	s_cmp_gt_u32 s15, 7
	s_cbranch_scc1 .LBB7_1038
; %bb.1035:                             ;   in Loop: Header=BB7_1027 Depth=1
	s_cmp_eq_u32 s15, 0
	s_cbranch_scc1 .LBB7_1039
; %bb.1036:                             ;   in Loop: Header=BB7_1027 Depth=1
	v_mov_b32_e32 v12, 0
	s_mov_b64 s[24:25], 0
	v_mov_b32_e32 v13, 0
	s_mov_b64 s[26:27], 0
.LBB7_1037:                             ;   Parent Loop BB7_1027 Depth=1
                                        ; =>  This Inner Loop Header: Depth=2
	s_add_u32 s28, s4, s26
	s_addc_u32 s29, s5, s27
	global_load_ubyte v4, v28, s[28:29]
	s_add_u32 s26, s26, 1
	s_addc_u32 s27, s27, 0
	s_waitcnt vmcnt(0)
	v_and_b32_e32 v27, 0xffff, v4
	v_lshlrev_b64 v[4:5], s24, v[27:28]
	s_add_u32 s24, s24, 8
	s_addc_u32 s25, s25, 0
	v_or_b32_e32 v12, v4, v12
	s_cmp_lg_u32 s15, s26
	v_or_b32_e32 v13, v5, v13
	s_cbranch_scc1 .LBB7_1037
	s_branch .LBB7_1040
.LBB7_1038:                             ;   in Loop: Header=BB7_1027 Depth=1
                                        ; implicit-def: $vgpr12_vgpr13
                                        ; implicit-def: $sgpr28
	s_branch .LBB7_1041
.LBB7_1039:                             ;   in Loop: Header=BB7_1027 Depth=1
	v_mov_b32_e32 v12, 0
	v_mov_b32_e32 v13, 0
.LBB7_1040:                             ;   in Loop: Header=BB7_1027 Depth=1
	s_mov_b32 s28, 0
	s_cbranch_execnz .LBB7_1042
.LBB7_1041:                             ;   in Loop: Header=BB7_1027 Depth=1
	global_load_dwordx2 v[12:13], v28, s[4:5]
	s_add_i32 s28, s15, -8
	s_add_u32 s4, s4, 8
	s_addc_u32 s5, s5, 0
.LBB7_1042:                             ;   in Loop: Header=BB7_1027 Depth=1
	s_cmp_gt_u32 s28, 7
	s_cbranch_scc1 .LBB7_1046
; %bb.1043:                             ;   in Loop: Header=BB7_1027 Depth=1
	s_cmp_eq_u32 s28, 0
	s_cbranch_scc1 .LBB7_1047
; %bb.1044:                             ;   in Loop: Header=BB7_1027 Depth=1
	v_mov_b32_e32 v14, 0
	s_mov_b64 s[24:25], 0
	v_mov_b32_e32 v15, 0
	s_mov_b64 s[26:27], 0
.LBB7_1045:                             ;   Parent Loop BB7_1027 Depth=1
                                        ; =>  This Inner Loop Header: Depth=2
	s_add_u32 vcc_lo, s4, s26
	s_addc_u32 vcc_hi, s5, s27
	global_load_ubyte v4, v28, vcc
	s_add_u32 s26, s26, 1
	s_addc_u32 s27, s27, 0
	s_waitcnt vmcnt(0)
	v_and_b32_e32 v27, 0xffff, v4
	v_lshlrev_b64 v[4:5], s24, v[27:28]
	s_add_u32 s24, s24, 8
	s_addc_u32 s25, s25, 0
	v_or_b32_e32 v14, v4, v14
	s_cmp_lg_u32 s28, s26
	v_or_b32_e32 v15, v5, v15
	s_cbranch_scc1 .LBB7_1045
	s_branch .LBB7_1048
.LBB7_1046:                             ;   in Loop: Header=BB7_1027 Depth=1
                                        ; implicit-def: $sgpr15
	s_branch .LBB7_1049
.LBB7_1047:                             ;   in Loop: Header=BB7_1027 Depth=1
	v_mov_b32_e32 v14, 0
	v_mov_b32_e32 v15, 0
.LBB7_1048:                             ;   in Loop: Header=BB7_1027 Depth=1
	s_mov_b32 s15, 0
	s_cbranch_execnz .LBB7_1050
.LBB7_1049:                             ;   in Loop: Header=BB7_1027 Depth=1
	global_load_dwordx2 v[14:15], v28, s[4:5]
	s_add_i32 s15, s28, -8
	s_add_u32 s4, s4, 8
	s_addc_u32 s5, s5, 0
.LBB7_1050:                             ;   in Loop: Header=BB7_1027 Depth=1
	s_cmp_gt_u32 s15, 7
	s_cbranch_scc1 .LBB7_1054
; %bb.1051:                             ;   in Loop: Header=BB7_1027 Depth=1
	s_cmp_eq_u32 s15, 0
	s_cbranch_scc1 .LBB7_1055
; %bb.1052:                             ;   in Loop: Header=BB7_1027 Depth=1
	v_mov_b32_e32 v16, 0
	s_mov_b64 s[24:25], 0
	v_mov_b32_e32 v17, 0
	s_mov_b64 s[26:27], 0
.LBB7_1053:                             ;   Parent Loop BB7_1027 Depth=1
                                        ; =>  This Inner Loop Header: Depth=2
	s_add_u32 s28, s4, s26
	s_addc_u32 s29, s5, s27
	global_load_ubyte v4, v28, s[28:29]
	s_add_u32 s26, s26, 1
	s_addc_u32 s27, s27, 0
	s_waitcnt vmcnt(0)
	v_and_b32_e32 v27, 0xffff, v4
	v_lshlrev_b64 v[4:5], s24, v[27:28]
	s_add_u32 s24, s24, 8
	s_addc_u32 s25, s25, 0
	v_or_b32_e32 v16, v4, v16
	s_cmp_lg_u32 s15, s26
	v_or_b32_e32 v17, v5, v17
	s_cbranch_scc1 .LBB7_1053
	s_branch .LBB7_1056
.LBB7_1054:                             ;   in Loop: Header=BB7_1027 Depth=1
                                        ; implicit-def: $vgpr16_vgpr17
                                        ; implicit-def: $sgpr28
	s_branch .LBB7_1057
.LBB7_1055:                             ;   in Loop: Header=BB7_1027 Depth=1
	v_mov_b32_e32 v16, 0
	v_mov_b32_e32 v17, 0
.LBB7_1056:                             ;   in Loop: Header=BB7_1027 Depth=1
	s_mov_b32 s28, 0
	s_cbranch_execnz .LBB7_1058
.LBB7_1057:                             ;   in Loop: Header=BB7_1027 Depth=1
	global_load_dwordx2 v[16:17], v28, s[4:5]
	s_add_i32 s28, s15, -8
	s_add_u32 s4, s4, 8
	s_addc_u32 s5, s5, 0
.LBB7_1058:                             ;   in Loop: Header=BB7_1027 Depth=1
	s_cmp_gt_u32 s28, 7
	s_cbranch_scc1 .LBB7_1062
; %bb.1059:                             ;   in Loop: Header=BB7_1027 Depth=1
	s_cmp_eq_u32 s28, 0
	s_cbranch_scc1 .LBB7_1063
; %bb.1060:                             ;   in Loop: Header=BB7_1027 Depth=1
	v_mov_b32_e32 v18, 0
	s_mov_b64 s[24:25], 0
	v_mov_b32_e32 v19, 0
	s_mov_b64 s[26:27], 0
.LBB7_1061:                             ;   Parent Loop BB7_1027 Depth=1
                                        ; =>  This Inner Loop Header: Depth=2
	s_add_u32 vcc_lo, s4, s26
	s_addc_u32 vcc_hi, s5, s27
	global_load_ubyte v4, v28, vcc
	s_add_u32 s26, s26, 1
	s_addc_u32 s27, s27, 0
	s_waitcnt vmcnt(0)
	v_and_b32_e32 v27, 0xffff, v4
	v_lshlrev_b64 v[4:5], s24, v[27:28]
	s_add_u32 s24, s24, 8
	s_addc_u32 s25, s25, 0
	v_or_b32_e32 v18, v4, v18
	s_cmp_lg_u32 s28, s26
	v_or_b32_e32 v19, v5, v19
	s_cbranch_scc1 .LBB7_1061
	s_branch .LBB7_1064
.LBB7_1062:                             ;   in Loop: Header=BB7_1027 Depth=1
                                        ; implicit-def: $sgpr15
	s_branch .LBB7_1065
.LBB7_1063:                             ;   in Loop: Header=BB7_1027 Depth=1
	v_mov_b32_e32 v18, 0
	v_mov_b32_e32 v19, 0
.LBB7_1064:                             ;   in Loop: Header=BB7_1027 Depth=1
	s_mov_b32 s15, 0
	s_cbranch_execnz .LBB7_1066
.LBB7_1065:                             ;   in Loop: Header=BB7_1027 Depth=1
	global_load_dwordx2 v[18:19], v28, s[4:5]
	s_add_i32 s15, s28, -8
	s_add_u32 s4, s4, 8
	s_addc_u32 s5, s5, 0
.LBB7_1066:                             ;   in Loop: Header=BB7_1027 Depth=1
	s_cmp_gt_u32 s15, 7
	s_cbranch_scc1 .LBB7_1070
; %bb.1067:                             ;   in Loop: Header=BB7_1027 Depth=1
	s_cmp_eq_u32 s15, 0
	s_cbranch_scc1 .LBB7_1071
; %bb.1068:                             ;   in Loop: Header=BB7_1027 Depth=1
	v_mov_b32_e32 v20, 0
	s_mov_b64 s[24:25], 0
	v_mov_b32_e32 v21, 0
	s_mov_b64 s[26:27], 0
.LBB7_1069:                             ;   Parent Loop BB7_1027 Depth=1
                                        ; =>  This Inner Loop Header: Depth=2
	s_add_u32 s28, s4, s26
	s_addc_u32 s29, s5, s27
	global_load_ubyte v4, v28, s[28:29]
	s_add_u32 s26, s26, 1
	s_addc_u32 s27, s27, 0
	s_waitcnt vmcnt(0)
	v_and_b32_e32 v27, 0xffff, v4
	v_lshlrev_b64 v[4:5], s24, v[27:28]
	s_add_u32 s24, s24, 8
	s_addc_u32 s25, s25, 0
	v_or_b32_e32 v20, v4, v20
	s_cmp_lg_u32 s15, s26
	v_or_b32_e32 v21, v5, v21
	s_cbranch_scc1 .LBB7_1069
	s_branch .LBB7_1072
.LBB7_1070:                             ;   in Loop: Header=BB7_1027 Depth=1
                                        ; implicit-def: $vgpr20_vgpr21
                                        ; implicit-def: $sgpr28
	s_branch .LBB7_1073
.LBB7_1071:                             ;   in Loop: Header=BB7_1027 Depth=1
	v_mov_b32_e32 v20, 0
	v_mov_b32_e32 v21, 0
.LBB7_1072:                             ;   in Loop: Header=BB7_1027 Depth=1
	s_mov_b32 s28, 0
	s_cbranch_execnz .LBB7_1074
.LBB7_1073:                             ;   in Loop: Header=BB7_1027 Depth=1
	global_load_dwordx2 v[20:21], v28, s[4:5]
	s_add_i32 s28, s15, -8
	s_add_u32 s4, s4, 8
	s_addc_u32 s5, s5, 0
.LBB7_1074:                             ;   in Loop: Header=BB7_1027 Depth=1
	s_cmp_gt_u32 s28, 7
	s_cbranch_scc1 .LBB7_1078
; %bb.1075:                             ;   in Loop: Header=BB7_1027 Depth=1
	s_cmp_eq_u32 s28, 0
	s_cbranch_scc1 .LBB7_1079
; %bb.1076:                             ;   in Loop: Header=BB7_1027 Depth=1
	v_mov_b32_e32 v22, 0
	s_mov_b64 s[24:25], 0
	v_mov_b32_e32 v23, 0
	s_mov_b64 s[26:27], s[4:5]
.LBB7_1077:                             ;   Parent Loop BB7_1027 Depth=1
                                        ; =>  This Inner Loop Header: Depth=2
	global_load_ubyte v4, v28, s[26:27]
	s_add_i32 s28, s28, -1
	s_waitcnt vmcnt(0)
	v_and_b32_e32 v27, 0xffff, v4
	v_lshlrev_b64 v[4:5], s24, v[27:28]
	s_add_u32 s24, s24, 8
	s_addc_u32 s25, s25, 0
	s_add_u32 s26, s26, 1
	s_addc_u32 s27, s27, 0
	v_or_b32_e32 v22, v4, v22
	s_cmp_lg_u32 s28, 0
	v_or_b32_e32 v23, v5, v23
	s_cbranch_scc1 .LBB7_1077
	s_branch .LBB7_1080
.LBB7_1078:                             ;   in Loop: Header=BB7_1027 Depth=1
	s_branch .LBB7_1081
.LBB7_1079:                             ;   in Loop: Header=BB7_1027 Depth=1
	v_mov_b32_e32 v22, 0
	v_mov_b32_e32 v23, 0
.LBB7_1080:                             ;   in Loop: Header=BB7_1027 Depth=1
	s_cbranch_execnz .LBB7_1082
.LBB7_1081:                             ;   in Loop: Header=BB7_1027 Depth=1
	global_load_dwordx2 v[22:23], v28, s[4:5]
.LBB7_1082:                             ;   in Loop: Header=BB7_1027 Depth=1
	v_readfirstlane_b32 s4, v32
	s_waitcnt vmcnt(0)
	v_mov_b32_e32 v4, 0
	v_mov_b32_e32 v5, 0
	v_cmp_eq_u32_e64 s[4:5], s4, v32
	s_and_saveexec_b64 s[24:25], s[4:5]
	s_cbranch_execz .LBB7_1088
; %bb.1083:                             ;   in Loop: Header=BB7_1027 Depth=1
	global_load_dwordx2 v[26:27], v28, s[6:7] offset:24 glc
	s_waitcnt vmcnt(0)
	buffer_wbinvl1_vol
	global_load_dwordx2 v[4:5], v28, s[6:7] offset:40
	global_load_dwordx2 v[8:9], v28, s[6:7]
	s_waitcnt vmcnt(1)
	v_and_b32_e32 v4, v4, v26
	v_and_b32_e32 v5, v5, v27
	v_mul_lo_u32 v5, v5, 24
	v_mul_hi_u32 v24, v4, 24
	v_mul_lo_u32 v4, v4, 24
	v_add_u32_e32 v5, v24, v5
	s_waitcnt vmcnt(0)
	v_add_co_u32_e32 v4, vcc, v8, v4
	v_addc_co_u32_e32 v5, vcc, v9, v5, vcc
	global_load_dwordx2 v[24:25], v[4:5], off glc
	s_waitcnt vmcnt(0)
	global_atomic_cmpswap_x2 v[4:5], v28, v[24:27], s[6:7] offset:24 glc
	s_waitcnt vmcnt(0)
	buffer_wbinvl1_vol
	v_cmp_ne_u64_e32 vcc, v[4:5], v[26:27]
	s_and_saveexec_b64 s[26:27], vcc
	s_cbranch_execz .LBB7_1087
; %bb.1084:                             ;   in Loop: Header=BB7_1027 Depth=1
	s_mov_b64 s[28:29], 0
.LBB7_1085:                             ;   Parent Loop BB7_1027 Depth=1
                                        ; =>  This Inner Loop Header: Depth=2
	s_sleep 1
	global_load_dwordx2 v[8:9], v28, s[6:7] offset:40
	global_load_dwordx2 v[24:25], v28, s[6:7]
	v_mov_b32_e32 v27, v5
	v_mov_b32_e32 v26, v4
	s_waitcnt vmcnt(1)
	v_and_b32_e32 v4, v8, v26
	s_waitcnt vmcnt(0)
	v_mad_u64_u32 v[4:5], vcc, v4, 24, v[24:25]
	v_and_b32_e32 v8, v9, v27
	v_mad_u64_u32 v[8:9], vcc, v8, 24, v[5:6]
	v_mov_b32_e32 v5, v8
	global_load_dwordx2 v[24:25], v[4:5], off glc
	s_waitcnt vmcnt(0)
	global_atomic_cmpswap_x2 v[4:5], v28, v[24:27], s[6:7] offset:24 glc
	s_waitcnt vmcnt(0)
	buffer_wbinvl1_vol
	v_cmp_eq_u64_e32 vcc, v[4:5], v[26:27]
	s_or_b64 s[28:29], vcc, s[28:29]
	s_andn2_b64 exec, exec, s[28:29]
	s_cbranch_execnz .LBB7_1085
; %bb.1086:                             ;   in Loop: Header=BB7_1027 Depth=1
	s_or_b64 exec, exec, s[28:29]
.LBB7_1087:                             ;   in Loop: Header=BB7_1027 Depth=1
	s_or_b64 exec, exec, s[26:27]
.LBB7_1088:                             ;   in Loop: Header=BB7_1027 Depth=1
	s_or_b64 exec, exec, s[24:25]
	global_load_dwordx2 v[8:9], v28, s[6:7] offset:40
	global_load_dwordx4 v[24:27], v28, s[6:7]
	v_readfirstlane_b32 s24, v4
	v_readfirstlane_b32 s25, v5
	s_mov_b64 s[26:27], exec
	s_waitcnt vmcnt(1)
	v_readfirstlane_b32 s28, v8
	v_readfirstlane_b32 s29, v9
	s_and_b64 s[28:29], s[24:25], s[28:29]
	s_mul_i32 s15, s29, 24
	s_mul_hi_u32 vcc_lo, s28, 24
	s_mul_i32 vcc_hi, s28, 24
	s_add_i32 s15, vcc_lo, s15
	v_mov_b32_e32 v4, s15
	s_waitcnt vmcnt(0)
	v_add_co_u32_e32 v29, vcc, vcc_hi, v24
	v_addc_co_u32_e32 v30, vcc, v25, v4, vcc
	s_and_saveexec_b64 vcc, s[4:5]
	s_cbranch_execz .LBB7_1090
; %bb.1089:                             ;   in Loop: Header=BB7_1027 Depth=1
	v_mov_b32_e32 v4, s26
	v_mov_b32_e32 v5, s27
	global_store_dwordx4 v[29:30], v[4:7], off offset:8
.LBB7_1090:                             ;   in Loop: Header=BB7_1027 Depth=1
	s_or_b64 exec, exec, vcc
	s_lshl_b64 s[26:27], s[28:29], 12
	v_mov_b32_e32 v4, s27
	v_add_co_u32_e32 v26, vcc, s26, v26
	v_addc_co_u32_e32 v34, vcc, v27, v4, vcc
	v_cmp_gt_u64_e64 vcc, s[20:21], 56
	v_or_b32_e32 v5, v2, v33
	s_lshl_b32 s15, s22, 2
	v_cndmask_b32_e32 v2, v5, v2, vcc
	s_add_i32 s15, s15, 28
	v_or_b32_e32 v4, 0, v3
	s_and_b32 s15, s15, 0x1e0
	v_and_b32_e32 v2, 0xffffff1f, v2
	v_cndmask_b32_e32 v9, v4, v3, vcc
	v_or_b32_e32 v8, s15, v2
	v_readfirstlane_b32 s26, v26
	v_readfirstlane_b32 s27, v34
	s_nop 4
	global_store_dwordx4 v31, v[8:11], s[26:27]
	global_store_dwordx4 v31, v[12:15], s[26:27] offset:16
	global_store_dwordx4 v31, v[16:19], s[26:27] offset:32
	;; [unrolled: 1-line block ×3, first 2 shown]
	s_and_saveexec_b64 s[26:27], s[4:5]
	s_cbranch_execz .LBB7_1098
; %bb.1091:                             ;   in Loop: Header=BB7_1027 Depth=1
	global_load_dwordx2 v[12:13], v28, s[6:7] offset:32 glc
	global_load_dwordx2 v[2:3], v28, s[6:7] offset:40
	v_mov_b32_e32 v10, s24
	v_mov_b32_e32 v11, s25
	s_waitcnt vmcnt(0)
	v_readfirstlane_b32 s28, v2
	v_readfirstlane_b32 s29, v3
	s_and_b64 s[28:29], s[28:29], s[24:25]
	s_mul_i32 s15, s29, 24
	s_mul_hi_u32 s29, s28, 24
	s_mul_i32 s28, s28, 24
	s_add_i32 s15, s29, s15
	v_mov_b32_e32 v2, s15
	v_add_co_u32_e32 v8, vcc, s28, v24
	v_addc_co_u32_e32 v9, vcc, v25, v2, vcc
	global_store_dwordx2 v[8:9], v[12:13], off
	s_waitcnt vmcnt(0)
	global_atomic_cmpswap_x2 v[4:5], v28, v[10:13], s[6:7] offset:32 glc
	s_waitcnt vmcnt(0)
	v_cmp_ne_u64_e32 vcc, v[4:5], v[12:13]
	s_and_saveexec_b64 s[28:29], vcc
	s_cbranch_execz .LBB7_1094
; %bb.1092:                             ;   in Loop: Header=BB7_1027 Depth=1
	s_mov_b64 s[30:31], 0
.LBB7_1093:                             ;   Parent Loop BB7_1027 Depth=1
                                        ; =>  This Inner Loop Header: Depth=2
	s_sleep 1
	global_store_dwordx2 v[8:9], v[4:5], off
	v_mov_b32_e32 v2, s24
	v_mov_b32_e32 v3, s25
	s_waitcnt vmcnt(0)
	global_atomic_cmpswap_x2 v[2:3], v28, v[2:5], s[6:7] offset:32 glc
	s_waitcnt vmcnt(0)
	v_cmp_eq_u64_e32 vcc, v[2:3], v[4:5]
	v_mov_b32_e32 v5, v3
	s_or_b64 s[30:31], vcc, s[30:31]
	v_mov_b32_e32 v4, v2
	s_andn2_b64 exec, exec, s[30:31]
	s_cbranch_execnz .LBB7_1093
.LBB7_1094:                             ;   in Loop: Header=BB7_1027 Depth=1
	s_or_b64 exec, exec, s[28:29]
	global_load_dwordx2 v[2:3], v28, s[6:7] offset:16
	s_mov_b64 s[30:31], exec
	v_mbcnt_lo_u32_b32 v4, s30, 0
	v_mbcnt_hi_u32_b32 v4, s31, v4
	v_cmp_eq_u32_e32 vcc, 0, v4
	s_and_saveexec_b64 s[28:29], vcc
	s_cbranch_execz .LBB7_1096
; %bb.1095:                             ;   in Loop: Header=BB7_1027 Depth=1
	s_bcnt1_i32_b64 s15, s[30:31]
	v_mov_b32_e32 v27, s15
	s_waitcnt vmcnt(0)
	global_atomic_add_x2 v[2:3], v[27:28], off offset:8
.LBB7_1096:                             ;   in Loop: Header=BB7_1027 Depth=1
	s_or_b64 exec, exec, s[28:29]
	s_waitcnt vmcnt(0)
	global_load_dwordx2 v[4:5], v[2:3], off offset:16
	s_waitcnt vmcnt(0)
	v_cmp_eq_u64_e32 vcc, 0, v[4:5]
	s_cbranch_vccnz .LBB7_1098
; %bb.1097:                             ;   in Loop: Header=BB7_1027 Depth=1
	global_load_dword v27, v[2:3], off offset:24
	s_waitcnt vmcnt(0)
	v_and_b32_e32 v2, 0xffffff, v27
	v_readfirstlane_b32 m0, v2
	global_store_dwordx2 v[4:5], v[27:28], off
	s_sendmsg sendmsg(MSG_INTERRUPT)
.LBB7_1098:                             ;   in Loop: Header=BB7_1027 Depth=1
	s_or_b64 exec, exec, s[26:27]
	v_add_co_u32_e32 v2, vcc, v26, v31
	v_addc_co_u32_e32 v3, vcc, 0, v34, vcc
	s_branch .LBB7_1102
.LBB7_1099:                             ;   in Loop: Header=BB7_1102 Depth=2
	s_or_b64 exec, exec, s[26:27]
	v_readfirstlane_b32 s15, v4
	s_cmp_eq_u32 s15, 0
	s_cbranch_scc1 .LBB7_1101
; %bb.1100:                             ;   in Loop: Header=BB7_1102 Depth=2
	s_sleep 1
	s_cbranch_execnz .LBB7_1102
	s_branch .LBB7_1104
.LBB7_1101:                             ;   in Loop: Header=BB7_1027 Depth=1
	s_branch .LBB7_1104
.LBB7_1102:                             ;   Parent Loop BB7_1027 Depth=1
                                        ; =>  This Inner Loop Header: Depth=2
	v_mov_b32_e32 v4, 1
	s_and_saveexec_b64 s[26:27], s[4:5]
	s_cbranch_execz .LBB7_1099
; %bb.1103:                             ;   in Loop: Header=BB7_1102 Depth=2
	global_load_dword v4, v[29:30], off offset:20 glc
	s_waitcnt vmcnt(0)
	buffer_wbinvl1_vol
	v_and_b32_e32 v4, 1, v4
	s_branch .LBB7_1099
.LBB7_1104:                             ;   in Loop: Header=BB7_1027 Depth=1
	global_load_dwordx4 v[2:5], v[2:3], off
	s_and_saveexec_b64 s[26:27], s[4:5]
	s_cbranch_execz .LBB7_1026
; %bb.1105:                             ;   in Loop: Header=BB7_1027 Depth=1
	global_load_dwordx2 v[4:5], v28, s[6:7] offset:40
	global_load_dwordx2 v[12:13], v28, s[6:7] offset:24 glc
	global_load_dwordx2 v[14:15], v28, s[6:7]
	v_mov_b32_e32 v9, s25
	s_waitcnt vmcnt(2)
	v_add_co_u32_e32 v10, vcc, 1, v4
	v_addc_co_u32_e32 v11, vcc, 0, v5, vcc
	v_add_co_u32_e32 v8, vcc, s24, v10
	v_addc_co_u32_e32 v9, vcc, v11, v9, vcc
	v_cmp_eq_u64_e32 vcc, 0, v[8:9]
	v_cndmask_b32_e32 v9, v9, v11, vcc
	v_cndmask_b32_e32 v8, v8, v10, vcc
	v_and_b32_e32 v5, v9, v5
	v_and_b32_e32 v4, v8, v4
	v_mul_lo_u32 v5, v5, 24
	v_mul_hi_u32 v11, v4, 24
	v_mul_lo_u32 v4, v4, 24
	s_waitcnt vmcnt(1)
	v_mov_b32_e32 v10, v12
	v_add_u32_e32 v5, v11, v5
	s_waitcnt vmcnt(0)
	v_add_co_u32_e32 v4, vcc, v14, v4
	v_addc_co_u32_e32 v5, vcc, v15, v5, vcc
	global_store_dwordx2 v[4:5], v[12:13], off
	v_mov_b32_e32 v11, v13
	s_waitcnt vmcnt(0)
	global_atomic_cmpswap_x2 v[10:11], v28, v[8:11], s[6:7] offset:24 glc
	s_waitcnt vmcnt(0)
	v_cmp_ne_u64_e32 vcc, v[10:11], v[12:13]
	s_and_b64 exec, exec, vcc
	s_cbranch_execz .LBB7_1026
; %bb.1106:                             ;   in Loop: Header=BB7_1027 Depth=1
	s_mov_b64 s[4:5], 0
.LBB7_1107:                             ;   Parent Loop BB7_1027 Depth=1
                                        ; =>  This Inner Loop Header: Depth=2
	s_sleep 1
	global_store_dwordx2 v[4:5], v[10:11], off
	s_waitcnt vmcnt(0)
	global_atomic_cmpswap_x2 v[12:13], v28, v[8:11], s[6:7] offset:24 glc
	s_waitcnt vmcnt(0)
	v_cmp_eq_u64_e32 vcc, v[12:13], v[10:11]
	v_mov_b32_e32 v10, v12
	s_or_b64 s[4:5], vcc, s[4:5]
	v_mov_b32_e32 v11, v13
	s_andn2_b64 exec, exec, s[4:5]
	s_cbranch_execnz .LBB7_1107
	s_branch .LBB7_1026
.LBB7_1108:
	s_branch .LBB7_1136
.LBB7_1109:
                                        ; implicit-def: $vgpr2_vgpr3
	s_cbranch_execz .LBB7_1136
; %bb.1110:
	v_readfirstlane_b32 s4, v32
	v_mov_b32_e32 v8, 0
	v_mov_b32_e32 v9, 0
	v_cmp_eq_u32_e64 s[4:5], s4, v32
	s_and_saveexec_b64 s[18:19], s[4:5]
	s_cbranch_execz .LBB7_1116
; %bb.1111:
	s_waitcnt vmcnt(0)
	v_mov_b32_e32 v2, 0
	global_load_dwordx2 v[5:6], v2, s[6:7] offset:24 glc
	s_waitcnt vmcnt(0)
	buffer_wbinvl1_vol
	global_load_dwordx2 v[3:4], v2, s[6:7] offset:40
	global_load_dwordx2 v[7:8], v2, s[6:7]
	s_waitcnt vmcnt(1)
	v_and_b32_e32 v3, v3, v5
	v_and_b32_e32 v4, v4, v6
	v_mul_lo_u32 v4, v4, 24
	v_mul_hi_u32 v9, v3, 24
	v_mul_lo_u32 v3, v3, 24
	v_add_u32_e32 v4, v9, v4
	s_waitcnt vmcnt(0)
	v_add_co_u32_e32 v3, vcc, v7, v3
	v_addc_co_u32_e32 v4, vcc, v8, v4, vcc
	global_load_dwordx2 v[3:4], v[3:4], off glc
	s_waitcnt vmcnt(0)
	global_atomic_cmpswap_x2 v[8:9], v2, v[3:6], s[6:7] offset:24 glc
	s_waitcnt vmcnt(0)
	buffer_wbinvl1_vol
	v_cmp_ne_u64_e32 vcc, v[8:9], v[5:6]
	s_and_saveexec_b64 s[20:21], vcc
	s_cbranch_execz .LBB7_1115
; %bb.1112:
	s_mov_b64 s[22:23], 0
.LBB7_1113:                             ; =>This Inner Loop Header: Depth=1
	s_sleep 1
	global_load_dwordx2 v[3:4], v2, s[6:7] offset:40
	global_load_dwordx2 v[10:11], v2, s[6:7]
	v_mov_b32_e32 v5, v8
	v_mov_b32_e32 v6, v9
	s_waitcnt vmcnt(1)
	v_and_b32_e32 v3, v3, v5
	s_waitcnt vmcnt(0)
	v_mad_u64_u32 v[7:8], s[24:25], v3, 24, v[10:11]
	v_and_b32_e32 v4, v4, v6
	v_mov_b32_e32 v3, v8
	v_mad_u64_u32 v[3:4], s[24:25], v4, 24, v[3:4]
	v_mov_b32_e32 v8, v3
	global_load_dwordx2 v[3:4], v[7:8], off glc
	s_waitcnt vmcnt(0)
	global_atomic_cmpswap_x2 v[8:9], v2, v[3:6], s[6:7] offset:24 glc
	s_waitcnt vmcnt(0)
	buffer_wbinvl1_vol
	v_cmp_eq_u64_e32 vcc, v[8:9], v[5:6]
	s_or_b64 s[22:23], vcc, s[22:23]
	s_andn2_b64 exec, exec, s[22:23]
	s_cbranch_execnz .LBB7_1113
; %bb.1114:
	s_or_b64 exec, exec, s[22:23]
.LBB7_1115:
	s_or_b64 exec, exec, s[20:21]
.LBB7_1116:
	s_or_b64 exec, exec, s[18:19]
	s_waitcnt vmcnt(0)
	v_mov_b32_e32 v2, 0
	global_load_dwordx2 v[10:11], v2, s[6:7] offset:40
	global_load_dwordx4 v[4:7], v2, s[6:7]
	v_readfirstlane_b32 s18, v8
	v_readfirstlane_b32 s19, v9
	s_mov_b64 s[20:21], exec
	s_waitcnt vmcnt(1)
	v_readfirstlane_b32 s22, v10
	v_readfirstlane_b32 s23, v11
	s_and_b64 s[22:23], s[18:19], s[22:23]
	s_mul_i32 s15, s23, 24
	s_mul_hi_u32 s24, s22, 24
	s_mul_i32 s25, s22, 24
	s_add_i32 s15, s24, s15
	v_mov_b32_e32 v3, s15
	s_waitcnt vmcnt(0)
	v_add_co_u32_e32 v8, vcc, s25, v4
	v_addc_co_u32_e32 v9, vcc, v5, v3, vcc
	s_and_saveexec_b64 s[24:25], s[4:5]
	s_cbranch_execz .LBB7_1118
; %bb.1117:
	v_mov_b32_e32 v10, s20
	v_mov_b32_e32 v11, s21
	;; [unrolled: 1-line block ×4, first 2 shown]
	global_store_dwordx4 v[8:9], v[10:13], off offset:8
.LBB7_1118:
	s_or_b64 exec, exec, s[24:25]
	s_lshl_b64 s[20:21], s[22:23], 12
	v_mov_b32_e32 v3, s21
	v_add_co_u32_e32 v10, vcc, s20, v6
	v_addc_co_u32_e32 v11, vcc, v7, v3, vcc
	s_movk_i32 s15, 0xff1f
	v_and_or_b32 v0, v0, s15, 32
	s_mov_b32 s20, 0
	v_mov_b32_e32 v3, v2
	v_readfirstlane_b32 s24, v10
	v_readfirstlane_b32 s25, v11
	v_add_co_u32_e32 v6, vcc, v10, v31
	s_mov_b32 s21, s20
	s_mov_b32 s22, s20
	;; [unrolled: 1-line block ×3, first 2 shown]
	s_nop 0
	global_store_dwordx4 v31, v[0:3], s[24:25]
	v_addc_co_u32_e32 v7, vcc, 0, v11, vcc
	v_mov_b32_e32 v0, s20
	v_mov_b32_e32 v1, s21
	;; [unrolled: 1-line block ×4, first 2 shown]
	global_store_dwordx4 v31, v[0:3], s[24:25] offset:16
	global_store_dwordx4 v31, v[0:3], s[24:25] offset:32
	;; [unrolled: 1-line block ×3, first 2 shown]
	s_and_saveexec_b64 s[20:21], s[4:5]
	s_cbranch_execz .LBB7_1126
; %bb.1119:
	v_mov_b32_e32 v10, 0
	global_load_dwordx2 v[13:14], v10, s[6:7] offset:32 glc
	global_load_dwordx2 v[0:1], v10, s[6:7] offset:40
	v_mov_b32_e32 v11, s18
	v_mov_b32_e32 v12, s19
	s_waitcnt vmcnt(0)
	v_readfirstlane_b32 s22, v0
	v_readfirstlane_b32 s23, v1
	s_and_b64 s[22:23], s[22:23], s[18:19]
	s_mul_i32 s15, s23, 24
	s_mul_hi_u32 s23, s22, 24
	s_mul_i32 s22, s22, 24
	s_add_i32 s15, s23, s15
	v_mov_b32_e32 v0, s15
	v_add_co_u32_e32 v4, vcc, s22, v4
	v_addc_co_u32_e32 v5, vcc, v5, v0, vcc
	global_store_dwordx2 v[4:5], v[13:14], off
	s_waitcnt vmcnt(0)
	global_atomic_cmpswap_x2 v[2:3], v10, v[11:14], s[6:7] offset:32 glc
	s_waitcnt vmcnt(0)
	v_cmp_ne_u64_e32 vcc, v[2:3], v[13:14]
	s_and_saveexec_b64 s[22:23], vcc
	s_cbranch_execz .LBB7_1122
; %bb.1120:
	s_mov_b64 s[24:25], 0
.LBB7_1121:                             ; =>This Inner Loop Header: Depth=1
	s_sleep 1
	global_store_dwordx2 v[4:5], v[2:3], off
	v_mov_b32_e32 v0, s18
	v_mov_b32_e32 v1, s19
	s_waitcnt vmcnt(0)
	global_atomic_cmpswap_x2 v[0:1], v10, v[0:3], s[6:7] offset:32 glc
	s_waitcnt vmcnt(0)
	v_cmp_eq_u64_e32 vcc, v[0:1], v[2:3]
	v_mov_b32_e32 v3, v1
	s_or_b64 s[24:25], vcc, s[24:25]
	v_mov_b32_e32 v2, v0
	s_andn2_b64 exec, exec, s[24:25]
	s_cbranch_execnz .LBB7_1121
.LBB7_1122:
	s_or_b64 exec, exec, s[22:23]
	v_mov_b32_e32 v3, 0
	global_load_dwordx2 v[0:1], v3, s[6:7] offset:16
	s_mov_b64 s[22:23], exec
	v_mbcnt_lo_u32_b32 v2, s22, 0
	v_mbcnt_hi_u32_b32 v2, s23, v2
	v_cmp_eq_u32_e32 vcc, 0, v2
	s_and_saveexec_b64 s[24:25], vcc
	s_cbranch_execz .LBB7_1124
; %bb.1123:
	s_bcnt1_i32_b64 s15, s[22:23]
	v_mov_b32_e32 v2, s15
	s_waitcnt vmcnt(0)
	global_atomic_add_x2 v[0:1], v[2:3], off offset:8
.LBB7_1124:
	s_or_b64 exec, exec, s[24:25]
	s_waitcnt vmcnt(0)
	global_load_dwordx2 v[2:3], v[0:1], off offset:16
	s_waitcnt vmcnt(0)
	v_cmp_eq_u64_e32 vcc, 0, v[2:3]
	s_cbranch_vccnz .LBB7_1126
; %bb.1125:
	global_load_dword v0, v[0:1], off offset:24
	v_mov_b32_e32 v1, 0
	s_waitcnt vmcnt(0)
	global_store_dwordx2 v[2:3], v[0:1], off
	v_and_b32_e32 v0, 0xffffff, v0
	v_readfirstlane_b32 m0, v0
	s_sendmsg sendmsg(MSG_INTERRUPT)
.LBB7_1126:
	s_or_b64 exec, exec, s[20:21]
	s_branch .LBB7_1130
.LBB7_1127:                             ;   in Loop: Header=BB7_1130 Depth=1
	s_or_b64 exec, exec, s[20:21]
	v_readfirstlane_b32 s15, v0
	s_cmp_eq_u32 s15, 0
	s_cbranch_scc1 .LBB7_1129
; %bb.1128:                             ;   in Loop: Header=BB7_1130 Depth=1
	s_sleep 1
	s_cbranch_execnz .LBB7_1130
	s_branch .LBB7_1132
.LBB7_1129:
	s_branch .LBB7_1132
.LBB7_1130:                             ; =>This Inner Loop Header: Depth=1
	v_mov_b32_e32 v0, 1
	s_and_saveexec_b64 s[20:21], s[4:5]
	s_cbranch_execz .LBB7_1127
; %bb.1131:                             ;   in Loop: Header=BB7_1130 Depth=1
	global_load_dword v0, v[8:9], off offset:20 glc
	s_waitcnt vmcnt(0)
	buffer_wbinvl1_vol
	v_and_b32_e32 v0, 1, v0
	s_branch .LBB7_1127
.LBB7_1132:
	global_load_dwordx2 v[2:3], v[6:7], off
	s_and_saveexec_b64 s[20:21], s[4:5]
	s_cbranch_execz .LBB7_1135
; %bb.1133:
	v_mov_b32_e32 v8, 0
	global_load_dwordx2 v[0:1], v8, s[6:7] offset:40
	global_load_dwordx2 v[9:10], v8, s[6:7] offset:24 glc
	global_load_dwordx2 v[11:12], v8, s[6:7]
	v_mov_b32_e32 v5, s19
	s_mov_b64 s[4:5], 0
	s_waitcnt vmcnt(2)
	v_add_co_u32_e32 v6, vcc, 1, v0
	v_addc_co_u32_e32 v7, vcc, 0, v1, vcc
	v_add_co_u32_e32 v4, vcc, s18, v6
	v_addc_co_u32_e32 v5, vcc, v7, v5, vcc
	v_cmp_eq_u64_e32 vcc, 0, v[4:5]
	v_cndmask_b32_e32 v5, v5, v7, vcc
	v_cndmask_b32_e32 v4, v4, v6, vcc
	v_and_b32_e32 v1, v5, v1
	v_and_b32_e32 v0, v4, v0
	v_mul_lo_u32 v1, v1, 24
	v_mul_hi_u32 v7, v0, 24
	v_mul_lo_u32 v0, v0, 24
	s_waitcnt vmcnt(1)
	v_mov_b32_e32 v6, v9
	v_add_u32_e32 v1, v7, v1
	s_waitcnt vmcnt(0)
	v_add_co_u32_e32 v0, vcc, v11, v0
	v_addc_co_u32_e32 v1, vcc, v12, v1, vcc
	global_store_dwordx2 v[0:1], v[9:10], off
	v_mov_b32_e32 v7, v10
	s_waitcnt vmcnt(0)
	global_atomic_cmpswap_x2 v[6:7], v8, v[4:7], s[6:7] offset:24 glc
	s_waitcnt vmcnt(0)
	v_cmp_ne_u64_e32 vcc, v[6:7], v[9:10]
	s_and_b64 exec, exec, vcc
	s_cbranch_execz .LBB7_1135
.LBB7_1134:                             ; =>This Inner Loop Header: Depth=1
	s_sleep 1
	global_store_dwordx2 v[0:1], v[6:7], off
	s_waitcnt vmcnt(0)
	global_atomic_cmpswap_x2 v[9:10], v8, v[4:7], s[6:7] offset:24 glc
	s_waitcnt vmcnt(0)
	v_cmp_eq_u64_e32 vcc, v[9:10], v[6:7]
	v_mov_b32_e32 v6, v9
	s_or_b64 s[4:5], vcc, s[4:5]
	v_mov_b32_e32 v7, v10
	s_andn2_b64 exec, exec, s[4:5]
	s_cbranch_execnz .LBB7_1134
.LBB7_1135:
	s_or_b64 exec, exec, s[20:21]
.LBB7_1136:
	v_readfirstlane_b32 s4, v32
	s_waitcnt vmcnt(0)
	v_mov_b32_e32 v0, 0
	v_mov_b32_e32 v1, 0
	v_cmp_eq_u32_e64 s[4:5], s4, v32
	s_and_saveexec_b64 s[18:19], s[4:5]
	s_cbranch_execz .LBB7_1142
; %bb.1137:
	v_mov_b32_e32 v4, 0
	global_load_dwordx2 v[7:8], v4, s[6:7] offset:24 glc
	s_waitcnt vmcnt(0)
	buffer_wbinvl1_vol
	global_load_dwordx2 v[0:1], v4, s[6:7] offset:40
	global_load_dwordx2 v[5:6], v4, s[6:7]
	s_waitcnt vmcnt(1)
	v_and_b32_e32 v0, v0, v7
	v_and_b32_e32 v1, v1, v8
	v_mul_lo_u32 v1, v1, 24
	v_mul_hi_u32 v9, v0, 24
	v_mul_lo_u32 v0, v0, 24
	v_add_u32_e32 v1, v9, v1
	s_waitcnt vmcnt(0)
	v_add_co_u32_e32 v0, vcc, v5, v0
	v_addc_co_u32_e32 v1, vcc, v6, v1, vcc
	global_load_dwordx2 v[5:6], v[0:1], off glc
	s_waitcnt vmcnt(0)
	global_atomic_cmpswap_x2 v[0:1], v4, v[5:8], s[6:7] offset:24 glc
	s_waitcnt vmcnt(0)
	buffer_wbinvl1_vol
	v_cmp_ne_u64_e32 vcc, v[0:1], v[7:8]
	s_and_saveexec_b64 s[20:21], vcc
	s_cbranch_execz .LBB7_1141
; %bb.1138:
	s_mov_b64 s[22:23], 0
.LBB7_1139:                             ; =>This Inner Loop Header: Depth=1
	s_sleep 1
	global_load_dwordx2 v[5:6], v4, s[6:7] offset:40
	global_load_dwordx2 v[9:10], v4, s[6:7]
	v_mov_b32_e32 v8, v1
	v_mov_b32_e32 v7, v0
	s_waitcnt vmcnt(1)
	v_and_b32_e32 v0, v5, v7
	s_waitcnt vmcnt(0)
	v_mad_u64_u32 v[0:1], s[24:25], v0, 24, v[9:10]
	v_and_b32_e32 v5, v6, v8
	v_mad_u64_u32 v[5:6], s[24:25], v5, 24, v[1:2]
	v_mov_b32_e32 v1, v5
	global_load_dwordx2 v[5:6], v[0:1], off glc
	s_waitcnt vmcnt(0)
	global_atomic_cmpswap_x2 v[0:1], v4, v[5:8], s[6:7] offset:24 glc
	s_waitcnt vmcnt(0)
	buffer_wbinvl1_vol
	v_cmp_eq_u64_e32 vcc, v[0:1], v[7:8]
	s_or_b64 s[22:23], vcc, s[22:23]
	s_andn2_b64 exec, exec, s[22:23]
	s_cbranch_execnz .LBB7_1139
; %bb.1140:
	s_or_b64 exec, exec, s[22:23]
.LBB7_1141:
	s_or_b64 exec, exec, s[20:21]
.LBB7_1142:
	s_or_b64 exec, exec, s[18:19]
	v_mov_b32_e32 v5, 0
	global_load_dwordx2 v[10:11], v5, s[6:7] offset:40
	global_load_dwordx4 v[6:9], v5, s[6:7]
	v_readfirstlane_b32 s18, v0
	v_readfirstlane_b32 s19, v1
	s_mov_b64 s[20:21], exec
	s_waitcnt vmcnt(1)
	v_readfirstlane_b32 s22, v10
	v_readfirstlane_b32 s23, v11
	s_and_b64 s[22:23], s[18:19], s[22:23]
	s_mul_i32 s15, s23, 24
	s_mul_hi_u32 s24, s22, 24
	s_mul_i32 s25, s22, 24
	s_add_i32 s15, s24, s15
	v_mov_b32_e32 v0, s15
	s_waitcnt vmcnt(0)
	v_add_co_u32_e32 v10, vcc, s25, v6
	v_addc_co_u32_e32 v11, vcc, v7, v0, vcc
	s_and_saveexec_b64 s[24:25], s[4:5]
	s_cbranch_execz .LBB7_1144
; %bb.1143:
	v_mov_b32_e32 v12, s20
	v_mov_b32_e32 v13, s21
	;; [unrolled: 1-line block ×4, first 2 shown]
	global_store_dwordx4 v[10:11], v[12:15], off offset:8
.LBB7_1144:
	s_or_b64 exec, exec, s[24:25]
	s_lshl_b64 s[20:21], s[22:23], 12
	v_mov_b32_e32 v0, s21
	v_add_co_u32_e32 v1, vcc, s20, v8
	v_addc_co_u32_e32 v0, vcc, v9, v0, vcc
	s_movk_i32 s15, 0xff1d
	v_and_or_b32 v2, v2, s15, 34
	s_mov_b32 s20, 0
	v_mov_b32_e32 v4, 58
	v_readfirstlane_b32 s24, v1
	v_readfirstlane_b32 s25, v0
	s_mov_b32 s21, s20
	s_mov_b32 s22, s20
	s_mov_b32 s23, s20
	s_nop 1
	global_store_dwordx4 v31, v[2:5], s[24:25]
	v_mov_b32_e32 v0, s20
	v_mov_b32_e32 v1, s21
	;; [unrolled: 1-line block ×4, first 2 shown]
	global_store_dwordx4 v31, v[0:3], s[24:25] offset:16
	global_store_dwordx4 v31, v[0:3], s[24:25] offset:32
	;; [unrolled: 1-line block ×3, first 2 shown]
	s_and_saveexec_b64 s[20:21], s[4:5]
	s_cbranch_execz .LBB7_1152
; %bb.1145:
	v_mov_b32_e32 v8, 0
	global_load_dwordx2 v[14:15], v8, s[6:7] offset:32 glc
	global_load_dwordx2 v[0:1], v8, s[6:7] offset:40
	v_mov_b32_e32 v12, s18
	v_mov_b32_e32 v13, s19
	s_waitcnt vmcnt(0)
	v_readfirstlane_b32 s22, v0
	v_readfirstlane_b32 s23, v1
	s_and_b64 s[22:23], s[22:23], s[18:19]
	s_mul_i32 s15, s23, 24
	s_mul_hi_u32 s23, s22, 24
	s_mul_i32 s22, s22, 24
	s_add_i32 s15, s23, s15
	v_mov_b32_e32 v0, s15
	v_add_co_u32_e32 v4, vcc, s22, v6
	v_addc_co_u32_e32 v5, vcc, v7, v0, vcc
	global_store_dwordx2 v[4:5], v[14:15], off
	s_waitcnt vmcnt(0)
	global_atomic_cmpswap_x2 v[2:3], v8, v[12:15], s[6:7] offset:32 glc
	s_waitcnt vmcnt(0)
	v_cmp_ne_u64_e32 vcc, v[2:3], v[14:15]
	s_and_saveexec_b64 s[22:23], vcc
	s_cbranch_execz .LBB7_1148
; %bb.1146:
	s_mov_b64 s[24:25], 0
.LBB7_1147:                             ; =>This Inner Loop Header: Depth=1
	s_sleep 1
	global_store_dwordx2 v[4:5], v[2:3], off
	v_mov_b32_e32 v0, s18
	v_mov_b32_e32 v1, s19
	s_waitcnt vmcnt(0)
	global_atomic_cmpswap_x2 v[0:1], v8, v[0:3], s[6:7] offset:32 glc
	s_waitcnt vmcnt(0)
	v_cmp_eq_u64_e32 vcc, v[0:1], v[2:3]
	v_mov_b32_e32 v3, v1
	s_or_b64 s[24:25], vcc, s[24:25]
	v_mov_b32_e32 v2, v0
	s_andn2_b64 exec, exec, s[24:25]
	s_cbranch_execnz .LBB7_1147
.LBB7_1148:
	s_or_b64 exec, exec, s[22:23]
	v_mov_b32_e32 v3, 0
	global_load_dwordx2 v[0:1], v3, s[6:7] offset:16
	s_mov_b64 s[22:23], exec
	v_mbcnt_lo_u32_b32 v2, s22, 0
	v_mbcnt_hi_u32_b32 v2, s23, v2
	v_cmp_eq_u32_e32 vcc, 0, v2
	s_and_saveexec_b64 s[24:25], vcc
	s_cbranch_execz .LBB7_1150
; %bb.1149:
	s_bcnt1_i32_b64 s15, s[22:23]
	v_mov_b32_e32 v2, s15
	s_waitcnt vmcnt(0)
	global_atomic_add_x2 v[0:1], v[2:3], off offset:8
.LBB7_1150:
	s_or_b64 exec, exec, s[24:25]
	s_waitcnt vmcnt(0)
	global_load_dwordx2 v[2:3], v[0:1], off offset:16
	s_waitcnt vmcnt(0)
	v_cmp_eq_u64_e32 vcc, 0, v[2:3]
	s_cbranch_vccnz .LBB7_1152
; %bb.1151:
	global_load_dword v0, v[0:1], off offset:24
	v_mov_b32_e32 v1, 0
	s_waitcnt vmcnt(0)
	global_store_dwordx2 v[2:3], v[0:1], off
	v_and_b32_e32 v0, 0xffffff, v0
	v_readfirstlane_b32 m0, v0
	s_sendmsg sendmsg(MSG_INTERRUPT)
.LBB7_1152:
	s_or_b64 exec, exec, s[20:21]
	s_branch .LBB7_1156
.LBB7_1153:                             ;   in Loop: Header=BB7_1156 Depth=1
	s_or_b64 exec, exec, s[20:21]
	v_readfirstlane_b32 s15, v0
	s_cmp_eq_u32 s15, 0
	s_cbranch_scc1 .LBB7_1155
; %bb.1154:                             ;   in Loop: Header=BB7_1156 Depth=1
	s_sleep 1
	s_cbranch_execnz .LBB7_1156
	s_branch .LBB7_1158
.LBB7_1155:
	s_branch .LBB7_1158
.LBB7_1156:                             ; =>This Inner Loop Header: Depth=1
	v_mov_b32_e32 v0, 1
	s_and_saveexec_b64 s[20:21], s[4:5]
	s_cbranch_execz .LBB7_1153
; %bb.1157:                             ;   in Loop: Header=BB7_1156 Depth=1
	global_load_dword v0, v[10:11], off offset:20 glc
	s_waitcnt vmcnt(0)
	buffer_wbinvl1_vol
	v_and_b32_e32 v0, 1, v0
	s_branch .LBB7_1153
.LBB7_1158:
	s_and_saveexec_b64 s[20:21], s[4:5]
	s_cbranch_execz .LBB7_1161
; %bb.1159:
	v_mov_b32_e32 v6, 0
	global_load_dwordx2 v[2:3], v6, s[6:7] offset:40
	global_load_dwordx2 v[7:8], v6, s[6:7] offset:24 glc
	global_load_dwordx2 v[4:5], v6, s[6:7]
	v_mov_b32_e32 v1, s19
	s_mov_b64 s[4:5], 0
	s_waitcnt vmcnt(2)
	v_add_co_u32_e32 v9, vcc, 1, v2
	v_addc_co_u32_e32 v10, vcc, 0, v3, vcc
	v_add_co_u32_e32 v0, vcc, s18, v9
	v_addc_co_u32_e32 v1, vcc, v10, v1, vcc
	v_cmp_eq_u64_e32 vcc, 0, v[0:1]
	v_cndmask_b32_e32 v1, v1, v10, vcc
	v_cndmask_b32_e32 v0, v0, v9, vcc
	v_and_b32_e32 v3, v1, v3
	v_and_b32_e32 v2, v0, v2
	v_mul_lo_u32 v3, v3, 24
	v_mul_hi_u32 v9, v2, 24
	v_mul_lo_u32 v10, v2, 24
	s_waitcnt vmcnt(1)
	v_mov_b32_e32 v2, v7
	v_add_u32_e32 v3, v9, v3
	s_waitcnt vmcnt(0)
	v_add_co_u32_e32 v4, vcc, v4, v10
	v_addc_co_u32_e32 v5, vcc, v5, v3, vcc
	global_store_dwordx2 v[4:5], v[7:8], off
	v_mov_b32_e32 v3, v8
	s_waitcnt vmcnt(0)
	global_atomic_cmpswap_x2 v[2:3], v6, v[0:3], s[6:7] offset:24 glc
	s_waitcnt vmcnt(0)
	v_cmp_ne_u64_e32 vcc, v[2:3], v[7:8]
	s_and_b64 exec, exec, vcc
	s_cbranch_execz .LBB7_1161
.LBB7_1160:                             ; =>This Inner Loop Header: Depth=1
	s_sleep 1
	global_store_dwordx2 v[4:5], v[2:3], off
	s_waitcnt vmcnt(0)
	global_atomic_cmpswap_x2 v[7:8], v6, v[0:3], s[6:7] offset:24 glc
	s_waitcnt vmcnt(0)
	v_cmp_eq_u64_e32 vcc, v[7:8], v[2:3]
	v_mov_b32_e32 v2, v7
	s_or_b64 s[4:5], vcc, s[4:5]
	v_mov_b32_e32 v3, v8
	s_andn2_b64 exec, exec, s[4:5]
	s_cbranch_execnz .LBB7_1160
.LBB7_1161:
	s_or_b64 exec, exec, s[20:21]
	v_readfirstlane_b32 s4, v32
	v_mov_b32_e32 v5, 0
	v_mov_b32_e32 v6, 0
	v_cmp_eq_u32_e64 s[4:5], s4, v32
	s_and_saveexec_b64 s[18:19], s[4:5]
	s_cbranch_execz .LBB7_1167
; %bb.1162:
	v_mov_b32_e32 v0, 0
	global_load_dwordx2 v[3:4], v0, s[6:7] offset:24 glc
	s_waitcnt vmcnt(0)
	buffer_wbinvl1_vol
	global_load_dwordx2 v[1:2], v0, s[6:7] offset:40
	global_load_dwordx2 v[5:6], v0, s[6:7]
	s_waitcnt vmcnt(1)
	v_and_b32_e32 v1, v1, v3
	v_and_b32_e32 v2, v2, v4
	v_mul_lo_u32 v2, v2, 24
	v_mul_hi_u32 v7, v1, 24
	v_mul_lo_u32 v1, v1, 24
	v_add_u32_e32 v2, v7, v2
	s_waitcnt vmcnt(0)
	v_add_co_u32_e32 v1, vcc, v5, v1
	v_addc_co_u32_e32 v2, vcc, v6, v2, vcc
	global_load_dwordx2 v[1:2], v[1:2], off glc
	s_waitcnt vmcnt(0)
	global_atomic_cmpswap_x2 v[5:6], v0, v[1:4], s[6:7] offset:24 glc
	s_waitcnt vmcnt(0)
	buffer_wbinvl1_vol
	v_cmp_ne_u64_e32 vcc, v[5:6], v[3:4]
	s_and_saveexec_b64 s[20:21], vcc
	s_cbranch_execz .LBB7_1166
; %bb.1163:
	s_mov_b64 s[22:23], 0
.LBB7_1164:                             ; =>This Inner Loop Header: Depth=1
	s_sleep 1
	global_load_dwordx2 v[1:2], v0, s[6:7] offset:40
	global_load_dwordx2 v[7:8], v0, s[6:7]
	v_mov_b32_e32 v3, v5
	v_mov_b32_e32 v4, v6
	s_waitcnt vmcnt(1)
	v_and_b32_e32 v1, v1, v3
	s_waitcnt vmcnt(0)
	v_mad_u64_u32 v[5:6], s[24:25], v1, 24, v[7:8]
	v_and_b32_e32 v2, v2, v4
	v_mov_b32_e32 v1, v6
	v_mad_u64_u32 v[1:2], s[24:25], v2, 24, v[1:2]
	v_mov_b32_e32 v6, v1
	global_load_dwordx2 v[1:2], v[5:6], off glc
	s_waitcnt vmcnt(0)
	global_atomic_cmpswap_x2 v[5:6], v0, v[1:4], s[6:7] offset:24 glc
	s_waitcnt vmcnt(0)
	buffer_wbinvl1_vol
	v_cmp_eq_u64_e32 vcc, v[5:6], v[3:4]
	s_or_b64 s[22:23], vcc, s[22:23]
	s_andn2_b64 exec, exec, s[22:23]
	s_cbranch_execnz .LBB7_1164
; %bb.1165:
	s_or_b64 exec, exec, s[22:23]
.LBB7_1166:
	s_or_b64 exec, exec, s[20:21]
.LBB7_1167:
	s_or_b64 exec, exec, s[18:19]
	v_mov_b32_e32 v4, 0
	global_load_dwordx2 v[7:8], v4, s[6:7] offset:40
	global_load_dwordx4 v[0:3], v4, s[6:7]
	v_readfirstlane_b32 s18, v5
	v_readfirstlane_b32 s19, v6
	s_mov_b64 s[20:21], exec
	s_waitcnt vmcnt(1)
	v_readfirstlane_b32 s22, v7
	v_readfirstlane_b32 s23, v8
	s_and_b64 s[22:23], s[18:19], s[22:23]
	s_mul_i32 s15, s23, 24
	s_mul_hi_u32 s24, s22, 24
	s_mul_i32 s25, s22, 24
	s_add_i32 s15, s24, s15
	v_mov_b32_e32 v5, s15
	s_waitcnt vmcnt(0)
	v_add_co_u32_e32 v7, vcc, s25, v0
	v_addc_co_u32_e32 v8, vcc, v1, v5, vcc
	s_and_saveexec_b64 s[24:25], s[4:5]
	s_cbranch_execz .LBB7_1169
; %bb.1168:
	v_mov_b32_e32 v9, s20
	v_mov_b32_e32 v10, s21
	;; [unrolled: 1-line block ×4, first 2 shown]
	global_store_dwordx4 v[7:8], v[9:12], off offset:8
.LBB7_1169:
	s_or_b64 exec, exec, s[24:25]
	s_lshl_b64 s[20:21], s[22:23], 12
	v_mov_b32_e32 v5, s21
	v_add_co_u32_e32 v2, vcc, s20, v2
	v_addc_co_u32_e32 v11, vcc, v3, v5, vcc
	s_mov_b32 s20, 0
	v_mov_b32_e32 v3, 33
	v_mov_b32_e32 v5, v4
	;; [unrolled: 1-line block ×3, first 2 shown]
	v_readfirstlane_b32 s24, v2
	v_readfirstlane_b32 s25, v11
	v_add_co_u32_e32 v9, vcc, v2, v31
	s_mov_b32 s21, s20
	s_mov_b32 s22, s20
	;; [unrolled: 1-line block ×3, first 2 shown]
	s_nop 0
	global_store_dwordx4 v31, v[3:6], s[24:25]
	v_mov_b32_e32 v2, s20
	v_addc_co_u32_e32 v10, vcc, 0, v11, vcc
	v_mov_b32_e32 v3, s21
	v_mov_b32_e32 v4, s22
	;; [unrolled: 1-line block ×3, first 2 shown]
	global_store_dwordx4 v31, v[2:5], s[24:25] offset:16
	global_store_dwordx4 v31, v[2:5], s[24:25] offset:32
	;; [unrolled: 1-line block ×3, first 2 shown]
	s_and_saveexec_b64 s[20:21], s[4:5]
	s_cbranch_execz .LBB7_1177
; %bb.1170:
	v_mov_b32_e32 v6, 0
	global_load_dwordx2 v[13:14], v6, s[6:7] offset:32 glc
	global_load_dwordx2 v[2:3], v6, s[6:7] offset:40
	v_mov_b32_e32 v11, s18
	v_mov_b32_e32 v12, s19
	s_waitcnt vmcnt(0)
	v_readfirstlane_b32 s22, v2
	v_readfirstlane_b32 s23, v3
	s_and_b64 s[22:23], s[22:23], s[18:19]
	s_mul_i32 s15, s23, 24
	s_mul_hi_u32 s23, s22, 24
	s_mul_i32 s22, s22, 24
	s_add_i32 s15, s23, s15
	v_mov_b32_e32 v2, s15
	v_add_co_u32_e32 v4, vcc, s22, v0
	v_addc_co_u32_e32 v5, vcc, v1, v2, vcc
	global_store_dwordx2 v[4:5], v[13:14], off
	s_waitcnt vmcnt(0)
	global_atomic_cmpswap_x2 v[2:3], v6, v[11:14], s[6:7] offset:32 glc
	s_waitcnt vmcnt(0)
	v_cmp_ne_u64_e32 vcc, v[2:3], v[13:14]
	s_and_saveexec_b64 s[22:23], vcc
	s_cbranch_execz .LBB7_1173
; %bb.1171:
	s_mov_b64 s[24:25], 0
.LBB7_1172:                             ; =>This Inner Loop Header: Depth=1
	s_sleep 1
	global_store_dwordx2 v[4:5], v[2:3], off
	v_mov_b32_e32 v0, s18
	v_mov_b32_e32 v1, s19
	s_waitcnt vmcnt(0)
	global_atomic_cmpswap_x2 v[0:1], v6, v[0:3], s[6:7] offset:32 glc
	s_waitcnt vmcnt(0)
	v_cmp_eq_u64_e32 vcc, v[0:1], v[2:3]
	v_mov_b32_e32 v3, v1
	s_or_b64 s[24:25], vcc, s[24:25]
	v_mov_b32_e32 v2, v0
	s_andn2_b64 exec, exec, s[24:25]
	s_cbranch_execnz .LBB7_1172
.LBB7_1173:
	s_or_b64 exec, exec, s[22:23]
	v_mov_b32_e32 v3, 0
	global_load_dwordx2 v[0:1], v3, s[6:7] offset:16
	s_mov_b64 s[22:23], exec
	v_mbcnt_lo_u32_b32 v2, s22, 0
	v_mbcnt_hi_u32_b32 v2, s23, v2
	v_cmp_eq_u32_e32 vcc, 0, v2
	s_and_saveexec_b64 s[24:25], vcc
	s_cbranch_execz .LBB7_1175
; %bb.1174:
	s_bcnt1_i32_b64 s15, s[22:23]
	v_mov_b32_e32 v2, s15
	s_waitcnt vmcnt(0)
	global_atomic_add_x2 v[0:1], v[2:3], off offset:8
.LBB7_1175:
	s_or_b64 exec, exec, s[24:25]
	s_waitcnt vmcnt(0)
	global_load_dwordx2 v[2:3], v[0:1], off offset:16
	s_waitcnt vmcnt(0)
	v_cmp_eq_u64_e32 vcc, 0, v[2:3]
	s_cbranch_vccnz .LBB7_1177
; %bb.1176:
	global_load_dword v0, v[0:1], off offset:24
	v_mov_b32_e32 v1, 0
	s_waitcnt vmcnt(0)
	global_store_dwordx2 v[2:3], v[0:1], off
	v_and_b32_e32 v0, 0xffffff, v0
	v_readfirstlane_b32 m0, v0
	s_sendmsg sendmsg(MSG_INTERRUPT)
.LBB7_1177:
	s_or_b64 exec, exec, s[20:21]
	s_branch .LBB7_1181
.LBB7_1178:                             ;   in Loop: Header=BB7_1181 Depth=1
	s_or_b64 exec, exec, s[20:21]
	v_readfirstlane_b32 s15, v0
	s_cmp_eq_u32 s15, 0
	s_cbranch_scc1 .LBB7_1180
; %bb.1179:                             ;   in Loop: Header=BB7_1181 Depth=1
	s_sleep 1
	s_cbranch_execnz .LBB7_1181
	s_branch .LBB7_1183
.LBB7_1180:
	s_branch .LBB7_1183
.LBB7_1181:                             ; =>This Inner Loop Header: Depth=1
	v_mov_b32_e32 v0, 1
	s_and_saveexec_b64 s[20:21], s[4:5]
	s_cbranch_execz .LBB7_1178
; %bb.1182:                             ;   in Loop: Header=BB7_1181 Depth=1
	global_load_dword v0, v[7:8], off offset:20 glc
	s_waitcnt vmcnt(0)
	buffer_wbinvl1_vol
	v_and_b32_e32 v0, 1, v0
	s_branch .LBB7_1178
.LBB7_1183:
	global_load_dwordx2 v[0:1], v[9:10], off
	s_and_saveexec_b64 s[20:21], s[4:5]
	s_cbranch_execz .LBB7_1186
; %bb.1184:
	v_mov_b32_e32 v8, 0
	global_load_dwordx2 v[4:5], v8, s[6:7] offset:40
	global_load_dwordx2 v[9:10], v8, s[6:7] offset:24 glc
	global_load_dwordx2 v[6:7], v8, s[6:7]
	v_mov_b32_e32 v3, s19
	s_mov_b64 s[4:5], 0
	s_waitcnt vmcnt(2)
	v_add_co_u32_e32 v11, vcc, 1, v4
	v_addc_co_u32_e32 v12, vcc, 0, v5, vcc
	v_add_co_u32_e32 v2, vcc, s18, v11
	v_addc_co_u32_e32 v3, vcc, v12, v3, vcc
	v_cmp_eq_u64_e32 vcc, 0, v[2:3]
	v_cndmask_b32_e32 v3, v3, v12, vcc
	v_cndmask_b32_e32 v2, v2, v11, vcc
	v_and_b32_e32 v5, v3, v5
	v_and_b32_e32 v4, v2, v4
	v_mul_lo_u32 v5, v5, 24
	v_mul_hi_u32 v11, v4, 24
	v_mul_lo_u32 v12, v4, 24
	s_waitcnt vmcnt(1)
	v_mov_b32_e32 v4, v9
	v_add_u32_e32 v5, v11, v5
	s_waitcnt vmcnt(0)
	v_add_co_u32_e32 v6, vcc, v6, v12
	v_addc_co_u32_e32 v7, vcc, v7, v5, vcc
	global_store_dwordx2 v[6:7], v[9:10], off
	v_mov_b32_e32 v5, v10
	s_waitcnt vmcnt(0)
	global_atomic_cmpswap_x2 v[4:5], v8, v[2:5], s[6:7] offset:24 glc
	s_waitcnt vmcnt(0)
	v_cmp_ne_u64_e32 vcc, v[4:5], v[9:10]
	s_and_b64 exec, exec, vcc
	s_cbranch_execz .LBB7_1186
.LBB7_1185:                             ; =>This Inner Loop Header: Depth=1
	s_sleep 1
	global_store_dwordx2 v[6:7], v[4:5], off
	s_waitcnt vmcnt(0)
	global_atomic_cmpswap_x2 v[9:10], v8, v[2:5], s[6:7] offset:24 glc
	s_waitcnt vmcnt(0)
	v_cmp_eq_u64_e32 vcc, v[9:10], v[4:5]
	v_mov_b32_e32 v4, v9
	s_or_b64 s[4:5], vcc, s[4:5]
	v_mov_b32_e32 v5, v10
	s_andn2_b64 exec, exec, s[4:5]
	s_cbranch_execnz .LBB7_1185
.LBB7_1186:
	s_or_b64 exec, exec, s[20:21]
	s_and_b64 vcc, exec, s[16:17]
	s_cbranch_vccz .LBB7_1271
; %bb.1187:
	s_waitcnt vmcnt(0)
	v_and_b32_e32 v33, 2, v0
	v_mov_b32_e32 v28, 0
	v_and_b32_e32 v2, -3, v0
	v_mov_b32_e32 v3, v1
	s_mov_b64 s[18:19], 3
	v_mov_b32_e32 v6, 2
	v_mov_b32_e32 v7, 1
	s_getpc_b64 s[16:17]
	s_add_u32 s16, s16, .str.6@rel32@lo+4
	s_addc_u32 s17, s17, .str.6@rel32@hi+12
	s_branch .LBB7_1189
.LBB7_1188:                             ;   in Loop: Header=BB7_1189 Depth=1
	s_or_b64 exec, exec, s[24:25]
	s_sub_u32 s18, s18, s20
	s_subb_u32 s19, s19, s21
	s_add_u32 s16, s16, s20
	s_addc_u32 s17, s17, s21
	s_cmp_lg_u64 s[18:19], 0
	s_cbranch_scc0 .LBB7_1270
.LBB7_1189:                             ; =>This Loop Header: Depth=1
                                        ;     Child Loop BB7_1192 Depth 2
                                        ;     Child Loop BB7_1199 Depth 2
	;; [unrolled: 1-line block ×11, first 2 shown]
	v_cmp_lt_u64_e64 s[4:5], s[18:19], 56
	v_cmp_gt_u64_e64 s[22:23], s[18:19], 7
	s_and_b64 s[4:5], s[4:5], exec
	s_cselect_b32 s21, s19, 0
	s_cselect_b32 s20, s18, 56
	s_and_b64 vcc, exec, s[22:23]
	s_cbranch_vccnz .LBB7_1194
; %bb.1190:                             ;   in Loop: Header=BB7_1189 Depth=1
	v_mov_b32_e32 v10, 0
	s_cmp_eq_u64 s[18:19], 0
	v_mov_b32_e32 v11, 0
	s_mov_b64 s[4:5], 0
	s_cbranch_scc1 .LBB7_1193
; %bb.1191:                             ;   in Loop: Header=BB7_1189 Depth=1
	v_mov_b32_e32 v10, 0
	s_lshl_b64 s[22:23], s[20:21], 3
	s_mov_b64 s[24:25], 0
	v_mov_b32_e32 v11, 0
	s_mov_b64 s[26:27], s[16:17]
.LBB7_1192:                             ;   Parent Loop BB7_1189 Depth=1
                                        ; =>  This Inner Loop Header: Depth=2
	global_load_ubyte v4, v28, s[26:27]
	s_waitcnt vmcnt(0)
	v_and_b32_e32 v27, 0xffff, v4
	v_lshlrev_b64 v[4:5], s24, v[27:28]
	s_add_u32 s24, s24, 8
	s_addc_u32 s25, s25, 0
	s_add_u32 s26, s26, 1
	s_addc_u32 s27, s27, 0
	v_or_b32_e32 v10, v4, v10
	s_cmp_lg_u32 s22, s24
	v_or_b32_e32 v11, v5, v11
	s_cbranch_scc1 .LBB7_1192
.LBB7_1193:                             ;   in Loop: Header=BB7_1189 Depth=1
	s_mov_b32 s15, 0
	s_andn2_b64 vcc, exec, s[4:5]
	s_mov_b64 s[4:5], s[16:17]
	s_cbranch_vccz .LBB7_1195
	s_branch .LBB7_1196
.LBB7_1194:                             ;   in Loop: Header=BB7_1189 Depth=1
                                        ; implicit-def: $vgpr10_vgpr11
                                        ; implicit-def: $sgpr15
	s_mov_b64 s[4:5], s[16:17]
.LBB7_1195:                             ;   in Loop: Header=BB7_1189 Depth=1
	global_load_dwordx2 v[10:11], v28, s[16:17]
	s_add_i32 s15, s20, -8
	s_add_u32 s4, s16, 8
	s_addc_u32 s5, s17, 0
.LBB7_1196:                             ;   in Loop: Header=BB7_1189 Depth=1
	s_cmp_gt_u32 s15, 7
	s_cbranch_scc1 .LBB7_1200
; %bb.1197:                             ;   in Loop: Header=BB7_1189 Depth=1
	s_cmp_eq_u32 s15, 0
	s_cbranch_scc1 .LBB7_1201
; %bb.1198:                             ;   in Loop: Header=BB7_1189 Depth=1
	v_mov_b32_e32 v12, 0
	s_mov_b64 s[22:23], 0
	v_mov_b32_e32 v13, 0
	s_mov_b64 s[24:25], 0
.LBB7_1199:                             ;   Parent Loop BB7_1189 Depth=1
                                        ; =>  This Inner Loop Header: Depth=2
	s_add_u32 s26, s4, s24
	s_addc_u32 s27, s5, s25
	global_load_ubyte v4, v28, s[26:27]
	s_add_u32 s24, s24, 1
	s_addc_u32 s25, s25, 0
	s_waitcnt vmcnt(0)
	v_and_b32_e32 v27, 0xffff, v4
	v_lshlrev_b64 v[4:5], s22, v[27:28]
	s_add_u32 s22, s22, 8
	s_addc_u32 s23, s23, 0
	v_or_b32_e32 v12, v4, v12
	s_cmp_lg_u32 s15, s24
	v_or_b32_e32 v13, v5, v13
	s_cbranch_scc1 .LBB7_1199
	s_branch .LBB7_1202
.LBB7_1200:                             ;   in Loop: Header=BB7_1189 Depth=1
                                        ; implicit-def: $vgpr12_vgpr13
                                        ; implicit-def: $sgpr26
	s_branch .LBB7_1203
.LBB7_1201:                             ;   in Loop: Header=BB7_1189 Depth=1
	v_mov_b32_e32 v12, 0
	v_mov_b32_e32 v13, 0
.LBB7_1202:                             ;   in Loop: Header=BB7_1189 Depth=1
	s_mov_b32 s26, 0
	s_cbranch_execnz .LBB7_1204
.LBB7_1203:                             ;   in Loop: Header=BB7_1189 Depth=1
	global_load_dwordx2 v[12:13], v28, s[4:5]
	s_add_i32 s26, s15, -8
	s_add_u32 s4, s4, 8
	s_addc_u32 s5, s5, 0
.LBB7_1204:                             ;   in Loop: Header=BB7_1189 Depth=1
	s_cmp_gt_u32 s26, 7
	s_cbranch_scc1 .LBB7_1208
; %bb.1205:                             ;   in Loop: Header=BB7_1189 Depth=1
	s_cmp_eq_u32 s26, 0
	s_cbranch_scc1 .LBB7_1209
; %bb.1206:                             ;   in Loop: Header=BB7_1189 Depth=1
	v_mov_b32_e32 v14, 0
	s_mov_b64 s[22:23], 0
	v_mov_b32_e32 v15, 0
	s_mov_b64 s[24:25], 0
.LBB7_1207:                             ;   Parent Loop BB7_1189 Depth=1
                                        ; =>  This Inner Loop Header: Depth=2
	s_add_u32 s28, s4, s24
	s_addc_u32 s29, s5, s25
	global_load_ubyte v4, v28, s[28:29]
	s_add_u32 s24, s24, 1
	s_addc_u32 s25, s25, 0
	s_waitcnt vmcnt(0)
	v_and_b32_e32 v27, 0xffff, v4
	v_lshlrev_b64 v[4:5], s22, v[27:28]
	s_add_u32 s22, s22, 8
	s_addc_u32 s23, s23, 0
	v_or_b32_e32 v14, v4, v14
	s_cmp_lg_u32 s26, s24
	v_or_b32_e32 v15, v5, v15
	s_cbranch_scc1 .LBB7_1207
	s_branch .LBB7_1210
.LBB7_1208:                             ;   in Loop: Header=BB7_1189 Depth=1
                                        ; implicit-def: $sgpr15
	s_branch .LBB7_1211
.LBB7_1209:                             ;   in Loop: Header=BB7_1189 Depth=1
	v_mov_b32_e32 v14, 0
	v_mov_b32_e32 v15, 0
.LBB7_1210:                             ;   in Loop: Header=BB7_1189 Depth=1
	s_mov_b32 s15, 0
	s_cbranch_execnz .LBB7_1212
.LBB7_1211:                             ;   in Loop: Header=BB7_1189 Depth=1
	global_load_dwordx2 v[14:15], v28, s[4:5]
	s_add_i32 s15, s26, -8
	s_add_u32 s4, s4, 8
	s_addc_u32 s5, s5, 0
.LBB7_1212:                             ;   in Loop: Header=BB7_1189 Depth=1
	s_cmp_gt_u32 s15, 7
	s_cbranch_scc1 .LBB7_1216
; %bb.1213:                             ;   in Loop: Header=BB7_1189 Depth=1
	s_cmp_eq_u32 s15, 0
	s_cbranch_scc1 .LBB7_1217
; %bb.1214:                             ;   in Loop: Header=BB7_1189 Depth=1
	v_mov_b32_e32 v16, 0
	s_mov_b64 s[22:23], 0
	v_mov_b32_e32 v17, 0
	s_mov_b64 s[24:25], 0
.LBB7_1215:                             ;   Parent Loop BB7_1189 Depth=1
                                        ; =>  This Inner Loop Header: Depth=2
	s_add_u32 s26, s4, s24
	s_addc_u32 s27, s5, s25
	global_load_ubyte v4, v28, s[26:27]
	s_add_u32 s24, s24, 1
	s_addc_u32 s25, s25, 0
	s_waitcnt vmcnt(0)
	v_and_b32_e32 v27, 0xffff, v4
	v_lshlrev_b64 v[4:5], s22, v[27:28]
	s_add_u32 s22, s22, 8
	s_addc_u32 s23, s23, 0
	v_or_b32_e32 v16, v4, v16
	s_cmp_lg_u32 s15, s24
	v_or_b32_e32 v17, v5, v17
	s_cbranch_scc1 .LBB7_1215
	s_branch .LBB7_1218
.LBB7_1216:                             ;   in Loop: Header=BB7_1189 Depth=1
                                        ; implicit-def: $vgpr16_vgpr17
                                        ; implicit-def: $sgpr26
	s_branch .LBB7_1219
.LBB7_1217:                             ;   in Loop: Header=BB7_1189 Depth=1
	v_mov_b32_e32 v16, 0
	v_mov_b32_e32 v17, 0
.LBB7_1218:                             ;   in Loop: Header=BB7_1189 Depth=1
	s_mov_b32 s26, 0
	s_cbranch_execnz .LBB7_1220
.LBB7_1219:                             ;   in Loop: Header=BB7_1189 Depth=1
	global_load_dwordx2 v[16:17], v28, s[4:5]
	s_add_i32 s26, s15, -8
	s_add_u32 s4, s4, 8
	s_addc_u32 s5, s5, 0
.LBB7_1220:                             ;   in Loop: Header=BB7_1189 Depth=1
	s_cmp_gt_u32 s26, 7
	s_cbranch_scc1 .LBB7_1224
; %bb.1221:                             ;   in Loop: Header=BB7_1189 Depth=1
	s_cmp_eq_u32 s26, 0
	s_cbranch_scc1 .LBB7_1225
; %bb.1222:                             ;   in Loop: Header=BB7_1189 Depth=1
	v_mov_b32_e32 v18, 0
	s_mov_b64 s[22:23], 0
	v_mov_b32_e32 v19, 0
	s_mov_b64 s[24:25], 0
.LBB7_1223:                             ;   Parent Loop BB7_1189 Depth=1
                                        ; =>  This Inner Loop Header: Depth=2
	s_add_u32 s28, s4, s24
	s_addc_u32 s29, s5, s25
	global_load_ubyte v4, v28, s[28:29]
	s_add_u32 s24, s24, 1
	s_addc_u32 s25, s25, 0
	s_waitcnt vmcnt(0)
	v_and_b32_e32 v27, 0xffff, v4
	v_lshlrev_b64 v[4:5], s22, v[27:28]
	s_add_u32 s22, s22, 8
	s_addc_u32 s23, s23, 0
	v_or_b32_e32 v18, v4, v18
	s_cmp_lg_u32 s26, s24
	v_or_b32_e32 v19, v5, v19
	s_cbranch_scc1 .LBB7_1223
	s_branch .LBB7_1226
.LBB7_1224:                             ;   in Loop: Header=BB7_1189 Depth=1
                                        ; implicit-def: $sgpr15
	s_branch .LBB7_1227
.LBB7_1225:                             ;   in Loop: Header=BB7_1189 Depth=1
	v_mov_b32_e32 v18, 0
	v_mov_b32_e32 v19, 0
.LBB7_1226:                             ;   in Loop: Header=BB7_1189 Depth=1
	s_mov_b32 s15, 0
	s_cbranch_execnz .LBB7_1228
.LBB7_1227:                             ;   in Loop: Header=BB7_1189 Depth=1
	global_load_dwordx2 v[18:19], v28, s[4:5]
	s_add_i32 s15, s26, -8
	s_add_u32 s4, s4, 8
	s_addc_u32 s5, s5, 0
.LBB7_1228:                             ;   in Loop: Header=BB7_1189 Depth=1
	s_cmp_gt_u32 s15, 7
	s_cbranch_scc1 .LBB7_1232
; %bb.1229:                             ;   in Loop: Header=BB7_1189 Depth=1
	s_cmp_eq_u32 s15, 0
	s_cbranch_scc1 .LBB7_1233
; %bb.1230:                             ;   in Loop: Header=BB7_1189 Depth=1
	v_mov_b32_e32 v20, 0
	s_mov_b64 s[22:23], 0
	v_mov_b32_e32 v21, 0
	s_mov_b64 s[24:25], 0
.LBB7_1231:                             ;   Parent Loop BB7_1189 Depth=1
                                        ; =>  This Inner Loop Header: Depth=2
	s_add_u32 s26, s4, s24
	s_addc_u32 s27, s5, s25
	global_load_ubyte v4, v28, s[26:27]
	s_add_u32 s24, s24, 1
	s_addc_u32 s25, s25, 0
	s_waitcnt vmcnt(0)
	v_and_b32_e32 v27, 0xffff, v4
	v_lshlrev_b64 v[4:5], s22, v[27:28]
	s_add_u32 s22, s22, 8
	s_addc_u32 s23, s23, 0
	v_or_b32_e32 v20, v4, v20
	s_cmp_lg_u32 s15, s24
	v_or_b32_e32 v21, v5, v21
	s_cbranch_scc1 .LBB7_1231
	s_branch .LBB7_1234
.LBB7_1232:                             ;   in Loop: Header=BB7_1189 Depth=1
                                        ; implicit-def: $vgpr20_vgpr21
                                        ; implicit-def: $sgpr26
	s_branch .LBB7_1235
.LBB7_1233:                             ;   in Loop: Header=BB7_1189 Depth=1
	v_mov_b32_e32 v20, 0
	v_mov_b32_e32 v21, 0
.LBB7_1234:                             ;   in Loop: Header=BB7_1189 Depth=1
	s_mov_b32 s26, 0
	s_cbranch_execnz .LBB7_1236
.LBB7_1235:                             ;   in Loop: Header=BB7_1189 Depth=1
	global_load_dwordx2 v[20:21], v28, s[4:5]
	s_add_i32 s26, s15, -8
	s_add_u32 s4, s4, 8
	s_addc_u32 s5, s5, 0
.LBB7_1236:                             ;   in Loop: Header=BB7_1189 Depth=1
	s_cmp_gt_u32 s26, 7
	s_cbranch_scc1 .LBB7_1240
; %bb.1237:                             ;   in Loop: Header=BB7_1189 Depth=1
	s_cmp_eq_u32 s26, 0
	s_cbranch_scc1 .LBB7_1241
; %bb.1238:                             ;   in Loop: Header=BB7_1189 Depth=1
	v_mov_b32_e32 v22, 0
	s_mov_b64 s[22:23], 0
	v_mov_b32_e32 v23, 0
	s_mov_b64 s[24:25], s[4:5]
.LBB7_1239:                             ;   Parent Loop BB7_1189 Depth=1
                                        ; =>  This Inner Loop Header: Depth=2
	global_load_ubyte v4, v28, s[24:25]
	s_add_i32 s26, s26, -1
	s_waitcnt vmcnt(0)
	v_and_b32_e32 v27, 0xffff, v4
	v_lshlrev_b64 v[4:5], s22, v[27:28]
	s_add_u32 s22, s22, 8
	s_addc_u32 s23, s23, 0
	s_add_u32 s24, s24, 1
	s_addc_u32 s25, s25, 0
	v_or_b32_e32 v22, v4, v22
	s_cmp_lg_u32 s26, 0
	v_or_b32_e32 v23, v5, v23
	s_cbranch_scc1 .LBB7_1239
	s_branch .LBB7_1242
.LBB7_1240:                             ;   in Loop: Header=BB7_1189 Depth=1
	s_branch .LBB7_1243
.LBB7_1241:                             ;   in Loop: Header=BB7_1189 Depth=1
	v_mov_b32_e32 v22, 0
	v_mov_b32_e32 v23, 0
.LBB7_1242:                             ;   in Loop: Header=BB7_1189 Depth=1
	s_cbranch_execnz .LBB7_1244
.LBB7_1243:                             ;   in Loop: Header=BB7_1189 Depth=1
	global_load_dwordx2 v[22:23], v28, s[4:5]
.LBB7_1244:                             ;   in Loop: Header=BB7_1189 Depth=1
	v_readfirstlane_b32 s4, v32
	s_waitcnt vmcnt(0)
	v_mov_b32_e32 v4, 0
	v_mov_b32_e32 v5, 0
	v_cmp_eq_u32_e64 s[4:5], s4, v32
	s_and_saveexec_b64 s[22:23], s[4:5]
	s_cbranch_execz .LBB7_1250
; %bb.1245:                             ;   in Loop: Header=BB7_1189 Depth=1
	global_load_dwordx2 v[26:27], v28, s[6:7] offset:24 glc
	s_waitcnt vmcnt(0)
	buffer_wbinvl1_vol
	global_load_dwordx2 v[4:5], v28, s[6:7] offset:40
	global_load_dwordx2 v[8:9], v28, s[6:7]
	s_waitcnt vmcnt(1)
	v_and_b32_e32 v4, v4, v26
	v_and_b32_e32 v5, v5, v27
	v_mul_lo_u32 v5, v5, 24
	v_mul_hi_u32 v24, v4, 24
	v_mul_lo_u32 v4, v4, 24
	v_add_u32_e32 v5, v24, v5
	s_waitcnt vmcnt(0)
	v_add_co_u32_e32 v4, vcc, v8, v4
	v_addc_co_u32_e32 v5, vcc, v9, v5, vcc
	global_load_dwordx2 v[24:25], v[4:5], off glc
	s_waitcnt vmcnt(0)
	global_atomic_cmpswap_x2 v[4:5], v28, v[24:27], s[6:7] offset:24 glc
	s_waitcnt vmcnt(0)
	buffer_wbinvl1_vol
	v_cmp_ne_u64_e32 vcc, v[4:5], v[26:27]
	s_and_saveexec_b64 s[24:25], vcc
	s_cbranch_execz .LBB7_1249
; %bb.1246:                             ;   in Loop: Header=BB7_1189 Depth=1
	s_mov_b64 s[26:27], 0
.LBB7_1247:                             ;   Parent Loop BB7_1189 Depth=1
                                        ; =>  This Inner Loop Header: Depth=2
	s_sleep 1
	global_load_dwordx2 v[8:9], v28, s[6:7] offset:40
	global_load_dwordx2 v[24:25], v28, s[6:7]
	v_mov_b32_e32 v27, v5
	v_mov_b32_e32 v26, v4
	s_waitcnt vmcnt(1)
	v_and_b32_e32 v4, v8, v26
	s_waitcnt vmcnt(0)
	v_mad_u64_u32 v[4:5], s[28:29], v4, 24, v[24:25]
	v_and_b32_e32 v8, v9, v27
	v_mad_u64_u32 v[8:9], s[28:29], v8, 24, v[5:6]
	v_mov_b32_e32 v5, v8
	global_load_dwordx2 v[24:25], v[4:5], off glc
	s_waitcnt vmcnt(0)
	global_atomic_cmpswap_x2 v[4:5], v28, v[24:27], s[6:7] offset:24 glc
	s_waitcnt vmcnt(0)
	buffer_wbinvl1_vol
	v_cmp_eq_u64_e32 vcc, v[4:5], v[26:27]
	s_or_b64 s[26:27], vcc, s[26:27]
	s_andn2_b64 exec, exec, s[26:27]
	s_cbranch_execnz .LBB7_1247
; %bb.1248:                             ;   in Loop: Header=BB7_1189 Depth=1
	s_or_b64 exec, exec, s[26:27]
.LBB7_1249:                             ;   in Loop: Header=BB7_1189 Depth=1
	s_or_b64 exec, exec, s[24:25]
.LBB7_1250:                             ;   in Loop: Header=BB7_1189 Depth=1
	s_or_b64 exec, exec, s[22:23]
	global_load_dwordx2 v[8:9], v28, s[6:7] offset:40
	global_load_dwordx4 v[24:27], v28, s[6:7]
	v_readfirstlane_b32 s22, v4
	v_readfirstlane_b32 s23, v5
	s_mov_b64 s[24:25], exec
	s_waitcnt vmcnt(1)
	v_readfirstlane_b32 s26, v8
	v_readfirstlane_b32 s27, v9
	s_and_b64 s[26:27], s[22:23], s[26:27]
	s_mul_i32 s15, s27, 24
	s_mul_hi_u32 s28, s26, 24
	s_mul_i32 s29, s26, 24
	s_add_i32 s15, s28, s15
	v_mov_b32_e32 v4, s15
	s_waitcnt vmcnt(0)
	v_add_co_u32_e32 v29, vcc, s29, v24
	v_addc_co_u32_e32 v30, vcc, v25, v4, vcc
	s_and_saveexec_b64 s[28:29], s[4:5]
	s_cbranch_execz .LBB7_1252
; %bb.1251:                             ;   in Loop: Header=BB7_1189 Depth=1
	v_mov_b32_e32 v4, s24
	v_mov_b32_e32 v5, s25
	global_store_dwordx4 v[29:30], v[4:7], off offset:8
.LBB7_1252:                             ;   in Loop: Header=BB7_1189 Depth=1
	s_or_b64 exec, exec, s[28:29]
	s_lshl_b64 s[24:25], s[26:27], 12
	v_mov_b32_e32 v4, s25
	v_add_co_u32_e32 v26, vcc, s24, v26
	v_addc_co_u32_e32 v34, vcc, v27, v4, vcc
	v_cmp_gt_u64_e64 vcc, s[18:19], 56
	v_or_b32_e32 v5, v2, v33
	s_lshl_b32 s15, s20, 2
	v_cndmask_b32_e32 v2, v5, v2, vcc
	s_add_i32 s15, s15, 28
	v_or_b32_e32 v4, 0, v3
	s_and_b32 s15, s15, 0x1e0
	v_and_b32_e32 v2, 0xffffff1f, v2
	v_cndmask_b32_e32 v9, v4, v3, vcc
	v_or_b32_e32 v8, s15, v2
	v_readfirstlane_b32 s24, v26
	v_readfirstlane_b32 s25, v34
	s_nop 4
	global_store_dwordx4 v31, v[8:11], s[24:25]
	global_store_dwordx4 v31, v[12:15], s[24:25] offset:16
	global_store_dwordx4 v31, v[16:19], s[24:25] offset:32
	;; [unrolled: 1-line block ×3, first 2 shown]
	s_and_saveexec_b64 s[24:25], s[4:5]
	s_cbranch_execz .LBB7_1260
; %bb.1253:                             ;   in Loop: Header=BB7_1189 Depth=1
	global_load_dwordx2 v[12:13], v28, s[6:7] offset:32 glc
	global_load_dwordx2 v[2:3], v28, s[6:7] offset:40
	v_mov_b32_e32 v10, s22
	v_mov_b32_e32 v11, s23
	s_waitcnt vmcnt(0)
	v_readfirstlane_b32 s26, v2
	v_readfirstlane_b32 s27, v3
	s_and_b64 s[26:27], s[26:27], s[22:23]
	s_mul_i32 s15, s27, 24
	s_mul_hi_u32 s27, s26, 24
	s_mul_i32 s26, s26, 24
	s_add_i32 s15, s27, s15
	v_mov_b32_e32 v2, s15
	v_add_co_u32_e32 v8, vcc, s26, v24
	v_addc_co_u32_e32 v9, vcc, v25, v2, vcc
	global_store_dwordx2 v[8:9], v[12:13], off
	s_waitcnt vmcnt(0)
	global_atomic_cmpswap_x2 v[4:5], v28, v[10:13], s[6:7] offset:32 glc
	s_waitcnt vmcnt(0)
	v_cmp_ne_u64_e32 vcc, v[4:5], v[12:13]
	s_and_saveexec_b64 s[26:27], vcc
	s_cbranch_execz .LBB7_1256
; %bb.1254:                             ;   in Loop: Header=BB7_1189 Depth=1
	s_mov_b64 s[28:29], 0
.LBB7_1255:                             ;   Parent Loop BB7_1189 Depth=1
                                        ; =>  This Inner Loop Header: Depth=2
	s_sleep 1
	global_store_dwordx2 v[8:9], v[4:5], off
	v_mov_b32_e32 v2, s22
	v_mov_b32_e32 v3, s23
	s_waitcnt vmcnt(0)
	global_atomic_cmpswap_x2 v[2:3], v28, v[2:5], s[6:7] offset:32 glc
	s_waitcnt vmcnt(0)
	v_cmp_eq_u64_e32 vcc, v[2:3], v[4:5]
	v_mov_b32_e32 v5, v3
	s_or_b64 s[28:29], vcc, s[28:29]
	v_mov_b32_e32 v4, v2
	s_andn2_b64 exec, exec, s[28:29]
	s_cbranch_execnz .LBB7_1255
.LBB7_1256:                             ;   in Loop: Header=BB7_1189 Depth=1
	s_or_b64 exec, exec, s[26:27]
	global_load_dwordx2 v[2:3], v28, s[6:7] offset:16
	s_mov_b64 s[28:29], exec
	v_mbcnt_lo_u32_b32 v4, s28, 0
	v_mbcnt_hi_u32_b32 v4, s29, v4
	v_cmp_eq_u32_e32 vcc, 0, v4
	s_and_saveexec_b64 s[26:27], vcc
	s_cbranch_execz .LBB7_1258
; %bb.1257:                             ;   in Loop: Header=BB7_1189 Depth=1
	s_bcnt1_i32_b64 s15, s[28:29]
	v_mov_b32_e32 v27, s15
	s_waitcnt vmcnt(0)
	global_atomic_add_x2 v[2:3], v[27:28], off offset:8
.LBB7_1258:                             ;   in Loop: Header=BB7_1189 Depth=1
	s_or_b64 exec, exec, s[26:27]
	s_waitcnt vmcnt(0)
	global_load_dwordx2 v[4:5], v[2:3], off offset:16
	s_waitcnt vmcnt(0)
	v_cmp_eq_u64_e32 vcc, 0, v[4:5]
	s_cbranch_vccnz .LBB7_1260
; %bb.1259:                             ;   in Loop: Header=BB7_1189 Depth=1
	global_load_dword v27, v[2:3], off offset:24
	s_waitcnt vmcnt(0)
	v_and_b32_e32 v2, 0xffffff, v27
	v_readfirstlane_b32 m0, v2
	global_store_dwordx2 v[4:5], v[27:28], off
	s_sendmsg sendmsg(MSG_INTERRUPT)
.LBB7_1260:                             ;   in Loop: Header=BB7_1189 Depth=1
	s_or_b64 exec, exec, s[24:25]
	v_add_co_u32_e32 v2, vcc, v26, v31
	v_addc_co_u32_e32 v3, vcc, 0, v34, vcc
	s_branch .LBB7_1264
.LBB7_1261:                             ;   in Loop: Header=BB7_1264 Depth=2
	s_or_b64 exec, exec, s[24:25]
	v_readfirstlane_b32 s15, v4
	s_cmp_eq_u32 s15, 0
	s_cbranch_scc1 .LBB7_1263
; %bb.1262:                             ;   in Loop: Header=BB7_1264 Depth=2
	s_sleep 1
	s_cbranch_execnz .LBB7_1264
	s_branch .LBB7_1266
.LBB7_1263:                             ;   in Loop: Header=BB7_1189 Depth=1
	s_branch .LBB7_1266
.LBB7_1264:                             ;   Parent Loop BB7_1189 Depth=1
                                        ; =>  This Inner Loop Header: Depth=2
	v_mov_b32_e32 v4, 1
	s_and_saveexec_b64 s[24:25], s[4:5]
	s_cbranch_execz .LBB7_1261
; %bb.1265:                             ;   in Loop: Header=BB7_1264 Depth=2
	global_load_dword v4, v[29:30], off offset:20 glc
	s_waitcnt vmcnt(0)
	buffer_wbinvl1_vol
	v_and_b32_e32 v4, 1, v4
	s_branch .LBB7_1261
.LBB7_1266:                             ;   in Loop: Header=BB7_1189 Depth=1
	global_load_dwordx4 v[2:5], v[2:3], off
	s_and_saveexec_b64 s[24:25], s[4:5]
	s_cbranch_execz .LBB7_1188
; %bb.1267:                             ;   in Loop: Header=BB7_1189 Depth=1
	global_load_dwordx2 v[4:5], v28, s[6:7] offset:40
	global_load_dwordx2 v[12:13], v28, s[6:7] offset:24 glc
	global_load_dwordx2 v[14:15], v28, s[6:7]
	v_mov_b32_e32 v9, s23
	s_waitcnt vmcnt(2)
	v_add_co_u32_e32 v10, vcc, 1, v4
	v_addc_co_u32_e32 v11, vcc, 0, v5, vcc
	v_add_co_u32_e32 v8, vcc, s22, v10
	v_addc_co_u32_e32 v9, vcc, v11, v9, vcc
	v_cmp_eq_u64_e32 vcc, 0, v[8:9]
	v_cndmask_b32_e32 v9, v9, v11, vcc
	v_cndmask_b32_e32 v8, v8, v10, vcc
	v_and_b32_e32 v5, v9, v5
	v_and_b32_e32 v4, v8, v4
	v_mul_lo_u32 v5, v5, 24
	v_mul_hi_u32 v11, v4, 24
	v_mul_lo_u32 v4, v4, 24
	s_waitcnt vmcnt(1)
	v_mov_b32_e32 v10, v12
	v_add_u32_e32 v5, v11, v5
	s_waitcnt vmcnt(0)
	v_add_co_u32_e32 v4, vcc, v14, v4
	v_addc_co_u32_e32 v5, vcc, v15, v5, vcc
	global_store_dwordx2 v[4:5], v[12:13], off
	v_mov_b32_e32 v11, v13
	s_waitcnt vmcnt(0)
	global_atomic_cmpswap_x2 v[10:11], v28, v[8:11], s[6:7] offset:24 glc
	s_waitcnt vmcnt(0)
	v_cmp_ne_u64_e32 vcc, v[10:11], v[12:13]
	s_and_b64 exec, exec, vcc
	s_cbranch_execz .LBB7_1188
; %bb.1268:                             ;   in Loop: Header=BB7_1189 Depth=1
	s_mov_b64 s[4:5], 0
.LBB7_1269:                             ;   Parent Loop BB7_1189 Depth=1
                                        ; =>  This Inner Loop Header: Depth=2
	s_sleep 1
	global_store_dwordx2 v[4:5], v[10:11], off
	s_waitcnt vmcnt(0)
	global_atomic_cmpswap_x2 v[12:13], v28, v[8:11], s[6:7] offset:24 glc
	s_waitcnt vmcnt(0)
	v_cmp_eq_u64_e32 vcc, v[12:13], v[10:11]
	v_mov_b32_e32 v10, v12
	s_or_b64 s[4:5], vcc, s[4:5]
	v_mov_b32_e32 v11, v13
	s_andn2_b64 exec, exec, s[4:5]
	s_cbranch_execnz .LBB7_1269
	s_branch .LBB7_1188
.LBB7_1270:
	s_branch .LBB7_1298
.LBB7_1271:
                                        ; implicit-def: $vgpr2_vgpr3
	s_cbranch_execz .LBB7_1298
; %bb.1272:
	v_readfirstlane_b32 s4, v32
	v_mov_b32_e32 v8, 0
	v_mov_b32_e32 v9, 0
	v_cmp_eq_u32_e64 s[4:5], s4, v32
	s_and_saveexec_b64 s[16:17], s[4:5]
	s_cbranch_execz .LBB7_1278
; %bb.1273:
	s_waitcnt vmcnt(0)
	v_mov_b32_e32 v2, 0
	global_load_dwordx2 v[5:6], v2, s[6:7] offset:24 glc
	s_waitcnt vmcnt(0)
	buffer_wbinvl1_vol
	global_load_dwordx2 v[3:4], v2, s[6:7] offset:40
	global_load_dwordx2 v[7:8], v2, s[6:7]
	s_waitcnt vmcnt(1)
	v_and_b32_e32 v3, v3, v5
	v_and_b32_e32 v4, v4, v6
	v_mul_lo_u32 v4, v4, 24
	v_mul_hi_u32 v9, v3, 24
	v_mul_lo_u32 v3, v3, 24
	v_add_u32_e32 v4, v9, v4
	s_waitcnt vmcnt(0)
	v_add_co_u32_e32 v3, vcc, v7, v3
	v_addc_co_u32_e32 v4, vcc, v8, v4, vcc
	global_load_dwordx2 v[3:4], v[3:4], off glc
	s_waitcnt vmcnt(0)
	global_atomic_cmpswap_x2 v[8:9], v2, v[3:6], s[6:7] offset:24 glc
	s_waitcnt vmcnt(0)
	buffer_wbinvl1_vol
	v_cmp_ne_u64_e32 vcc, v[8:9], v[5:6]
	s_and_saveexec_b64 s[18:19], vcc
	s_cbranch_execz .LBB7_1277
; %bb.1274:
	s_mov_b64 s[20:21], 0
.LBB7_1275:                             ; =>This Inner Loop Header: Depth=1
	s_sleep 1
	global_load_dwordx2 v[3:4], v2, s[6:7] offset:40
	global_load_dwordx2 v[10:11], v2, s[6:7]
	v_mov_b32_e32 v5, v8
	v_mov_b32_e32 v6, v9
	s_waitcnt vmcnt(1)
	v_and_b32_e32 v3, v3, v5
	s_waitcnt vmcnt(0)
	v_mad_u64_u32 v[7:8], s[22:23], v3, 24, v[10:11]
	v_and_b32_e32 v4, v4, v6
	v_mov_b32_e32 v3, v8
	v_mad_u64_u32 v[3:4], s[22:23], v4, 24, v[3:4]
	v_mov_b32_e32 v8, v3
	global_load_dwordx2 v[3:4], v[7:8], off glc
	s_waitcnt vmcnt(0)
	global_atomic_cmpswap_x2 v[8:9], v2, v[3:6], s[6:7] offset:24 glc
	s_waitcnt vmcnt(0)
	buffer_wbinvl1_vol
	v_cmp_eq_u64_e32 vcc, v[8:9], v[5:6]
	s_or_b64 s[20:21], vcc, s[20:21]
	s_andn2_b64 exec, exec, s[20:21]
	s_cbranch_execnz .LBB7_1275
; %bb.1276:
	s_or_b64 exec, exec, s[20:21]
.LBB7_1277:
	s_or_b64 exec, exec, s[18:19]
.LBB7_1278:
	s_or_b64 exec, exec, s[16:17]
	s_waitcnt vmcnt(0)
	v_mov_b32_e32 v2, 0
	global_load_dwordx2 v[10:11], v2, s[6:7] offset:40
	global_load_dwordx4 v[4:7], v2, s[6:7]
	v_readfirstlane_b32 s16, v8
	v_readfirstlane_b32 s17, v9
	s_mov_b64 s[18:19], exec
	s_waitcnt vmcnt(1)
	v_readfirstlane_b32 s20, v10
	v_readfirstlane_b32 s21, v11
	s_and_b64 s[20:21], s[16:17], s[20:21]
	s_mul_i32 s15, s21, 24
	s_mul_hi_u32 s22, s20, 24
	s_mul_i32 s23, s20, 24
	s_add_i32 s15, s22, s15
	v_mov_b32_e32 v3, s15
	s_waitcnt vmcnt(0)
	v_add_co_u32_e32 v8, vcc, s23, v4
	v_addc_co_u32_e32 v9, vcc, v5, v3, vcc
	s_and_saveexec_b64 s[22:23], s[4:5]
	s_cbranch_execz .LBB7_1280
; %bb.1279:
	v_mov_b32_e32 v10, s18
	v_mov_b32_e32 v11, s19
	;; [unrolled: 1-line block ×4, first 2 shown]
	global_store_dwordx4 v[8:9], v[10:13], off offset:8
.LBB7_1280:
	s_or_b64 exec, exec, s[22:23]
	s_lshl_b64 s[18:19], s[20:21], 12
	v_mov_b32_e32 v3, s19
	v_add_co_u32_e32 v10, vcc, s18, v6
	v_addc_co_u32_e32 v11, vcc, v7, v3, vcc
	s_movk_i32 s15, 0xff1f
	v_and_or_b32 v0, v0, s15, 32
	s_mov_b32 s20, 0
	v_mov_b32_e32 v3, v2
	v_readfirstlane_b32 s18, v10
	v_readfirstlane_b32 s19, v11
	v_add_co_u32_e32 v6, vcc, v10, v31
	s_mov_b32 s21, s20
	s_mov_b32 s22, s20
	;; [unrolled: 1-line block ×3, first 2 shown]
	s_nop 0
	global_store_dwordx4 v31, v[0:3], s[18:19]
	v_addc_co_u32_e32 v7, vcc, 0, v11, vcc
	v_mov_b32_e32 v0, s20
	v_mov_b32_e32 v1, s21
	;; [unrolled: 1-line block ×4, first 2 shown]
	global_store_dwordx4 v31, v[0:3], s[18:19] offset:16
	global_store_dwordx4 v31, v[0:3], s[18:19] offset:32
	;; [unrolled: 1-line block ×3, first 2 shown]
	s_and_saveexec_b64 s[18:19], s[4:5]
	s_cbranch_execz .LBB7_1288
; %bb.1281:
	v_mov_b32_e32 v10, 0
	global_load_dwordx2 v[13:14], v10, s[6:7] offset:32 glc
	global_load_dwordx2 v[0:1], v10, s[6:7] offset:40
	v_mov_b32_e32 v11, s16
	v_mov_b32_e32 v12, s17
	s_waitcnt vmcnt(0)
	v_readfirstlane_b32 s20, v0
	v_readfirstlane_b32 s21, v1
	s_and_b64 s[20:21], s[20:21], s[16:17]
	s_mul_i32 s15, s21, 24
	s_mul_hi_u32 s21, s20, 24
	s_mul_i32 s20, s20, 24
	s_add_i32 s15, s21, s15
	v_mov_b32_e32 v0, s15
	v_add_co_u32_e32 v4, vcc, s20, v4
	v_addc_co_u32_e32 v5, vcc, v5, v0, vcc
	global_store_dwordx2 v[4:5], v[13:14], off
	s_waitcnt vmcnt(0)
	global_atomic_cmpswap_x2 v[2:3], v10, v[11:14], s[6:7] offset:32 glc
	s_waitcnt vmcnt(0)
	v_cmp_ne_u64_e32 vcc, v[2:3], v[13:14]
	s_and_saveexec_b64 s[20:21], vcc
	s_cbranch_execz .LBB7_1284
; %bb.1282:
	s_mov_b64 s[22:23], 0
.LBB7_1283:                             ; =>This Inner Loop Header: Depth=1
	s_sleep 1
	global_store_dwordx2 v[4:5], v[2:3], off
	v_mov_b32_e32 v0, s16
	v_mov_b32_e32 v1, s17
	s_waitcnt vmcnt(0)
	global_atomic_cmpswap_x2 v[0:1], v10, v[0:3], s[6:7] offset:32 glc
	s_waitcnt vmcnt(0)
	v_cmp_eq_u64_e32 vcc, v[0:1], v[2:3]
	v_mov_b32_e32 v3, v1
	s_or_b64 s[22:23], vcc, s[22:23]
	v_mov_b32_e32 v2, v0
	s_andn2_b64 exec, exec, s[22:23]
	s_cbranch_execnz .LBB7_1283
.LBB7_1284:
	s_or_b64 exec, exec, s[20:21]
	v_mov_b32_e32 v3, 0
	global_load_dwordx2 v[0:1], v3, s[6:7] offset:16
	s_mov_b64 s[20:21], exec
	v_mbcnt_lo_u32_b32 v2, s20, 0
	v_mbcnt_hi_u32_b32 v2, s21, v2
	v_cmp_eq_u32_e32 vcc, 0, v2
	s_and_saveexec_b64 s[22:23], vcc
	s_cbranch_execz .LBB7_1286
; %bb.1285:
	s_bcnt1_i32_b64 s15, s[20:21]
	v_mov_b32_e32 v2, s15
	s_waitcnt vmcnt(0)
	global_atomic_add_x2 v[0:1], v[2:3], off offset:8
.LBB7_1286:
	s_or_b64 exec, exec, s[22:23]
	s_waitcnt vmcnt(0)
	global_load_dwordx2 v[2:3], v[0:1], off offset:16
	s_waitcnt vmcnt(0)
	v_cmp_eq_u64_e32 vcc, 0, v[2:3]
	s_cbranch_vccnz .LBB7_1288
; %bb.1287:
	global_load_dword v0, v[0:1], off offset:24
	v_mov_b32_e32 v1, 0
	s_waitcnt vmcnt(0)
	global_store_dwordx2 v[2:3], v[0:1], off
	v_and_b32_e32 v0, 0xffffff, v0
	v_readfirstlane_b32 m0, v0
	s_sendmsg sendmsg(MSG_INTERRUPT)
.LBB7_1288:
	s_or_b64 exec, exec, s[18:19]
	s_branch .LBB7_1292
.LBB7_1289:                             ;   in Loop: Header=BB7_1292 Depth=1
	s_or_b64 exec, exec, s[18:19]
	v_readfirstlane_b32 s15, v0
	s_cmp_eq_u32 s15, 0
	s_cbranch_scc1 .LBB7_1291
; %bb.1290:                             ;   in Loop: Header=BB7_1292 Depth=1
	s_sleep 1
	s_cbranch_execnz .LBB7_1292
	s_branch .LBB7_1294
.LBB7_1291:
	s_branch .LBB7_1294
.LBB7_1292:                             ; =>This Inner Loop Header: Depth=1
	v_mov_b32_e32 v0, 1
	s_and_saveexec_b64 s[18:19], s[4:5]
	s_cbranch_execz .LBB7_1289
; %bb.1293:                             ;   in Loop: Header=BB7_1292 Depth=1
	global_load_dword v0, v[8:9], off offset:20 glc
	s_waitcnt vmcnt(0)
	buffer_wbinvl1_vol
	v_and_b32_e32 v0, 1, v0
	s_branch .LBB7_1289
.LBB7_1294:
	global_load_dwordx2 v[2:3], v[6:7], off
	s_and_saveexec_b64 s[18:19], s[4:5]
	s_cbranch_execz .LBB7_1297
; %bb.1295:
	v_mov_b32_e32 v8, 0
	global_load_dwordx2 v[0:1], v8, s[6:7] offset:40
	global_load_dwordx2 v[9:10], v8, s[6:7] offset:24 glc
	global_load_dwordx2 v[11:12], v8, s[6:7]
	v_mov_b32_e32 v5, s17
	s_mov_b64 s[4:5], 0
	s_waitcnt vmcnt(2)
	v_add_co_u32_e32 v6, vcc, 1, v0
	v_addc_co_u32_e32 v7, vcc, 0, v1, vcc
	v_add_co_u32_e32 v4, vcc, s16, v6
	v_addc_co_u32_e32 v5, vcc, v7, v5, vcc
	v_cmp_eq_u64_e32 vcc, 0, v[4:5]
	v_cndmask_b32_e32 v5, v5, v7, vcc
	v_cndmask_b32_e32 v4, v4, v6, vcc
	v_and_b32_e32 v1, v5, v1
	v_and_b32_e32 v0, v4, v0
	v_mul_lo_u32 v1, v1, 24
	v_mul_hi_u32 v7, v0, 24
	v_mul_lo_u32 v0, v0, 24
	s_waitcnt vmcnt(1)
	v_mov_b32_e32 v6, v9
	v_add_u32_e32 v1, v7, v1
	s_waitcnt vmcnt(0)
	v_add_co_u32_e32 v0, vcc, v11, v0
	v_addc_co_u32_e32 v1, vcc, v12, v1, vcc
	global_store_dwordx2 v[0:1], v[9:10], off
	v_mov_b32_e32 v7, v10
	s_waitcnt vmcnt(0)
	global_atomic_cmpswap_x2 v[6:7], v8, v[4:7], s[6:7] offset:24 glc
	s_waitcnt vmcnt(0)
	v_cmp_ne_u64_e32 vcc, v[6:7], v[9:10]
	s_and_b64 exec, exec, vcc
	s_cbranch_execz .LBB7_1297
.LBB7_1296:                             ; =>This Inner Loop Header: Depth=1
	s_sleep 1
	global_store_dwordx2 v[0:1], v[6:7], off
	s_waitcnt vmcnt(0)
	global_atomic_cmpswap_x2 v[9:10], v8, v[4:7], s[6:7] offset:24 glc
	s_waitcnt vmcnt(0)
	v_cmp_eq_u64_e32 vcc, v[9:10], v[6:7]
	v_mov_b32_e32 v6, v9
	s_or_b64 s[4:5], vcc, s[4:5]
	v_mov_b32_e32 v7, v10
	s_andn2_b64 exec, exec, s[4:5]
	s_cbranch_execnz .LBB7_1296
.LBB7_1297:
	s_or_b64 exec, exec, s[18:19]
.LBB7_1298:
	v_readfirstlane_b32 s4, v32
	s_waitcnt vmcnt(0)
	v_mov_b32_e32 v0, 0
	v_mov_b32_e32 v1, 0
	v_cmp_eq_u32_e64 s[4:5], s4, v32
	s_and_saveexec_b64 s[16:17], s[4:5]
	s_cbranch_execz .LBB7_1304
; %bb.1299:
	v_mov_b32_e32 v4, 0
	global_load_dwordx2 v[7:8], v4, s[6:7] offset:24 glc
	s_waitcnt vmcnt(0)
	buffer_wbinvl1_vol
	global_load_dwordx2 v[0:1], v4, s[6:7] offset:40
	global_load_dwordx2 v[5:6], v4, s[6:7]
	s_waitcnt vmcnt(1)
	v_and_b32_e32 v0, v0, v7
	v_and_b32_e32 v1, v1, v8
	v_mul_lo_u32 v1, v1, 24
	v_mul_hi_u32 v9, v0, 24
	v_mul_lo_u32 v0, v0, 24
	v_add_u32_e32 v1, v9, v1
	s_waitcnt vmcnt(0)
	v_add_co_u32_e32 v0, vcc, v5, v0
	v_addc_co_u32_e32 v1, vcc, v6, v1, vcc
	global_load_dwordx2 v[5:6], v[0:1], off glc
	s_waitcnt vmcnt(0)
	global_atomic_cmpswap_x2 v[0:1], v4, v[5:8], s[6:7] offset:24 glc
	s_waitcnt vmcnt(0)
	buffer_wbinvl1_vol
	v_cmp_ne_u64_e32 vcc, v[0:1], v[7:8]
	s_and_saveexec_b64 s[18:19], vcc
	s_cbranch_execz .LBB7_1303
; %bb.1300:
	s_mov_b64 s[20:21], 0
.LBB7_1301:                             ; =>This Inner Loop Header: Depth=1
	s_sleep 1
	global_load_dwordx2 v[5:6], v4, s[6:7] offset:40
	global_load_dwordx2 v[9:10], v4, s[6:7]
	v_mov_b32_e32 v8, v1
	v_mov_b32_e32 v7, v0
	s_waitcnt vmcnt(1)
	v_and_b32_e32 v0, v5, v7
	s_waitcnt vmcnt(0)
	v_mad_u64_u32 v[0:1], s[22:23], v0, 24, v[9:10]
	v_and_b32_e32 v5, v6, v8
	v_mad_u64_u32 v[5:6], s[22:23], v5, 24, v[1:2]
	v_mov_b32_e32 v1, v5
	global_load_dwordx2 v[5:6], v[0:1], off glc
	s_waitcnt vmcnt(0)
	global_atomic_cmpswap_x2 v[0:1], v4, v[5:8], s[6:7] offset:24 glc
	s_waitcnt vmcnt(0)
	buffer_wbinvl1_vol
	v_cmp_eq_u64_e32 vcc, v[0:1], v[7:8]
	s_or_b64 s[20:21], vcc, s[20:21]
	s_andn2_b64 exec, exec, s[20:21]
	s_cbranch_execnz .LBB7_1301
; %bb.1302:
	s_or_b64 exec, exec, s[20:21]
.LBB7_1303:
	s_or_b64 exec, exec, s[18:19]
.LBB7_1304:
	s_or_b64 exec, exec, s[16:17]
	v_mov_b32_e32 v5, 0
	global_load_dwordx2 v[10:11], v5, s[6:7] offset:40
	global_load_dwordx4 v[6:9], v5, s[6:7]
	v_readfirstlane_b32 s16, v0
	v_readfirstlane_b32 s17, v1
	s_mov_b64 s[18:19], exec
	s_waitcnt vmcnt(1)
	v_readfirstlane_b32 s20, v10
	v_readfirstlane_b32 s21, v11
	s_and_b64 s[20:21], s[16:17], s[20:21]
	s_mul_i32 s15, s21, 24
	s_mul_hi_u32 s22, s20, 24
	s_mul_i32 s23, s20, 24
	s_add_i32 s15, s22, s15
	v_mov_b32_e32 v0, s15
	s_waitcnt vmcnt(0)
	v_add_co_u32_e32 v10, vcc, s23, v6
	v_addc_co_u32_e32 v11, vcc, v7, v0, vcc
	s_and_saveexec_b64 s[22:23], s[4:5]
	s_cbranch_execz .LBB7_1306
; %bb.1305:
	v_mov_b32_e32 v12, s18
	v_mov_b32_e32 v13, s19
	;; [unrolled: 1-line block ×4, first 2 shown]
	global_store_dwordx4 v[10:11], v[12:15], off offset:8
.LBB7_1306:
	s_or_b64 exec, exec, s[22:23]
	s_lshl_b64 s[18:19], s[20:21], 12
	v_mov_b32_e32 v0, s19
	v_add_co_u32_e32 v1, vcc, s18, v8
	v_addc_co_u32_e32 v0, vcc, v9, v0, vcc
	s_movk_i32 s15, 0xff1d
	v_and_or_b32 v2, v2, s15, 34
	s_mov_b32 s20, 0
	v_mov_b32_e32 v4, 10
	v_readfirstlane_b32 s18, v1
	v_readfirstlane_b32 s19, v0
	s_mov_b32 s21, s20
	s_mov_b32 s22, s20
	;; [unrolled: 1-line block ×3, first 2 shown]
	s_nop 1
	global_store_dwordx4 v31, v[2:5], s[18:19]
	v_mov_b32_e32 v0, s20
	v_mov_b32_e32 v1, s21
	;; [unrolled: 1-line block ×4, first 2 shown]
	global_store_dwordx4 v31, v[0:3], s[18:19] offset:16
	global_store_dwordx4 v31, v[0:3], s[18:19] offset:32
	;; [unrolled: 1-line block ×3, first 2 shown]
	s_and_saveexec_b64 s[18:19], s[4:5]
	s_cbranch_execz .LBB7_1314
; %bb.1307:
	v_mov_b32_e32 v8, 0
	global_load_dwordx2 v[14:15], v8, s[6:7] offset:32 glc
	global_load_dwordx2 v[0:1], v8, s[6:7] offset:40
	v_mov_b32_e32 v12, s16
	v_mov_b32_e32 v13, s17
	s_waitcnt vmcnt(0)
	v_readfirstlane_b32 s20, v0
	v_readfirstlane_b32 s21, v1
	s_and_b64 s[20:21], s[20:21], s[16:17]
	s_mul_i32 s15, s21, 24
	s_mul_hi_u32 s21, s20, 24
	s_mul_i32 s20, s20, 24
	s_add_i32 s15, s21, s15
	v_mov_b32_e32 v0, s15
	v_add_co_u32_e32 v4, vcc, s20, v6
	v_addc_co_u32_e32 v5, vcc, v7, v0, vcc
	global_store_dwordx2 v[4:5], v[14:15], off
	s_waitcnt vmcnt(0)
	global_atomic_cmpswap_x2 v[2:3], v8, v[12:15], s[6:7] offset:32 glc
	s_waitcnt vmcnt(0)
	v_cmp_ne_u64_e32 vcc, v[2:3], v[14:15]
	s_and_saveexec_b64 s[20:21], vcc
	s_cbranch_execz .LBB7_1310
; %bb.1308:
	s_mov_b64 s[22:23], 0
.LBB7_1309:                             ; =>This Inner Loop Header: Depth=1
	s_sleep 1
	global_store_dwordx2 v[4:5], v[2:3], off
	v_mov_b32_e32 v0, s16
	v_mov_b32_e32 v1, s17
	s_waitcnt vmcnt(0)
	global_atomic_cmpswap_x2 v[0:1], v8, v[0:3], s[6:7] offset:32 glc
	s_waitcnt vmcnt(0)
	v_cmp_eq_u64_e32 vcc, v[0:1], v[2:3]
	v_mov_b32_e32 v3, v1
	s_or_b64 s[22:23], vcc, s[22:23]
	v_mov_b32_e32 v2, v0
	s_andn2_b64 exec, exec, s[22:23]
	s_cbranch_execnz .LBB7_1309
.LBB7_1310:
	s_or_b64 exec, exec, s[20:21]
	v_mov_b32_e32 v3, 0
	global_load_dwordx2 v[0:1], v3, s[6:7] offset:16
	s_mov_b64 s[20:21], exec
	v_mbcnt_lo_u32_b32 v2, s20, 0
	v_mbcnt_hi_u32_b32 v2, s21, v2
	v_cmp_eq_u32_e32 vcc, 0, v2
	s_and_saveexec_b64 s[22:23], vcc
	s_cbranch_execz .LBB7_1312
; %bb.1311:
	s_bcnt1_i32_b64 s15, s[20:21]
	v_mov_b32_e32 v2, s15
	s_waitcnt vmcnt(0)
	global_atomic_add_x2 v[0:1], v[2:3], off offset:8
.LBB7_1312:
	s_or_b64 exec, exec, s[22:23]
	s_waitcnt vmcnt(0)
	global_load_dwordx2 v[2:3], v[0:1], off offset:16
	s_waitcnt vmcnt(0)
	v_cmp_eq_u64_e32 vcc, 0, v[2:3]
	s_cbranch_vccnz .LBB7_1314
; %bb.1313:
	global_load_dword v0, v[0:1], off offset:24
	v_mov_b32_e32 v1, 0
	s_waitcnt vmcnt(0)
	global_store_dwordx2 v[2:3], v[0:1], off
	v_and_b32_e32 v0, 0xffffff, v0
	v_readfirstlane_b32 m0, v0
	s_sendmsg sendmsg(MSG_INTERRUPT)
.LBB7_1314:
	s_or_b64 exec, exec, s[18:19]
	s_branch .LBB7_1318
.LBB7_1315:                             ;   in Loop: Header=BB7_1318 Depth=1
	s_or_b64 exec, exec, s[18:19]
	v_readfirstlane_b32 s15, v0
	s_cmp_eq_u32 s15, 0
	s_cbranch_scc1 .LBB7_1317
; %bb.1316:                             ;   in Loop: Header=BB7_1318 Depth=1
	s_sleep 1
	s_cbranch_execnz .LBB7_1318
	s_branch .LBB7_1320
.LBB7_1317:
	s_branch .LBB7_1320
.LBB7_1318:                             ; =>This Inner Loop Header: Depth=1
	v_mov_b32_e32 v0, 1
	s_and_saveexec_b64 s[18:19], s[4:5]
	s_cbranch_execz .LBB7_1315
; %bb.1319:                             ;   in Loop: Header=BB7_1318 Depth=1
	global_load_dword v0, v[10:11], off offset:20 glc
	s_waitcnt vmcnt(0)
	buffer_wbinvl1_vol
	v_and_b32_e32 v0, 1, v0
	s_branch .LBB7_1315
.LBB7_1320:
	s_and_saveexec_b64 s[18:19], s[4:5]
	s_cbranch_execz .LBB7_1323
; %bb.1321:
	v_mov_b32_e32 v6, 0
	global_load_dwordx2 v[2:3], v6, s[6:7] offset:40
	global_load_dwordx2 v[7:8], v6, s[6:7] offset:24 glc
	global_load_dwordx2 v[4:5], v6, s[6:7]
	v_mov_b32_e32 v1, s17
	s_mov_b64 s[4:5], 0
	s_waitcnt vmcnt(2)
	v_add_co_u32_e32 v9, vcc, 1, v2
	v_addc_co_u32_e32 v10, vcc, 0, v3, vcc
	v_add_co_u32_e32 v0, vcc, s16, v9
	v_addc_co_u32_e32 v1, vcc, v10, v1, vcc
	v_cmp_eq_u64_e32 vcc, 0, v[0:1]
	v_cndmask_b32_e32 v1, v1, v10, vcc
	v_cndmask_b32_e32 v0, v0, v9, vcc
	v_and_b32_e32 v3, v1, v3
	v_and_b32_e32 v2, v0, v2
	v_mul_lo_u32 v3, v3, 24
	v_mul_hi_u32 v9, v2, 24
	v_mul_lo_u32 v10, v2, 24
	s_waitcnt vmcnt(1)
	v_mov_b32_e32 v2, v7
	v_add_u32_e32 v3, v9, v3
	s_waitcnt vmcnt(0)
	v_add_co_u32_e32 v4, vcc, v4, v10
	v_addc_co_u32_e32 v5, vcc, v5, v3, vcc
	global_store_dwordx2 v[4:5], v[7:8], off
	v_mov_b32_e32 v3, v8
	s_waitcnt vmcnt(0)
	global_atomic_cmpswap_x2 v[2:3], v6, v[0:3], s[6:7] offset:24 glc
	s_waitcnt vmcnt(0)
	v_cmp_ne_u64_e32 vcc, v[2:3], v[7:8]
	s_and_b64 exec, exec, vcc
	s_cbranch_execz .LBB7_1323
.LBB7_1322:                             ; =>This Inner Loop Header: Depth=1
	s_sleep 1
	global_store_dwordx2 v[4:5], v[2:3], off
	s_waitcnt vmcnt(0)
	global_atomic_cmpswap_x2 v[7:8], v6, v[0:3], s[6:7] offset:24 glc
	s_waitcnt vmcnt(0)
	v_cmp_eq_u64_e32 vcc, v[7:8], v[2:3]
	v_mov_b32_e32 v2, v7
	s_or_b64 s[4:5], vcc, s[4:5]
	v_mov_b32_e32 v3, v8
	s_andn2_b64 exec, exec, s[4:5]
	s_cbranch_execnz .LBB7_1322
.LBB7_1323:
	s_or_b64 exec, exec, s[18:19]
	v_readfirstlane_b32 s4, v32
	v_mov_b32_e32 v5, 0
	v_mov_b32_e32 v6, 0
	v_cmp_eq_u32_e64 s[4:5], s4, v32
	s_and_saveexec_b64 s[16:17], s[4:5]
	s_cbranch_execz .LBB7_1329
; %bb.1324:
	v_mov_b32_e32 v0, 0
	global_load_dwordx2 v[3:4], v0, s[6:7] offset:24 glc
	s_waitcnt vmcnt(0)
	buffer_wbinvl1_vol
	global_load_dwordx2 v[1:2], v0, s[6:7] offset:40
	global_load_dwordx2 v[5:6], v0, s[6:7]
	s_waitcnt vmcnt(1)
	v_and_b32_e32 v1, v1, v3
	v_and_b32_e32 v2, v2, v4
	v_mul_lo_u32 v2, v2, 24
	v_mul_hi_u32 v7, v1, 24
	v_mul_lo_u32 v1, v1, 24
	v_add_u32_e32 v2, v7, v2
	s_waitcnt vmcnt(0)
	v_add_co_u32_e32 v1, vcc, v5, v1
	v_addc_co_u32_e32 v2, vcc, v6, v2, vcc
	global_load_dwordx2 v[1:2], v[1:2], off glc
	s_waitcnt vmcnt(0)
	global_atomic_cmpswap_x2 v[5:6], v0, v[1:4], s[6:7] offset:24 glc
	s_waitcnt vmcnt(0)
	buffer_wbinvl1_vol
	v_cmp_ne_u64_e32 vcc, v[5:6], v[3:4]
	s_and_saveexec_b64 s[18:19], vcc
	s_cbranch_execz .LBB7_1328
; %bb.1325:
	s_mov_b64 s[20:21], 0
.LBB7_1326:                             ; =>This Inner Loop Header: Depth=1
	s_sleep 1
	global_load_dwordx2 v[1:2], v0, s[6:7] offset:40
	global_load_dwordx2 v[7:8], v0, s[6:7]
	v_mov_b32_e32 v3, v5
	v_mov_b32_e32 v4, v6
	s_waitcnt vmcnt(1)
	v_and_b32_e32 v1, v1, v3
	s_waitcnt vmcnt(0)
	v_mad_u64_u32 v[5:6], s[22:23], v1, 24, v[7:8]
	v_and_b32_e32 v2, v2, v4
	v_mov_b32_e32 v1, v6
	v_mad_u64_u32 v[1:2], s[22:23], v2, 24, v[1:2]
	v_mov_b32_e32 v6, v1
	global_load_dwordx2 v[1:2], v[5:6], off glc
	s_waitcnt vmcnt(0)
	global_atomic_cmpswap_x2 v[5:6], v0, v[1:4], s[6:7] offset:24 glc
	s_waitcnt vmcnt(0)
	buffer_wbinvl1_vol
	v_cmp_eq_u64_e32 vcc, v[5:6], v[3:4]
	s_or_b64 s[20:21], vcc, s[20:21]
	s_andn2_b64 exec, exec, s[20:21]
	s_cbranch_execnz .LBB7_1326
; %bb.1327:
	s_or_b64 exec, exec, s[20:21]
.LBB7_1328:
	s_or_b64 exec, exec, s[18:19]
.LBB7_1329:
	s_or_b64 exec, exec, s[16:17]
	v_mov_b32_e32 v4, 0
	global_load_dwordx2 v[7:8], v4, s[6:7] offset:40
	global_load_dwordx4 v[0:3], v4, s[6:7]
	v_readfirstlane_b32 s16, v5
	v_readfirstlane_b32 s17, v6
	s_mov_b64 s[18:19], exec
	s_waitcnt vmcnt(1)
	v_readfirstlane_b32 s20, v7
	v_readfirstlane_b32 s21, v8
	s_and_b64 s[20:21], s[16:17], s[20:21]
	s_mul_i32 s15, s21, 24
	s_mul_hi_u32 s22, s20, 24
	s_mul_i32 s23, s20, 24
	s_add_i32 s15, s22, s15
	v_mov_b32_e32 v5, s15
	s_waitcnt vmcnt(0)
	v_add_co_u32_e32 v7, vcc, s23, v0
	v_addc_co_u32_e32 v8, vcc, v1, v5, vcc
	s_and_saveexec_b64 s[22:23], s[4:5]
	s_cbranch_execz .LBB7_1331
; %bb.1330:
	v_mov_b32_e32 v9, s18
	v_mov_b32_e32 v10, s19
	;; [unrolled: 1-line block ×4, first 2 shown]
	global_store_dwordx4 v[7:8], v[9:12], off offset:8
.LBB7_1331:
	s_or_b64 exec, exec, s[22:23]
	s_lshl_b64 s[18:19], s[20:21], 12
	v_mov_b32_e32 v5, s19
	v_add_co_u32_e32 v2, vcc, s18, v2
	v_addc_co_u32_e32 v11, vcc, v3, v5, vcc
	s_mov_b32 s20, 0
	v_mov_b32_e32 v3, 33
	v_mov_b32_e32 v5, v4
	;; [unrolled: 1-line block ×3, first 2 shown]
	v_readfirstlane_b32 s18, v2
	v_readfirstlane_b32 s19, v11
	v_add_co_u32_e32 v9, vcc, v2, v31
	s_mov_b32 s21, s20
	s_mov_b32 s22, s20
	;; [unrolled: 1-line block ×3, first 2 shown]
	s_nop 0
	global_store_dwordx4 v31, v[3:6], s[18:19]
	v_mov_b32_e32 v2, s20
	v_addc_co_u32_e32 v10, vcc, 0, v11, vcc
	v_mov_b32_e32 v3, s21
	v_mov_b32_e32 v4, s22
	;; [unrolled: 1-line block ×3, first 2 shown]
	global_store_dwordx4 v31, v[2:5], s[18:19] offset:16
	global_store_dwordx4 v31, v[2:5], s[18:19] offset:32
	;; [unrolled: 1-line block ×3, first 2 shown]
	s_and_saveexec_b64 s[18:19], s[4:5]
	s_cbranch_execz .LBB7_1339
; %bb.1332:
	v_mov_b32_e32 v6, 0
	global_load_dwordx2 v[13:14], v6, s[6:7] offset:32 glc
	global_load_dwordx2 v[2:3], v6, s[6:7] offset:40
	v_mov_b32_e32 v11, s16
	v_mov_b32_e32 v12, s17
	s_waitcnt vmcnt(0)
	v_readfirstlane_b32 s20, v2
	v_readfirstlane_b32 s21, v3
	s_and_b64 s[20:21], s[20:21], s[16:17]
	s_mul_i32 s15, s21, 24
	s_mul_hi_u32 s21, s20, 24
	s_mul_i32 s20, s20, 24
	s_add_i32 s15, s21, s15
	v_mov_b32_e32 v2, s15
	v_add_co_u32_e32 v4, vcc, s20, v0
	v_addc_co_u32_e32 v5, vcc, v1, v2, vcc
	global_store_dwordx2 v[4:5], v[13:14], off
	s_waitcnt vmcnt(0)
	global_atomic_cmpswap_x2 v[2:3], v6, v[11:14], s[6:7] offset:32 glc
	s_waitcnt vmcnt(0)
	v_cmp_ne_u64_e32 vcc, v[2:3], v[13:14]
	s_and_saveexec_b64 s[20:21], vcc
	s_cbranch_execz .LBB7_1335
; %bb.1333:
	s_mov_b64 s[22:23], 0
.LBB7_1334:                             ; =>This Inner Loop Header: Depth=1
	s_sleep 1
	global_store_dwordx2 v[4:5], v[2:3], off
	v_mov_b32_e32 v0, s16
	v_mov_b32_e32 v1, s17
	s_waitcnt vmcnt(0)
	global_atomic_cmpswap_x2 v[0:1], v6, v[0:3], s[6:7] offset:32 glc
	s_waitcnt vmcnt(0)
	v_cmp_eq_u64_e32 vcc, v[0:1], v[2:3]
	v_mov_b32_e32 v3, v1
	s_or_b64 s[22:23], vcc, s[22:23]
	v_mov_b32_e32 v2, v0
	s_andn2_b64 exec, exec, s[22:23]
	s_cbranch_execnz .LBB7_1334
.LBB7_1335:
	s_or_b64 exec, exec, s[20:21]
	v_mov_b32_e32 v3, 0
	global_load_dwordx2 v[0:1], v3, s[6:7] offset:16
	s_mov_b64 s[20:21], exec
	v_mbcnt_lo_u32_b32 v2, s20, 0
	v_mbcnt_hi_u32_b32 v2, s21, v2
	v_cmp_eq_u32_e32 vcc, 0, v2
	s_and_saveexec_b64 s[22:23], vcc
	s_cbranch_execz .LBB7_1337
; %bb.1336:
	s_bcnt1_i32_b64 s15, s[20:21]
	v_mov_b32_e32 v2, s15
	s_waitcnt vmcnt(0)
	global_atomic_add_x2 v[0:1], v[2:3], off offset:8
.LBB7_1337:
	s_or_b64 exec, exec, s[22:23]
	s_waitcnt vmcnt(0)
	global_load_dwordx2 v[2:3], v[0:1], off offset:16
	s_waitcnt vmcnt(0)
	v_cmp_eq_u64_e32 vcc, 0, v[2:3]
	s_cbranch_vccnz .LBB7_1339
; %bb.1338:
	global_load_dword v0, v[0:1], off offset:24
	v_mov_b32_e32 v1, 0
	s_waitcnt vmcnt(0)
	global_store_dwordx2 v[2:3], v[0:1], off
	v_and_b32_e32 v0, 0xffffff, v0
	v_readfirstlane_b32 m0, v0
	s_sendmsg sendmsg(MSG_INTERRUPT)
.LBB7_1339:
	s_or_b64 exec, exec, s[18:19]
	s_branch .LBB7_1343
.LBB7_1340:                             ;   in Loop: Header=BB7_1343 Depth=1
	s_or_b64 exec, exec, s[18:19]
	v_readfirstlane_b32 s15, v0
	s_cmp_eq_u32 s15, 0
	s_cbranch_scc1 .LBB7_1342
; %bb.1341:                             ;   in Loop: Header=BB7_1343 Depth=1
	s_sleep 1
	s_cbranch_execnz .LBB7_1343
	s_branch .LBB7_1345
.LBB7_1342:
	s_branch .LBB7_1345
.LBB7_1343:                             ; =>This Inner Loop Header: Depth=1
	v_mov_b32_e32 v0, 1
	s_and_saveexec_b64 s[18:19], s[4:5]
	s_cbranch_execz .LBB7_1340
; %bb.1344:                             ;   in Loop: Header=BB7_1343 Depth=1
	global_load_dword v0, v[7:8], off offset:20 glc
	s_waitcnt vmcnt(0)
	buffer_wbinvl1_vol
	v_and_b32_e32 v0, 1, v0
	s_branch .LBB7_1340
.LBB7_1345:
	global_load_dwordx2 v[4:5], v[9:10], off
	s_and_saveexec_b64 s[18:19], s[4:5]
	s_cbranch_execz .LBB7_1348
; %bb.1346:
	v_mov_b32_e32 v8, 0
	global_load_dwordx2 v[2:3], v8, s[6:7] offset:40
	global_load_dwordx2 v[9:10], v8, s[6:7] offset:24 glc
	global_load_dwordx2 v[6:7], v8, s[6:7]
	v_mov_b32_e32 v1, s17
	s_mov_b64 s[4:5], 0
	s_waitcnt vmcnt(2)
	v_add_co_u32_e32 v11, vcc, 1, v2
	v_addc_co_u32_e32 v12, vcc, 0, v3, vcc
	v_add_co_u32_e32 v0, vcc, s16, v11
	v_addc_co_u32_e32 v1, vcc, v12, v1, vcc
	v_cmp_eq_u64_e32 vcc, 0, v[0:1]
	v_cndmask_b32_e32 v1, v1, v12, vcc
	v_cndmask_b32_e32 v0, v0, v11, vcc
	v_and_b32_e32 v3, v1, v3
	v_and_b32_e32 v2, v0, v2
	v_mul_lo_u32 v3, v3, 24
	v_mul_hi_u32 v11, v2, 24
	v_mul_lo_u32 v12, v2, 24
	s_waitcnt vmcnt(1)
	v_mov_b32_e32 v2, v9
	v_add_u32_e32 v3, v11, v3
	s_waitcnt vmcnt(0)
	v_add_co_u32_e32 v6, vcc, v6, v12
	v_addc_co_u32_e32 v7, vcc, v7, v3, vcc
	global_store_dwordx2 v[6:7], v[9:10], off
	v_mov_b32_e32 v3, v10
	s_waitcnt vmcnt(0)
	global_atomic_cmpswap_x2 v[2:3], v8, v[0:3], s[6:7] offset:24 glc
	s_waitcnt vmcnt(0)
	v_cmp_ne_u64_e32 vcc, v[2:3], v[9:10]
	s_and_b64 exec, exec, vcc
	s_cbranch_execz .LBB7_1348
.LBB7_1347:                             ; =>This Inner Loop Header: Depth=1
	s_sleep 1
	global_store_dwordx2 v[6:7], v[2:3], off
	s_waitcnt vmcnt(0)
	global_atomic_cmpswap_x2 v[9:10], v8, v[0:3], s[6:7] offset:24 glc
	s_waitcnt vmcnt(0)
	v_cmp_eq_u64_e32 vcc, v[9:10], v[2:3]
	v_mov_b32_e32 v2, v9
	s_or_b64 s[4:5], vcc, s[4:5]
	v_mov_b32_e32 v3, v10
	s_andn2_b64 exec, exec, s[4:5]
	s_cbranch_execnz .LBB7_1347
.LBB7_1348:
	s_or_b64 exec, exec, s[18:19]
	s_and_b64 vcc, exec, s[10:11]
	s_cbranch_vccz .LBB7_1433
; %bb.1349:
	s_waitcnt vmcnt(0)
	v_and_b32_e32 v29, 2, v4
	v_mov_b32_e32 v26, 0
	v_and_b32_e32 v0, -3, v4
	v_mov_b32_e32 v1, v5
	s_mov_b64 s[16:17], 3
	v_mov_b32_e32 v8, 2
	v_mov_b32_e32 v9, 1
	s_getpc_b64 s[10:11]
	s_add_u32 s10, s10, .str.5@rel32@lo+4
	s_addc_u32 s11, s11, .str.5@rel32@hi+12
	s_branch .LBB7_1351
.LBB7_1350:                             ;   in Loop: Header=BB7_1351 Depth=1
	s_or_b64 exec, exec, s[22:23]
	s_sub_u32 s16, s16, s18
	s_subb_u32 s17, s17, s19
	s_add_u32 s10, s10, s18
	s_addc_u32 s11, s11, s19
	s_cmp_lg_u64 s[16:17], 0
	s_cbranch_scc0 .LBB7_1432
.LBB7_1351:                             ; =>This Loop Header: Depth=1
                                        ;     Child Loop BB7_1354 Depth 2
                                        ;     Child Loop BB7_1361 Depth 2
	;; [unrolled: 1-line block ×11, first 2 shown]
	v_cmp_lt_u64_e64 s[4:5], s[16:17], 56
	v_cmp_gt_u64_e64 s[20:21], s[16:17], 7
	s_and_b64 s[4:5], s[4:5], exec
	s_cselect_b32 s19, s17, 0
	s_cselect_b32 s18, s16, 56
	s_and_b64 vcc, exec, s[20:21]
	s_cbranch_vccnz .LBB7_1356
; %bb.1352:                             ;   in Loop: Header=BB7_1351 Depth=1
	s_waitcnt vmcnt(0)
	v_mov_b32_e32 v2, 0
	s_cmp_eq_u64 s[16:17], 0
	v_mov_b32_e32 v3, 0
	s_mov_b64 s[4:5], 0
	s_cbranch_scc1 .LBB7_1355
; %bb.1353:                             ;   in Loop: Header=BB7_1351 Depth=1
	v_mov_b32_e32 v2, 0
	s_lshl_b64 s[20:21], s[18:19], 3
	s_mov_b64 s[22:23], 0
	v_mov_b32_e32 v3, 0
	s_mov_b64 s[24:25], s[10:11]
.LBB7_1354:                             ;   Parent Loop BB7_1351 Depth=1
                                        ; =>  This Inner Loop Header: Depth=2
	global_load_ubyte v6, v26, s[24:25]
	s_waitcnt vmcnt(0)
	v_and_b32_e32 v25, 0xffff, v6
	v_lshlrev_b64 v[6:7], s22, v[25:26]
	s_add_u32 s22, s22, 8
	s_addc_u32 s23, s23, 0
	s_add_u32 s24, s24, 1
	s_addc_u32 s25, s25, 0
	v_or_b32_e32 v2, v6, v2
	s_cmp_lg_u32 s20, s22
	v_or_b32_e32 v3, v7, v3
	s_cbranch_scc1 .LBB7_1354
.LBB7_1355:                             ;   in Loop: Header=BB7_1351 Depth=1
	s_mov_b32 s15, 0
	s_andn2_b64 vcc, exec, s[4:5]
	s_mov_b64 s[4:5], s[10:11]
	s_cbranch_vccz .LBB7_1357
	s_branch .LBB7_1358
.LBB7_1356:                             ;   in Loop: Header=BB7_1351 Depth=1
                                        ; implicit-def: $vgpr2_vgpr3
                                        ; implicit-def: $sgpr15
	s_mov_b64 s[4:5], s[10:11]
.LBB7_1357:                             ;   in Loop: Header=BB7_1351 Depth=1
	global_load_dwordx2 v[2:3], v26, s[10:11]
	s_add_i32 s15, s18, -8
	s_add_u32 s4, s10, 8
	s_addc_u32 s5, s11, 0
.LBB7_1358:                             ;   in Loop: Header=BB7_1351 Depth=1
	s_cmp_gt_u32 s15, 7
	s_cbranch_scc1 .LBB7_1362
; %bb.1359:                             ;   in Loop: Header=BB7_1351 Depth=1
	s_cmp_eq_u32 s15, 0
	s_cbranch_scc1 .LBB7_1363
; %bb.1360:                             ;   in Loop: Header=BB7_1351 Depth=1
	v_mov_b32_e32 v10, 0
	s_mov_b64 s[20:21], 0
	v_mov_b32_e32 v11, 0
	s_mov_b64 s[22:23], 0
.LBB7_1361:                             ;   Parent Loop BB7_1351 Depth=1
                                        ; =>  This Inner Loop Header: Depth=2
	s_add_u32 s24, s4, s22
	s_addc_u32 s25, s5, s23
	global_load_ubyte v6, v26, s[24:25]
	s_add_u32 s22, s22, 1
	s_addc_u32 s23, s23, 0
	s_waitcnt vmcnt(0)
	v_and_b32_e32 v25, 0xffff, v6
	v_lshlrev_b64 v[6:7], s20, v[25:26]
	s_add_u32 s20, s20, 8
	s_addc_u32 s21, s21, 0
	v_or_b32_e32 v10, v6, v10
	s_cmp_lg_u32 s15, s22
	v_or_b32_e32 v11, v7, v11
	s_cbranch_scc1 .LBB7_1361
	s_branch .LBB7_1364
.LBB7_1362:                             ;   in Loop: Header=BB7_1351 Depth=1
                                        ; implicit-def: $vgpr10_vgpr11
                                        ; implicit-def: $sgpr24
	s_branch .LBB7_1365
.LBB7_1363:                             ;   in Loop: Header=BB7_1351 Depth=1
	v_mov_b32_e32 v10, 0
	v_mov_b32_e32 v11, 0
.LBB7_1364:                             ;   in Loop: Header=BB7_1351 Depth=1
	s_mov_b32 s24, 0
	s_cbranch_execnz .LBB7_1366
.LBB7_1365:                             ;   in Loop: Header=BB7_1351 Depth=1
	global_load_dwordx2 v[10:11], v26, s[4:5]
	s_add_i32 s24, s15, -8
	s_add_u32 s4, s4, 8
	s_addc_u32 s5, s5, 0
.LBB7_1366:                             ;   in Loop: Header=BB7_1351 Depth=1
	s_cmp_gt_u32 s24, 7
	s_cbranch_scc1 .LBB7_1370
; %bb.1367:                             ;   in Loop: Header=BB7_1351 Depth=1
	s_cmp_eq_u32 s24, 0
	s_cbranch_scc1 .LBB7_1371
; %bb.1368:                             ;   in Loop: Header=BB7_1351 Depth=1
	v_mov_b32_e32 v12, 0
	s_mov_b64 s[20:21], 0
	v_mov_b32_e32 v13, 0
	s_mov_b64 s[22:23], 0
.LBB7_1369:                             ;   Parent Loop BB7_1351 Depth=1
                                        ; =>  This Inner Loop Header: Depth=2
	s_add_u32 s26, s4, s22
	s_addc_u32 s27, s5, s23
	global_load_ubyte v6, v26, s[26:27]
	s_add_u32 s22, s22, 1
	s_addc_u32 s23, s23, 0
	s_waitcnt vmcnt(0)
	v_and_b32_e32 v25, 0xffff, v6
	v_lshlrev_b64 v[6:7], s20, v[25:26]
	s_add_u32 s20, s20, 8
	s_addc_u32 s21, s21, 0
	v_or_b32_e32 v12, v6, v12
	s_cmp_lg_u32 s24, s22
	v_or_b32_e32 v13, v7, v13
	s_cbranch_scc1 .LBB7_1369
	s_branch .LBB7_1372
.LBB7_1370:                             ;   in Loop: Header=BB7_1351 Depth=1
                                        ; implicit-def: $sgpr15
	s_branch .LBB7_1373
.LBB7_1371:                             ;   in Loop: Header=BB7_1351 Depth=1
	v_mov_b32_e32 v12, 0
	v_mov_b32_e32 v13, 0
.LBB7_1372:                             ;   in Loop: Header=BB7_1351 Depth=1
	s_mov_b32 s15, 0
	s_cbranch_execnz .LBB7_1374
.LBB7_1373:                             ;   in Loop: Header=BB7_1351 Depth=1
	global_load_dwordx2 v[12:13], v26, s[4:5]
	s_add_i32 s15, s24, -8
	s_add_u32 s4, s4, 8
	s_addc_u32 s5, s5, 0
.LBB7_1374:                             ;   in Loop: Header=BB7_1351 Depth=1
	s_cmp_gt_u32 s15, 7
	s_cbranch_scc1 .LBB7_1378
; %bb.1375:                             ;   in Loop: Header=BB7_1351 Depth=1
	s_cmp_eq_u32 s15, 0
	s_cbranch_scc1 .LBB7_1379
; %bb.1376:                             ;   in Loop: Header=BB7_1351 Depth=1
	v_mov_b32_e32 v14, 0
	s_mov_b64 s[20:21], 0
	v_mov_b32_e32 v15, 0
	s_mov_b64 s[22:23], 0
.LBB7_1377:                             ;   Parent Loop BB7_1351 Depth=1
                                        ; =>  This Inner Loop Header: Depth=2
	s_add_u32 s24, s4, s22
	s_addc_u32 s25, s5, s23
	global_load_ubyte v6, v26, s[24:25]
	s_add_u32 s22, s22, 1
	s_addc_u32 s23, s23, 0
	s_waitcnt vmcnt(0)
	v_and_b32_e32 v25, 0xffff, v6
	v_lshlrev_b64 v[6:7], s20, v[25:26]
	s_add_u32 s20, s20, 8
	s_addc_u32 s21, s21, 0
	v_or_b32_e32 v14, v6, v14
	s_cmp_lg_u32 s15, s22
	v_or_b32_e32 v15, v7, v15
	s_cbranch_scc1 .LBB7_1377
	s_branch .LBB7_1380
.LBB7_1378:                             ;   in Loop: Header=BB7_1351 Depth=1
                                        ; implicit-def: $vgpr14_vgpr15
                                        ; implicit-def: $sgpr24
	s_branch .LBB7_1381
.LBB7_1379:                             ;   in Loop: Header=BB7_1351 Depth=1
	v_mov_b32_e32 v14, 0
	v_mov_b32_e32 v15, 0
.LBB7_1380:                             ;   in Loop: Header=BB7_1351 Depth=1
	s_mov_b32 s24, 0
	s_cbranch_execnz .LBB7_1382
.LBB7_1381:                             ;   in Loop: Header=BB7_1351 Depth=1
	global_load_dwordx2 v[14:15], v26, s[4:5]
	s_add_i32 s24, s15, -8
	s_add_u32 s4, s4, 8
	s_addc_u32 s5, s5, 0
.LBB7_1382:                             ;   in Loop: Header=BB7_1351 Depth=1
	s_cmp_gt_u32 s24, 7
	s_cbranch_scc1 .LBB7_1386
; %bb.1383:                             ;   in Loop: Header=BB7_1351 Depth=1
	s_cmp_eq_u32 s24, 0
	s_cbranch_scc1 .LBB7_1387
; %bb.1384:                             ;   in Loop: Header=BB7_1351 Depth=1
	v_mov_b32_e32 v16, 0
	s_mov_b64 s[20:21], 0
	v_mov_b32_e32 v17, 0
	s_mov_b64 s[22:23], 0
.LBB7_1385:                             ;   Parent Loop BB7_1351 Depth=1
                                        ; =>  This Inner Loop Header: Depth=2
	s_add_u32 s26, s4, s22
	s_addc_u32 s27, s5, s23
	global_load_ubyte v6, v26, s[26:27]
	s_add_u32 s22, s22, 1
	s_addc_u32 s23, s23, 0
	s_waitcnt vmcnt(0)
	v_and_b32_e32 v25, 0xffff, v6
	v_lshlrev_b64 v[6:7], s20, v[25:26]
	s_add_u32 s20, s20, 8
	s_addc_u32 s21, s21, 0
	v_or_b32_e32 v16, v6, v16
	s_cmp_lg_u32 s24, s22
	v_or_b32_e32 v17, v7, v17
	s_cbranch_scc1 .LBB7_1385
	s_branch .LBB7_1388
.LBB7_1386:                             ;   in Loop: Header=BB7_1351 Depth=1
                                        ; implicit-def: $sgpr15
	s_branch .LBB7_1389
.LBB7_1387:                             ;   in Loop: Header=BB7_1351 Depth=1
	v_mov_b32_e32 v16, 0
	v_mov_b32_e32 v17, 0
.LBB7_1388:                             ;   in Loop: Header=BB7_1351 Depth=1
	s_mov_b32 s15, 0
	s_cbranch_execnz .LBB7_1390
.LBB7_1389:                             ;   in Loop: Header=BB7_1351 Depth=1
	global_load_dwordx2 v[16:17], v26, s[4:5]
	s_add_i32 s15, s24, -8
	s_add_u32 s4, s4, 8
	s_addc_u32 s5, s5, 0
.LBB7_1390:                             ;   in Loop: Header=BB7_1351 Depth=1
	s_cmp_gt_u32 s15, 7
	s_cbranch_scc1 .LBB7_1394
; %bb.1391:                             ;   in Loop: Header=BB7_1351 Depth=1
	s_cmp_eq_u32 s15, 0
	s_cbranch_scc1 .LBB7_1395
; %bb.1392:                             ;   in Loop: Header=BB7_1351 Depth=1
	v_mov_b32_e32 v18, 0
	s_mov_b64 s[20:21], 0
	v_mov_b32_e32 v19, 0
	s_mov_b64 s[22:23], 0
.LBB7_1393:                             ;   Parent Loop BB7_1351 Depth=1
                                        ; =>  This Inner Loop Header: Depth=2
	s_add_u32 s24, s4, s22
	s_addc_u32 s25, s5, s23
	global_load_ubyte v6, v26, s[24:25]
	s_add_u32 s22, s22, 1
	s_addc_u32 s23, s23, 0
	s_waitcnt vmcnt(0)
	v_and_b32_e32 v25, 0xffff, v6
	v_lshlrev_b64 v[6:7], s20, v[25:26]
	s_add_u32 s20, s20, 8
	s_addc_u32 s21, s21, 0
	v_or_b32_e32 v18, v6, v18
	s_cmp_lg_u32 s15, s22
	v_or_b32_e32 v19, v7, v19
	s_cbranch_scc1 .LBB7_1393
	s_branch .LBB7_1396
.LBB7_1394:                             ;   in Loop: Header=BB7_1351 Depth=1
                                        ; implicit-def: $vgpr18_vgpr19
                                        ; implicit-def: $sgpr24
	s_branch .LBB7_1397
.LBB7_1395:                             ;   in Loop: Header=BB7_1351 Depth=1
	v_mov_b32_e32 v18, 0
	v_mov_b32_e32 v19, 0
.LBB7_1396:                             ;   in Loop: Header=BB7_1351 Depth=1
	s_mov_b32 s24, 0
	s_cbranch_execnz .LBB7_1398
.LBB7_1397:                             ;   in Loop: Header=BB7_1351 Depth=1
	global_load_dwordx2 v[18:19], v26, s[4:5]
	s_add_i32 s24, s15, -8
	s_add_u32 s4, s4, 8
	s_addc_u32 s5, s5, 0
.LBB7_1398:                             ;   in Loop: Header=BB7_1351 Depth=1
	s_cmp_gt_u32 s24, 7
	s_cbranch_scc1 .LBB7_1402
; %bb.1399:                             ;   in Loop: Header=BB7_1351 Depth=1
	s_cmp_eq_u32 s24, 0
	s_cbranch_scc1 .LBB7_1403
; %bb.1400:                             ;   in Loop: Header=BB7_1351 Depth=1
	v_mov_b32_e32 v20, 0
	s_mov_b64 s[20:21], 0
	v_mov_b32_e32 v21, 0
	s_mov_b64 s[22:23], s[4:5]
.LBB7_1401:                             ;   Parent Loop BB7_1351 Depth=1
                                        ; =>  This Inner Loop Header: Depth=2
	global_load_ubyte v6, v26, s[22:23]
	s_add_i32 s24, s24, -1
	s_waitcnt vmcnt(0)
	v_and_b32_e32 v25, 0xffff, v6
	v_lshlrev_b64 v[6:7], s20, v[25:26]
	s_add_u32 s20, s20, 8
	s_addc_u32 s21, s21, 0
	s_add_u32 s22, s22, 1
	s_addc_u32 s23, s23, 0
	v_or_b32_e32 v20, v6, v20
	s_cmp_lg_u32 s24, 0
	v_or_b32_e32 v21, v7, v21
	s_cbranch_scc1 .LBB7_1401
	s_branch .LBB7_1404
.LBB7_1402:                             ;   in Loop: Header=BB7_1351 Depth=1
	s_branch .LBB7_1405
.LBB7_1403:                             ;   in Loop: Header=BB7_1351 Depth=1
	v_mov_b32_e32 v20, 0
	v_mov_b32_e32 v21, 0
.LBB7_1404:                             ;   in Loop: Header=BB7_1351 Depth=1
	s_cbranch_execnz .LBB7_1406
.LBB7_1405:                             ;   in Loop: Header=BB7_1351 Depth=1
	global_load_dwordx2 v[20:21], v26, s[4:5]
.LBB7_1406:                             ;   in Loop: Header=BB7_1351 Depth=1
	v_readfirstlane_b32 s4, v32
	v_mov_b32_e32 v6, 0
	v_mov_b32_e32 v7, 0
	v_cmp_eq_u32_e64 s[4:5], s4, v32
	s_and_saveexec_b64 s[20:21], s[4:5]
	s_cbranch_execz .LBB7_1412
; %bb.1407:                             ;   in Loop: Header=BB7_1351 Depth=1
	global_load_dwordx2 v[24:25], v26, s[6:7] offset:24 glc
	s_waitcnt vmcnt(0)
	buffer_wbinvl1_vol
	global_load_dwordx2 v[6:7], v26, s[6:7] offset:40
	global_load_dwordx2 v[22:23], v26, s[6:7]
	s_waitcnt vmcnt(1)
	v_and_b32_e32 v6, v6, v24
	v_and_b32_e32 v7, v7, v25
	v_mul_lo_u32 v7, v7, 24
	v_mul_hi_u32 v27, v6, 24
	v_mul_lo_u32 v6, v6, 24
	v_add_u32_e32 v7, v27, v7
	s_waitcnt vmcnt(0)
	v_add_co_u32_e32 v6, vcc, v22, v6
	v_addc_co_u32_e32 v7, vcc, v23, v7, vcc
	global_load_dwordx2 v[22:23], v[6:7], off glc
	s_waitcnt vmcnt(0)
	global_atomic_cmpswap_x2 v[6:7], v26, v[22:25], s[6:7] offset:24 glc
	s_waitcnt vmcnt(0)
	buffer_wbinvl1_vol
	v_cmp_ne_u64_e32 vcc, v[6:7], v[24:25]
	s_and_saveexec_b64 s[22:23], vcc
	s_cbranch_execz .LBB7_1411
; %bb.1408:                             ;   in Loop: Header=BB7_1351 Depth=1
	s_mov_b64 s[24:25], 0
.LBB7_1409:                             ;   Parent Loop BB7_1351 Depth=1
                                        ; =>  This Inner Loop Header: Depth=2
	s_sleep 1
	global_load_dwordx2 v[22:23], v26, s[6:7] offset:40
	global_load_dwordx2 v[27:28], v26, s[6:7]
	v_mov_b32_e32 v25, v7
	v_mov_b32_e32 v24, v6
	s_waitcnt vmcnt(1)
	v_and_b32_e32 v6, v22, v24
	s_waitcnt vmcnt(0)
	v_mad_u64_u32 v[6:7], s[26:27], v6, 24, v[27:28]
	v_and_b32_e32 v22, v23, v25
	v_mad_u64_u32 v[22:23], s[26:27], v22, 24, v[7:8]
	v_mov_b32_e32 v7, v22
	global_load_dwordx2 v[22:23], v[6:7], off glc
	s_waitcnt vmcnt(0)
	global_atomic_cmpswap_x2 v[6:7], v26, v[22:25], s[6:7] offset:24 glc
	s_waitcnt vmcnt(0)
	buffer_wbinvl1_vol
	v_cmp_eq_u64_e32 vcc, v[6:7], v[24:25]
	s_or_b64 s[24:25], vcc, s[24:25]
	s_andn2_b64 exec, exec, s[24:25]
	s_cbranch_execnz .LBB7_1409
; %bb.1410:                             ;   in Loop: Header=BB7_1351 Depth=1
	s_or_b64 exec, exec, s[24:25]
.LBB7_1411:                             ;   in Loop: Header=BB7_1351 Depth=1
	s_or_b64 exec, exec, s[22:23]
.LBB7_1412:                             ;   in Loop: Header=BB7_1351 Depth=1
	s_or_b64 exec, exec, s[20:21]
	global_load_dwordx2 v[27:28], v26, s[6:7] offset:40
	global_load_dwordx4 v[22:25], v26, s[6:7]
	v_readfirstlane_b32 s20, v6
	v_readfirstlane_b32 s21, v7
	s_mov_b64 s[22:23], exec
	s_waitcnt vmcnt(1)
	v_readfirstlane_b32 s24, v27
	v_readfirstlane_b32 s25, v28
	s_and_b64 s[24:25], s[20:21], s[24:25]
	s_mul_i32 s15, s25, 24
	s_mul_hi_u32 s26, s24, 24
	s_mul_i32 s27, s24, 24
	s_add_i32 s15, s26, s15
	v_mov_b32_e32 v6, s15
	s_waitcnt vmcnt(0)
	v_add_co_u32_e32 v27, vcc, s27, v22
	v_addc_co_u32_e32 v28, vcc, v23, v6, vcc
	s_and_saveexec_b64 s[26:27], s[4:5]
	s_cbranch_execz .LBB7_1414
; %bb.1413:                             ;   in Loop: Header=BB7_1351 Depth=1
	v_mov_b32_e32 v6, s22
	v_mov_b32_e32 v7, s23
	global_store_dwordx4 v[27:28], v[6:9], off offset:8
.LBB7_1414:                             ;   in Loop: Header=BB7_1351 Depth=1
	s_or_b64 exec, exec, s[26:27]
	s_lshl_b64 s[22:23], s[24:25], 12
	v_mov_b32_e32 v6, s23
	v_add_co_u32_e32 v24, vcc, s22, v24
	v_addc_co_u32_e32 v30, vcc, v25, v6, vcc
	v_cmp_gt_u64_e64 vcc, s[16:17], 56
	v_or_b32_e32 v7, v0, v29
	s_lshl_b32 s15, s18, 2
	v_cndmask_b32_e32 v0, v7, v0, vcc
	s_add_i32 s15, s15, 28
	v_or_b32_e32 v6, 0, v1
	s_and_b32 s15, s15, 0x1e0
	v_and_b32_e32 v0, 0xffffff1f, v0
	v_cndmask_b32_e32 v1, v6, v1, vcc
	v_or_b32_e32 v0, s15, v0
	v_readfirstlane_b32 s22, v24
	v_readfirstlane_b32 s23, v30
	s_nop 4
	global_store_dwordx4 v31, v[0:3], s[22:23]
	global_store_dwordx4 v31, v[10:13], s[22:23] offset:16
	global_store_dwordx4 v31, v[14:17], s[22:23] offset:32
	global_store_dwordx4 v31, v[18:21], s[22:23] offset:48
	s_and_saveexec_b64 s[22:23], s[4:5]
	s_cbranch_execz .LBB7_1422
; %bb.1415:                             ;   in Loop: Header=BB7_1351 Depth=1
	global_load_dwordx2 v[12:13], v26, s[6:7] offset:32 glc
	global_load_dwordx2 v[0:1], v26, s[6:7] offset:40
	v_mov_b32_e32 v10, s20
	v_mov_b32_e32 v11, s21
	s_waitcnt vmcnt(0)
	v_readfirstlane_b32 s24, v0
	v_readfirstlane_b32 s25, v1
	s_and_b64 s[24:25], s[24:25], s[20:21]
	s_mul_i32 s15, s25, 24
	s_mul_hi_u32 s25, s24, 24
	s_mul_i32 s24, s24, 24
	s_add_i32 s15, s25, s15
	v_mov_b32_e32 v0, s15
	v_add_co_u32_e32 v6, vcc, s24, v22
	v_addc_co_u32_e32 v7, vcc, v23, v0, vcc
	global_store_dwordx2 v[6:7], v[12:13], off
	s_waitcnt vmcnt(0)
	global_atomic_cmpswap_x2 v[2:3], v26, v[10:13], s[6:7] offset:32 glc
	s_waitcnt vmcnt(0)
	v_cmp_ne_u64_e32 vcc, v[2:3], v[12:13]
	s_and_saveexec_b64 s[24:25], vcc
	s_cbranch_execz .LBB7_1418
; %bb.1416:                             ;   in Loop: Header=BB7_1351 Depth=1
	s_mov_b64 s[26:27], 0
.LBB7_1417:                             ;   Parent Loop BB7_1351 Depth=1
                                        ; =>  This Inner Loop Header: Depth=2
	s_sleep 1
	global_store_dwordx2 v[6:7], v[2:3], off
	v_mov_b32_e32 v0, s20
	v_mov_b32_e32 v1, s21
	s_waitcnt vmcnt(0)
	global_atomic_cmpswap_x2 v[0:1], v26, v[0:3], s[6:7] offset:32 glc
	s_waitcnt vmcnt(0)
	v_cmp_eq_u64_e32 vcc, v[0:1], v[2:3]
	v_mov_b32_e32 v3, v1
	s_or_b64 s[26:27], vcc, s[26:27]
	v_mov_b32_e32 v2, v0
	s_andn2_b64 exec, exec, s[26:27]
	s_cbranch_execnz .LBB7_1417
.LBB7_1418:                             ;   in Loop: Header=BB7_1351 Depth=1
	s_or_b64 exec, exec, s[24:25]
	global_load_dwordx2 v[0:1], v26, s[6:7] offset:16
	s_mov_b64 s[26:27], exec
	v_mbcnt_lo_u32_b32 v2, s26, 0
	v_mbcnt_hi_u32_b32 v2, s27, v2
	v_cmp_eq_u32_e32 vcc, 0, v2
	s_and_saveexec_b64 s[24:25], vcc
	s_cbranch_execz .LBB7_1420
; %bb.1419:                             ;   in Loop: Header=BB7_1351 Depth=1
	s_bcnt1_i32_b64 s15, s[26:27]
	v_mov_b32_e32 v25, s15
	s_waitcnt vmcnt(0)
	global_atomic_add_x2 v[0:1], v[25:26], off offset:8
.LBB7_1420:                             ;   in Loop: Header=BB7_1351 Depth=1
	s_or_b64 exec, exec, s[24:25]
	s_waitcnt vmcnt(0)
	global_load_dwordx2 v[2:3], v[0:1], off offset:16
	s_waitcnt vmcnt(0)
	v_cmp_eq_u64_e32 vcc, 0, v[2:3]
	s_cbranch_vccnz .LBB7_1422
; %bb.1421:                             ;   in Loop: Header=BB7_1351 Depth=1
	global_load_dword v25, v[0:1], off offset:24
	s_waitcnt vmcnt(0)
	v_and_b32_e32 v0, 0xffffff, v25
	v_readfirstlane_b32 m0, v0
	global_store_dwordx2 v[2:3], v[25:26], off
	s_sendmsg sendmsg(MSG_INTERRUPT)
.LBB7_1422:                             ;   in Loop: Header=BB7_1351 Depth=1
	s_or_b64 exec, exec, s[22:23]
	v_add_co_u32_e32 v0, vcc, v24, v31
	v_addc_co_u32_e32 v1, vcc, 0, v30, vcc
	s_branch .LBB7_1426
.LBB7_1423:                             ;   in Loop: Header=BB7_1426 Depth=2
	s_or_b64 exec, exec, s[22:23]
	v_readfirstlane_b32 s15, v2
	s_cmp_eq_u32 s15, 0
	s_cbranch_scc1 .LBB7_1425
; %bb.1424:                             ;   in Loop: Header=BB7_1426 Depth=2
	s_sleep 1
	s_cbranch_execnz .LBB7_1426
	s_branch .LBB7_1428
.LBB7_1425:                             ;   in Loop: Header=BB7_1351 Depth=1
	s_branch .LBB7_1428
.LBB7_1426:                             ;   Parent Loop BB7_1351 Depth=1
                                        ; =>  This Inner Loop Header: Depth=2
	v_mov_b32_e32 v2, 1
	s_and_saveexec_b64 s[22:23], s[4:5]
	s_cbranch_execz .LBB7_1423
; %bb.1427:                             ;   in Loop: Header=BB7_1426 Depth=2
	global_load_dword v2, v[27:28], off offset:20 glc
	s_waitcnt vmcnt(0)
	buffer_wbinvl1_vol
	v_and_b32_e32 v2, 1, v2
	s_branch .LBB7_1423
.LBB7_1428:                             ;   in Loop: Header=BB7_1351 Depth=1
	global_load_dwordx4 v[0:3], v[0:1], off
	s_and_saveexec_b64 s[22:23], s[4:5]
	s_cbranch_execz .LBB7_1350
; %bb.1429:                             ;   in Loop: Header=BB7_1351 Depth=1
	global_load_dwordx2 v[2:3], v26, s[6:7] offset:40
	global_load_dwordx2 v[6:7], v26, s[6:7] offset:24 glc
	global_load_dwordx2 v[13:14], v26, s[6:7]
	v_mov_b32_e32 v11, s21
	s_waitcnt vmcnt(2)
	v_add_co_u32_e32 v12, vcc, 1, v2
	v_addc_co_u32_e32 v15, vcc, 0, v3, vcc
	v_add_co_u32_e32 v10, vcc, s20, v12
	v_addc_co_u32_e32 v11, vcc, v15, v11, vcc
	v_cmp_eq_u64_e32 vcc, 0, v[10:11]
	v_cndmask_b32_e32 v11, v11, v15, vcc
	v_cndmask_b32_e32 v10, v10, v12, vcc
	v_and_b32_e32 v3, v11, v3
	v_and_b32_e32 v2, v10, v2
	v_mul_lo_u32 v3, v3, 24
	v_mul_hi_u32 v15, v2, 24
	v_mul_lo_u32 v2, v2, 24
	s_waitcnt vmcnt(1)
	v_mov_b32_e32 v12, v6
	v_add_u32_e32 v3, v15, v3
	s_waitcnt vmcnt(0)
	v_add_co_u32_e32 v2, vcc, v13, v2
	v_addc_co_u32_e32 v3, vcc, v14, v3, vcc
	global_store_dwordx2 v[2:3], v[6:7], off
	v_mov_b32_e32 v13, v7
	s_waitcnt vmcnt(0)
	global_atomic_cmpswap_x2 v[12:13], v26, v[10:13], s[6:7] offset:24 glc
	s_waitcnt vmcnt(0)
	v_cmp_ne_u64_e32 vcc, v[12:13], v[6:7]
	s_and_b64 exec, exec, vcc
	s_cbranch_execz .LBB7_1350
; %bb.1430:                             ;   in Loop: Header=BB7_1351 Depth=1
	s_mov_b64 s[4:5], 0
.LBB7_1431:                             ;   Parent Loop BB7_1351 Depth=1
                                        ; =>  This Inner Loop Header: Depth=2
	s_sleep 1
	global_store_dwordx2 v[2:3], v[12:13], off
	s_waitcnt vmcnt(0)
	global_atomic_cmpswap_x2 v[6:7], v26, v[10:13], s[6:7] offset:24 glc
	s_waitcnt vmcnt(0)
	v_cmp_eq_u64_e32 vcc, v[6:7], v[12:13]
	v_mov_b32_e32 v13, v7
	s_or_b64 s[4:5], vcc, s[4:5]
	v_mov_b32_e32 v12, v6
	s_andn2_b64 exec, exec, s[4:5]
	s_cbranch_execnz .LBB7_1431
	s_branch .LBB7_1350
.LBB7_1432:
	s_branch .LBB7_1460
.LBB7_1433:
                                        ; implicit-def: $vgpr0_vgpr1
	s_cbranch_execz .LBB7_1460
; %bb.1434:
	v_readfirstlane_b32 s4, v32
	v_mov_b32_e32 v7, 0
	v_mov_b32_e32 v8, 0
	v_cmp_eq_u32_e64 s[4:5], s4, v32
	s_and_saveexec_b64 s[10:11], s[4:5]
	s_cbranch_execz .LBB7_1440
; %bb.1435:
	s_waitcnt vmcnt(0)
	v_mov_b32_e32 v0, 0
	global_load_dwordx2 v[9:10], v0, s[6:7] offset:24 glc
	s_waitcnt vmcnt(0)
	buffer_wbinvl1_vol
	global_load_dwordx2 v[1:2], v0, s[6:7] offset:40
	global_load_dwordx2 v[6:7], v0, s[6:7]
	s_waitcnt vmcnt(1)
	v_and_b32_e32 v1, v1, v9
	v_and_b32_e32 v2, v2, v10
	v_mul_lo_u32 v2, v2, 24
	v_mul_hi_u32 v3, v1, 24
	v_mul_lo_u32 v1, v1, 24
	v_add_u32_e32 v2, v3, v2
	s_waitcnt vmcnt(0)
	v_add_co_u32_e32 v1, vcc, v6, v1
	v_addc_co_u32_e32 v2, vcc, v7, v2, vcc
	global_load_dwordx2 v[7:8], v[1:2], off glc
	s_waitcnt vmcnt(0)
	global_atomic_cmpswap_x2 v[7:8], v0, v[7:10], s[6:7] offset:24 glc
	s_waitcnt vmcnt(0)
	buffer_wbinvl1_vol
	v_cmp_ne_u64_e32 vcc, v[7:8], v[9:10]
	s_and_saveexec_b64 s[16:17], vcc
	s_cbranch_execz .LBB7_1439
; %bb.1436:
	s_mov_b64 s[18:19], 0
.LBB7_1437:                             ; =>This Inner Loop Header: Depth=1
	s_sleep 1
	global_load_dwordx2 v[1:2], v0, s[6:7] offset:40
	global_load_dwordx2 v[11:12], v0, s[6:7]
	v_mov_b32_e32 v10, v8
	v_mov_b32_e32 v9, v7
	s_waitcnt vmcnt(1)
	v_and_b32_e32 v1, v1, v9
	s_waitcnt vmcnt(0)
	v_mad_u64_u32 v[6:7], s[20:21], v1, 24, v[11:12]
	v_and_b32_e32 v2, v2, v10
	v_mov_b32_e32 v1, v7
	v_mad_u64_u32 v[1:2], s[20:21], v2, 24, v[1:2]
	v_mov_b32_e32 v7, v1
	global_load_dwordx2 v[7:8], v[6:7], off glc
	s_waitcnt vmcnt(0)
	global_atomic_cmpswap_x2 v[7:8], v0, v[7:10], s[6:7] offset:24 glc
	s_waitcnt vmcnt(0)
	buffer_wbinvl1_vol
	v_cmp_eq_u64_e32 vcc, v[7:8], v[9:10]
	s_or_b64 s[18:19], vcc, s[18:19]
	s_andn2_b64 exec, exec, s[18:19]
	s_cbranch_execnz .LBB7_1437
; %bb.1438:
	s_or_b64 exec, exec, s[18:19]
.LBB7_1439:
	s_or_b64 exec, exec, s[16:17]
.LBB7_1440:
	s_or_b64 exec, exec, s[10:11]
	v_mov_b32_e32 v6, 0
	global_load_dwordx2 v[9:10], v6, s[6:7] offset:40
	global_load_dwordx4 v[0:3], v6, s[6:7]
	v_readfirstlane_b32 s10, v7
	v_readfirstlane_b32 s11, v8
	s_mov_b64 s[16:17], exec
	s_waitcnt vmcnt(1)
	v_readfirstlane_b32 s18, v9
	v_readfirstlane_b32 s19, v10
	s_and_b64 s[18:19], s[10:11], s[18:19]
	s_mul_i32 s15, s19, 24
	s_mul_hi_u32 s20, s18, 24
	s_mul_i32 s21, s18, 24
	s_add_i32 s15, s20, s15
	v_mov_b32_e32 v7, s15
	s_waitcnt vmcnt(0)
	v_add_co_u32_e32 v8, vcc, s21, v0
	v_addc_co_u32_e32 v9, vcc, v1, v7, vcc
	s_and_saveexec_b64 s[20:21], s[4:5]
	s_cbranch_execz .LBB7_1442
; %bb.1441:
	v_mov_b32_e32 v10, s16
	v_mov_b32_e32 v11, s17
	;; [unrolled: 1-line block ×4, first 2 shown]
	global_store_dwordx4 v[8:9], v[10:13], off offset:8
.LBB7_1442:
	s_or_b64 exec, exec, s[20:21]
	s_lshl_b64 s[16:17], s[18:19], 12
	v_mov_b32_e32 v7, s17
	v_add_co_u32_e32 v2, vcc, s16, v2
	v_addc_co_u32_e32 v3, vcc, v3, v7, vcc
	s_movk_i32 s15, 0xff1f
	v_and_or_b32 v4, v4, s15, 32
	v_add_co_u32_e32 v10, vcc, v2, v31
	s_mov_b32 s16, 0
	v_mov_b32_e32 v7, v6
	v_readfirstlane_b32 s20, v2
	v_readfirstlane_b32 s21, v3
	v_addc_co_u32_e32 v11, vcc, 0, v3, vcc
	s_mov_b32 s17, s16
	s_mov_b32 s18, s16
	;; [unrolled: 1-line block ×3, first 2 shown]
	s_nop 0
	global_store_dwordx4 v31, v[4:7], s[20:21]
	v_mov_b32_e32 v2, s16
	v_mov_b32_e32 v3, s17
	v_mov_b32_e32 v4, s18
	v_mov_b32_e32 v5, s19
	global_store_dwordx4 v31, v[2:5], s[20:21] offset:16
	global_store_dwordx4 v31, v[2:5], s[20:21] offset:32
	;; [unrolled: 1-line block ×3, first 2 shown]
	s_and_saveexec_b64 s[16:17], s[4:5]
	s_cbranch_execz .LBB7_1450
; %bb.1443:
	v_mov_b32_e32 v6, 0
	global_load_dwordx2 v[14:15], v6, s[6:7] offset:32 glc
	global_load_dwordx2 v[2:3], v6, s[6:7] offset:40
	v_mov_b32_e32 v12, s10
	v_mov_b32_e32 v13, s11
	s_waitcnt vmcnt(0)
	v_readfirstlane_b32 s18, v2
	v_readfirstlane_b32 s19, v3
	s_and_b64 s[18:19], s[18:19], s[10:11]
	s_mul_i32 s15, s19, 24
	s_mul_hi_u32 s19, s18, 24
	s_mul_i32 s18, s18, 24
	s_add_i32 s15, s19, s15
	v_mov_b32_e32 v2, s15
	v_add_co_u32_e32 v4, vcc, s18, v0
	v_addc_co_u32_e32 v5, vcc, v1, v2, vcc
	global_store_dwordx2 v[4:5], v[14:15], off
	s_waitcnt vmcnt(0)
	global_atomic_cmpswap_x2 v[2:3], v6, v[12:15], s[6:7] offset:32 glc
	s_waitcnt vmcnt(0)
	v_cmp_ne_u64_e32 vcc, v[2:3], v[14:15]
	s_and_saveexec_b64 s[18:19], vcc
	s_cbranch_execz .LBB7_1446
; %bb.1444:
	s_mov_b64 s[20:21], 0
.LBB7_1445:                             ; =>This Inner Loop Header: Depth=1
	s_sleep 1
	global_store_dwordx2 v[4:5], v[2:3], off
	v_mov_b32_e32 v0, s10
	v_mov_b32_e32 v1, s11
	s_waitcnt vmcnt(0)
	global_atomic_cmpswap_x2 v[0:1], v6, v[0:3], s[6:7] offset:32 glc
	s_waitcnt vmcnt(0)
	v_cmp_eq_u64_e32 vcc, v[0:1], v[2:3]
	v_mov_b32_e32 v3, v1
	s_or_b64 s[20:21], vcc, s[20:21]
	v_mov_b32_e32 v2, v0
	s_andn2_b64 exec, exec, s[20:21]
	s_cbranch_execnz .LBB7_1445
.LBB7_1446:
	s_or_b64 exec, exec, s[18:19]
	v_mov_b32_e32 v3, 0
	global_load_dwordx2 v[0:1], v3, s[6:7] offset:16
	s_mov_b64 s[18:19], exec
	v_mbcnt_lo_u32_b32 v2, s18, 0
	v_mbcnt_hi_u32_b32 v2, s19, v2
	v_cmp_eq_u32_e32 vcc, 0, v2
	s_and_saveexec_b64 s[20:21], vcc
	s_cbranch_execz .LBB7_1448
; %bb.1447:
	s_bcnt1_i32_b64 s15, s[18:19]
	v_mov_b32_e32 v2, s15
	s_waitcnt vmcnt(0)
	global_atomic_add_x2 v[0:1], v[2:3], off offset:8
.LBB7_1448:
	s_or_b64 exec, exec, s[20:21]
	s_waitcnt vmcnt(0)
	global_load_dwordx2 v[2:3], v[0:1], off offset:16
	s_waitcnt vmcnt(0)
	v_cmp_eq_u64_e32 vcc, 0, v[2:3]
	s_cbranch_vccnz .LBB7_1450
; %bb.1449:
	global_load_dword v0, v[0:1], off offset:24
	v_mov_b32_e32 v1, 0
	s_waitcnt vmcnt(0)
	global_store_dwordx2 v[2:3], v[0:1], off
	v_and_b32_e32 v0, 0xffffff, v0
	v_readfirstlane_b32 m0, v0
	s_sendmsg sendmsg(MSG_INTERRUPT)
.LBB7_1450:
	s_or_b64 exec, exec, s[16:17]
	s_branch .LBB7_1454
.LBB7_1451:                             ;   in Loop: Header=BB7_1454 Depth=1
	s_or_b64 exec, exec, s[16:17]
	v_readfirstlane_b32 s15, v0
	s_cmp_eq_u32 s15, 0
	s_cbranch_scc1 .LBB7_1453
; %bb.1452:                             ;   in Loop: Header=BB7_1454 Depth=1
	s_sleep 1
	s_cbranch_execnz .LBB7_1454
	s_branch .LBB7_1456
.LBB7_1453:
	s_branch .LBB7_1456
.LBB7_1454:                             ; =>This Inner Loop Header: Depth=1
	v_mov_b32_e32 v0, 1
	s_and_saveexec_b64 s[16:17], s[4:5]
	s_cbranch_execz .LBB7_1451
; %bb.1455:                             ;   in Loop: Header=BB7_1454 Depth=1
	global_load_dword v0, v[8:9], off offset:20 glc
	s_waitcnt vmcnt(0)
	buffer_wbinvl1_vol
	v_and_b32_e32 v0, 1, v0
	s_branch .LBB7_1451
.LBB7_1456:
	global_load_dwordx2 v[0:1], v[10:11], off
	s_and_saveexec_b64 s[16:17], s[4:5]
	s_cbranch_execz .LBB7_1459
; %bb.1457:
	v_mov_b32_e32 v8, 0
	global_load_dwordx2 v[4:5], v8, s[6:7] offset:40
	global_load_dwordx2 v[9:10], v8, s[6:7] offset:24 glc
	global_load_dwordx2 v[6:7], v8, s[6:7]
	v_mov_b32_e32 v3, s11
	s_mov_b64 s[4:5], 0
	s_waitcnt vmcnt(2)
	v_add_co_u32_e32 v11, vcc, 1, v4
	v_addc_co_u32_e32 v12, vcc, 0, v5, vcc
	v_add_co_u32_e32 v2, vcc, s10, v11
	v_addc_co_u32_e32 v3, vcc, v12, v3, vcc
	v_cmp_eq_u64_e32 vcc, 0, v[2:3]
	v_cndmask_b32_e32 v3, v3, v12, vcc
	v_cndmask_b32_e32 v2, v2, v11, vcc
	v_and_b32_e32 v5, v3, v5
	v_and_b32_e32 v4, v2, v4
	v_mul_lo_u32 v5, v5, 24
	v_mul_hi_u32 v11, v4, 24
	v_mul_lo_u32 v12, v4, 24
	s_waitcnt vmcnt(1)
	v_mov_b32_e32 v4, v9
	v_add_u32_e32 v5, v11, v5
	s_waitcnt vmcnt(0)
	v_add_co_u32_e32 v6, vcc, v6, v12
	v_addc_co_u32_e32 v7, vcc, v7, v5, vcc
	global_store_dwordx2 v[6:7], v[9:10], off
	v_mov_b32_e32 v5, v10
	s_waitcnt vmcnt(0)
	global_atomic_cmpswap_x2 v[4:5], v8, v[2:5], s[6:7] offset:24 glc
	s_waitcnt vmcnt(0)
	v_cmp_ne_u64_e32 vcc, v[4:5], v[9:10]
	s_and_b64 exec, exec, vcc
	s_cbranch_execz .LBB7_1459
.LBB7_1458:                             ; =>This Inner Loop Header: Depth=1
	s_sleep 1
	global_store_dwordx2 v[6:7], v[4:5], off
	s_waitcnt vmcnt(0)
	global_atomic_cmpswap_x2 v[9:10], v8, v[2:5], s[6:7] offset:24 glc
	s_waitcnt vmcnt(0)
	v_cmp_eq_u64_e32 vcc, v[9:10], v[4:5]
	v_mov_b32_e32 v4, v9
	s_or_b64 s[4:5], vcc, s[4:5]
	v_mov_b32_e32 v5, v10
	s_andn2_b64 exec, exec, s[4:5]
	s_cbranch_execnz .LBB7_1458
.LBB7_1459:
	s_or_b64 exec, exec, s[16:17]
.LBB7_1460:
	s_getpc_b64 s[10:11]
	s_add_u32 s10, s10, .str.2@rel32@lo+4
	s_addc_u32 s11, s11, .str.2@rel32@hi+12
	s_cmp_lg_u64 s[10:11], 0
	s_cbranch_scc0 .LBB7_1545
; %bb.1461:
	s_waitcnt vmcnt(0)
	v_and_b32_e32 v6, -3, v0
	v_mov_b32_e32 v7, v1
	s_mov_b64 s[16:17], 13
	v_mov_b32_e32 v26, 0
	v_mov_b32_e32 v4, 2
	;; [unrolled: 1-line block ×3, first 2 shown]
	s_branch .LBB7_1463
.LBB7_1462:                             ;   in Loop: Header=BB7_1463 Depth=1
	s_or_b64 exec, exec, s[22:23]
	s_sub_u32 s16, s16, s18
	s_subb_u32 s17, s17, s19
	s_add_u32 s10, s10, s18
	s_addc_u32 s11, s11, s19
	s_cmp_lg_u64 s[16:17], 0
	s_cbranch_scc0 .LBB7_1544
.LBB7_1463:                             ; =>This Loop Header: Depth=1
                                        ;     Child Loop BB7_1466 Depth 2
                                        ;     Child Loop BB7_1473 Depth 2
	;; [unrolled: 1-line block ×11, first 2 shown]
	v_cmp_lt_u64_e64 s[4:5], s[16:17], 56
	v_cmp_gt_u64_e64 s[20:21], s[16:17], 7
	s_and_b64 s[4:5], s[4:5], exec
	s_cselect_b32 s19, s17, 0
	s_cselect_b32 s18, s16, 56
	s_and_b64 vcc, exec, s[20:21]
	s_cbranch_vccnz .LBB7_1468
; %bb.1464:                             ;   in Loop: Header=BB7_1463 Depth=1
	s_waitcnt vmcnt(0)
	v_mov_b32_e32 v8, 0
	s_cmp_eq_u64 s[16:17], 0
	v_mov_b32_e32 v9, 0
	s_mov_b64 s[4:5], 0
	s_cbranch_scc1 .LBB7_1467
; %bb.1465:                             ;   in Loop: Header=BB7_1463 Depth=1
	v_mov_b32_e32 v8, 0
	s_lshl_b64 s[20:21], s[18:19], 3
	s_mov_b64 s[22:23], 0
	v_mov_b32_e32 v9, 0
	s_mov_b64 s[24:25], s[10:11]
.LBB7_1466:                             ;   Parent Loop BB7_1463 Depth=1
                                        ; =>  This Inner Loop Header: Depth=2
	global_load_ubyte v2, v26, s[24:25]
	s_waitcnt vmcnt(0)
	v_and_b32_e32 v25, 0xffff, v2
	v_lshlrev_b64 v[2:3], s22, v[25:26]
	s_add_u32 s22, s22, 8
	s_addc_u32 s23, s23, 0
	s_add_u32 s24, s24, 1
	s_addc_u32 s25, s25, 0
	v_or_b32_e32 v8, v2, v8
	s_cmp_lg_u32 s20, s22
	v_or_b32_e32 v9, v3, v9
	s_cbranch_scc1 .LBB7_1466
.LBB7_1467:                             ;   in Loop: Header=BB7_1463 Depth=1
	s_mov_b32 s15, 0
	s_andn2_b64 vcc, exec, s[4:5]
	s_mov_b64 s[4:5], s[10:11]
	s_cbranch_vccz .LBB7_1469
	s_branch .LBB7_1470
.LBB7_1468:                             ;   in Loop: Header=BB7_1463 Depth=1
                                        ; implicit-def: $sgpr15
	s_mov_b64 s[4:5], s[10:11]
.LBB7_1469:                             ;   in Loop: Header=BB7_1463 Depth=1
	global_load_dwordx2 v[8:9], v26, s[10:11]
	s_add_i32 s15, s18, -8
	s_add_u32 s4, s10, 8
	s_addc_u32 s5, s11, 0
.LBB7_1470:                             ;   in Loop: Header=BB7_1463 Depth=1
	s_cmp_gt_u32 s15, 7
	s_cbranch_scc1 .LBB7_1474
; %bb.1471:                             ;   in Loop: Header=BB7_1463 Depth=1
	s_cmp_eq_u32 s15, 0
	s_cbranch_scc1 .LBB7_1475
; %bb.1472:                             ;   in Loop: Header=BB7_1463 Depth=1
	v_mov_b32_e32 v10, 0
	s_mov_b64 s[20:21], 0
	v_mov_b32_e32 v11, 0
	s_mov_b64 s[22:23], 0
.LBB7_1473:                             ;   Parent Loop BB7_1463 Depth=1
                                        ; =>  This Inner Loop Header: Depth=2
	s_add_u32 s24, s4, s22
	s_addc_u32 s25, s5, s23
	global_load_ubyte v2, v26, s[24:25]
	s_add_u32 s22, s22, 1
	s_addc_u32 s23, s23, 0
	s_waitcnt vmcnt(0)
	v_and_b32_e32 v25, 0xffff, v2
	v_lshlrev_b64 v[2:3], s20, v[25:26]
	s_add_u32 s20, s20, 8
	s_addc_u32 s21, s21, 0
	v_or_b32_e32 v10, v2, v10
	s_cmp_lg_u32 s15, s22
	v_or_b32_e32 v11, v3, v11
	s_cbranch_scc1 .LBB7_1473
	s_branch .LBB7_1476
.LBB7_1474:                             ;   in Loop: Header=BB7_1463 Depth=1
                                        ; implicit-def: $vgpr10_vgpr11
                                        ; implicit-def: $sgpr24
	s_branch .LBB7_1477
.LBB7_1475:                             ;   in Loop: Header=BB7_1463 Depth=1
	v_mov_b32_e32 v10, 0
	v_mov_b32_e32 v11, 0
.LBB7_1476:                             ;   in Loop: Header=BB7_1463 Depth=1
	s_mov_b32 s24, 0
	s_cbranch_execnz .LBB7_1478
.LBB7_1477:                             ;   in Loop: Header=BB7_1463 Depth=1
	global_load_dwordx2 v[10:11], v26, s[4:5]
	s_add_i32 s24, s15, -8
	s_add_u32 s4, s4, 8
	s_addc_u32 s5, s5, 0
.LBB7_1478:                             ;   in Loop: Header=BB7_1463 Depth=1
	s_cmp_gt_u32 s24, 7
	s_cbranch_scc1 .LBB7_1482
; %bb.1479:                             ;   in Loop: Header=BB7_1463 Depth=1
	s_cmp_eq_u32 s24, 0
	s_cbranch_scc1 .LBB7_1483
; %bb.1480:                             ;   in Loop: Header=BB7_1463 Depth=1
	v_mov_b32_e32 v12, 0
	s_mov_b64 s[20:21], 0
	v_mov_b32_e32 v13, 0
	s_mov_b64 s[22:23], 0
.LBB7_1481:                             ;   Parent Loop BB7_1463 Depth=1
                                        ; =>  This Inner Loop Header: Depth=2
	s_add_u32 s26, s4, s22
	s_addc_u32 s27, s5, s23
	global_load_ubyte v2, v26, s[26:27]
	s_add_u32 s22, s22, 1
	s_addc_u32 s23, s23, 0
	s_waitcnt vmcnt(0)
	v_and_b32_e32 v25, 0xffff, v2
	v_lshlrev_b64 v[2:3], s20, v[25:26]
	s_add_u32 s20, s20, 8
	s_addc_u32 s21, s21, 0
	v_or_b32_e32 v12, v2, v12
	s_cmp_lg_u32 s24, s22
	v_or_b32_e32 v13, v3, v13
	s_cbranch_scc1 .LBB7_1481
	s_branch .LBB7_1484
.LBB7_1482:                             ;   in Loop: Header=BB7_1463 Depth=1
                                        ; implicit-def: $sgpr15
	s_branch .LBB7_1485
.LBB7_1483:                             ;   in Loop: Header=BB7_1463 Depth=1
	v_mov_b32_e32 v12, 0
	v_mov_b32_e32 v13, 0
.LBB7_1484:                             ;   in Loop: Header=BB7_1463 Depth=1
	s_mov_b32 s15, 0
	s_cbranch_execnz .LBB7_1486
.LBB7_1485:                             ;   in Loop: Header=BB7_1463 Depth=1
	global_load_dwordx2 v[12:13], v26, s[4:5]
	s_add_i32 s15, s24, -8
	s_add_u32 s4, s4, 8
	s_addc_u32 s5, s5, 0
.LBB7_1486:                             ;   in Loop: Header=BB7_1463 Depth=1
	s_cmp_gt_u32 s15, 7
	s_cbranch_scc1 .LBB7_1490
; %bb.1487:                             ;   in Loop: Header=BB7_1463 Depth=1
	s_cmp_eq_u32 s15, 0
	s_cbranch_scc1 .LBB7_1491
; %bb.1488:                             ;   in Loop: Header=BB7_1463 Depth=1
	v_mov_b32_e32 v14, 0
	s_mov_b64 s[20:21], 0
	v_mov_b32_e32 v15, 0
	s_mov_b64 s[22:23], 0
.LBB7_1489:                             ;   Parent Loop BB7_1463 Depth=1
                                        ; =>  This Inner Loop Header: Depth=2
	s_add_u32 s24, s4, s22
	s_addc_u32 s25, s5, s23
	global_load_ubyte v2, v26, s[24:25]
	s_add_u32 s22, s22, 1
	s_addc_u32 s23, s23, 0
	s_waitcnt vmcnt(0)
	v_and_b32_e32 v25, 0xffff, v2
	v_lshlrev_b64 v[2:3], s20, v[25:26]
	s_add_u32 s20, s20, 8
	s_addc_u32 s21, s21, 0
	v_or_b32_e32 v14, v2, v14
	s_cmp_lg_u32 s15, s22
	v_or_b32_e32 v15, v3, v15
	s_cbranch_scc1 .LBB7_1489
	s_branch .LBB7_1492
.LBB7_1490:                             ;   in Loop: Header=BB7_1463 Depth=1
                                        ; implicit-def: $vgpr14_vgpr15
                                        ; implicit-def: $sgpr24
	s_branch .LBB7_1493
.LBB7_1491:                             ;   in Loop: Header=BB7_1463 Depth=1
	v_mov_b32_e32 v14, 0
	v_mov_b32_e32 v15, 0
.LBB7_1492:                             ;   in Loop: Header=BB7_1463 Depth=1
	s_mov_b32 s24, 0
	s_cbranch_execnz .LBB7_1494
.LBB7_1493:                             ;   in Loop: Header=BB7_1463 Depth=1
	global_load_dwordx2 v[14:15], v26, s[4:5]
	s_add_i32 s24, s15, -8
	s_add_u32 s4, s4, 8
	s_addc_u32 s5, s5, 0
.LBB7_1494:                             ;   in Loop: Header=BB7_1463 Depth=1
	s_cmp_gt_u32 s24, 7
	s_cbranch_scc1 .LBB7_1498
; %bb.1495:                             ;   in Loop: Header=BB7_1463 Depth=1
	s_cmp_eq_u32 s24, 0
	s_cbranch_scc1 .LBB7_1499
; %bb.1496:                             ;   in Loop: Header=BB7_1463 Depth=1
	v_mov_b32_e32 v16, 0
	s_mov_b64 s[20:21], 0
	v_mov_b32_e32 v17, 0
	s_mov_b64 s[22:23], 0
.LBB7_1497:                             ;   Parent Loop BB7_1463 Depth=1
                                        ; =>  This Inner Loop Header: Depth=2
	s_add_u32 s26, s4, s22
	s_addc_u32 s27, s5, s23
	global_load_ubyte v2, v26, s[26:27]
	s_add_u32 s22, s22, 1
	s_addc_u32 s23, s23, 0
	s_waitcnt vmcnt(0)
	v_and_b32_e32 v25, 0xffff, v2
	v_lshlrev_b64 v[2:3], s20, v[25:26]
	s_add_u32 s20, s20, 8
	s_addc_u32 s21, s21, 0
	v_or_b32_e32 v16, v2, v16
	s_cmp_lg_u32 s24, s22
	v_or_b32_e32 v17, v3, v17
	s_cbranch_scc1 .LBB7_1497
	s_branch .LBB7_1500
.LBB7_1498:                             ;   in Loop: Header=BB7_1463 Depth=1
                                        ; implicit-def: $sgpr15
	s_branch .LBB7_1501
.LBB7_1499:                             ;   in Loop: Header=BB7_1463 Depth=1
	v_mov_b32_e32 v16, 0
	v_mov_b32_e32 v17, 0
.LBB7_1500:                             ;   in Loop: Header=BB7_1463 Depth=1
	s_mov_b32 s15, 0
	s_cbranch_execnz .LBB7_1502
.LBB7_1501:                             ;   in Loop: Header=BB7_1463 Depth=1
	global_load_dwordx2 v[16:17], v26, s[4:5]
	s_add_i32 s15, s24, -8
	s_add_u32 s4, s4, 8
	s_addc_u32 s5, s5, 0
.LBB7_1502:                             ;   in Loop: Header=BB7_1463 Depth=1
	s_cmp_gt_u32 s15, 7
	s_cbranch_scc1 .LBB7_1506
; %bb.1503:                             ;   in Loop: Header=BB7_1463 Depth=1
	s_cmp_eq_u32 s15, 0
	s_cbranch_scc1 .LBB7_1507
; %bb.1504:                             ;   in Loop: Header=BB7_1463 Depth=1
	v_mov_b32_e32 v18, 0
	s_mov_b64 s[20:21], 0
	v_mov_b32_e32 v19, 0
	s_mov_b64 s[22:23], 0
.LBB7_1505:                             ;   Parent Loop BB7_1463 Depth=1
                                        ; =>  This Inner Loop Header: Depth=2
	s_add_u32 s24, s4, s22
	s_addc_u32 s25, s5, s23
	global_load_ubyte v2, v26, s[24:25]
	s_add_u32 s22, s22, 1
	s_addc_u32 s23, s23, 0
	s_waitcnt vmcnt(0)
	v_and_b32_e32 v25, 0xffff, v2
	v_lshlrev_b64 v[2:3], s20, v[25:26]
	s_add_u32 s20, s20, 8
	s_addc_u32 s21, s21, 0
	v_or_b32_e32 v18, v2, v18
	s_cmp_lg_u32 s15, s22
	v_or_b32_e32 v19, v3, v19
	s_cbranch_scc1 .LBB7_1505
	s_branch .LBB7_1508
.LBB7_1506:                             ;   in Loop: Header=BB7_1463 Depth=1
                                        ; implicit-def: $vgpr18_vgpr19
                                        ; implicit-def: $sgpr24
	s_branch .LBB7_1509
.LBB7_1507:                             ;   in Loop: Header=BB7_1463 Depth=1
	v_mov_b32_e32 v18, 0
	v_mov_b32_e32 v19, 0
.LBB7_1508:                             ;   in Loop: Header=BB7_1463 Depth=1
	s_mov_b32 s24, 0
	s_cbranch_execnz .LBB7_1510
.LBB7_1509:                             ;   in Loop: Header=BB7_1463 Depth=1
	global_load_dwordx2 v[18:19], v26, s[4:5]
	s_add_i32 s24, s15, -8
	s_add_u32 s4, s4, 8
	s_addc_u32 s5, s5, 0
.LBB7_1510:                             ;   in Loop: Header=BB7_1463 Depth=1
	s_cmp_gt_u32 s24, 7
	s_cbranch_scc1 .LBB7_1514
; %bb.1511:                             ;   in Loop: Header=BB7_1463 Depth=1
	s_cmp_eq_u32 s24, 0
	s_cbranch_scc1 .LBB7_1515
; %bb.1512:                             ;   in Loop: Header=BB7_1463 Depth=1
	v_mov_b32_e32 v20, 0
	s_mov_b64 s[20:21], 0
	v_mov_b32_e32 v21, 0
	s_mov_b64 s[22:23], s[4:5]
.LBB7_1513:                             ;   Parent Loop BB7_1463 Depth=1
                                        ; =>  This Inner Loop Header: Depth=2
	global_load_ubyte v2, v26, s[22:23]
	s_add_i32 s24, s24, -1
	s_waitcnt vmcnt(0)
	v_and_b32_e32 v25, 0xffff, v2
	v_lshlrev_b64 v[2:3], s20, v[25:26]
	s_add_u32 s20, s20, 8
	s_addc_u32 s21, s21, 0
	s_add_u32 s22, s22, 1
	s_addc_u32 s23, s23, 0
	v_or_b32_e32 v20, v2, v20
	s_cmp_lg_u32 s24, 0
	v_or_b32_e32 v21, v3, v21
	s_cbranch_scc1 .LBB7_1513
	s_branch .LBB7_1516
.LBB7_1514:                             ;   in Loop: Header=BB7_1463 Depth=1
	s_branch .LBB7_1517
.LBB7_1515:                             ;   in Loop: Header=BB7_1463 Depth=1
	v_mov_b32_e32 v20, 0
	v_mov_b32_e32 v21, 0
.LBB7_1516:                             ;   in Loop: Header=BB7_1463 Depth=1
	s_cbranch_execnz .LBB7_1518
.LBB7_1517:                             ;   in Loop: Header=BB7_1463 Depth=1
	global_load_dwordx2 v[20:21], v26, s[4:5]
.LBB7_1518:                             ;   in Loop: Header=BB7_1463 Depth=1
	v_readfirstlane_b32 s4, v32
	v_mov_b32_e32 v2, 0
	v_mov_b32_e32 v3, 0
	v_cmp_eq_u32_e64 s[4:5], s4, v32
	s_and_saveexec_b64 s[20:21], s[4:5]
	s_cbranch_execz .LBB7_1524
; %bb.1519:                             ;   in Loop: Header=BB7_1463 Depth=1
	global_load_dwordx2 v[24:25], v26, s[6:7] offset:24 glc
	s_waitcnt vmcnt(0)
	buffer_wbinvl1_vol
	global_load_dwordx2 v[2:3], v26, s[6:7] offset:40
	global_load_dwordx2 v[22:23], v26, s[6:7]
	s_waitcnt vmcnt(1)
	v_and_b32_e32 v2, v2, v24
	v_and_b32_e32 v3, v3, v25
	v_mul_lo_u32 v3, v3, 24
	v_mul_hi_u32 v27, v2, 24
	v_mul_lo_u32 v2, v2, 24
	v_add_u32_e32 v3, v27, v3
	s_waitcnt vmcnt(0)
	v_add_co_u32_e32 v2, vcc, v22, v2
	v_addc_co_u32_e32 v3, vcc, v23, v3, vcc
	global_load_dwordx2 v[22:23], v[2:3], off glc
	s_waitcnt vmcnt(0)
	global_atomic_cmpswap_x2 v[2:3], v26, v[22:25], s[6:7] offset:24 glc
	s_waitcnt vmcnt(0)
	buffer_wbinvl1_vol
	v_cmp_ne_u64_e32 vcc, v[2:3], v[24:25]
	s_and_saveexec_b64 s[22:23], vcc
	s_cbranch_execz .LBB7_1523
; %bb.1520:                             ;   in Loop: Header=BB7_1463 Depth=1
	s_mov_b64 s[24:25], 0
.LBB7_1521:                             ;   Parent Loop BB7_1463 Depth=1
                                        ; =>  This Inner Loop Header: Depth=2
	s_sleep 1
	global_load_dwordx2 v[22:23], v26, s[6:7] offset:40
	global_load_dwordx2 v[27:28], v26, s[6:7]
	v_mov_b32_e32 v25, v3
	v_mov_b32_e32 v24, v2
	s_waitcnt vmcnt(1)
	v_and_b32_e32 v2, v22, v24
	s_waitcnt vmcnt(0)
	v_mad_u64_u32 v[2:3], s[26:27], v2, 24, v[27:28]
	v_and_b32_e32 v22, v23, v25
	v_mad_u64_u32 v[22:23], s[26:27], v22, 24, v[3:4]
	v_mov_b32_e32 v3, v22
	global_load_dwordx2 v[22:23], v[2:3], off glc
	s_waitcnt vmcnt(0)
	global_atomic_cmpswap_x2 v[2:3], v26, v[22:25], s[6:7] offset:24 glc
	s_waitcnt vmcnt(0)
	buffer_wbinvl1_vol
	v_cmp_eq_u64_e32 vcc, v[2:3], v[24:25]
	s_or_b64 s[24:25], vcc, s[24:25]
	s_andn2_b64 exec, exec, s[24:25]
	s_cbranch_execnz .LBB7_1521
; %bb.1522:                             ;   in Loop: Header=BB7_1463 Depth=1
	s_or_b64 exec, exec, s[24:25]
.LBB7_1523:                             ;   in Loop: Header=BB7_1463 Depth=1
	s_or_b64 exec, exec, s[22:23]
.LBB7_1524:                             ;   in Loop: Header=BB7_1463 Depth=1
	s_or_b64 exec, exec, s[20:21]
	global_load_dwordx2 v[27:28], v26, s[6:7] offset:40
	global_load_dwordx4 v[22:25], v26, s[6:7]
	v_readfirstlane_b32 s20, v2
	v_readfirstlane_b32 s21, v3
	s_mov_b64 s[22:23], exec
	s_waitcnt vmcnt(1)
	v_readfirstlane_b32 s24, v27
	v_readfirstlane_b32 s25, v28
	s_and_b64 s[24:25], s[20:21], s[24:25]
	s_mul_i32 s15, s25, 24
	s_mul_hi_u32 s26, s24, 24
	s_mul_i32 s27, s24, 24
	s_add_i32 s15, s26, s15
	v_mov_b32_e32 v2, s15
	s_waitcnt vmcnt(0)
	v_add_co_u32_e32 v27, vcc, s27, v22
	v_addc_co_u32_e32 v28, vcc, v23, v2, vcc
	s_and_saveexec_b64 s[26:27], s[4:5]
	s_cbranch_execz .LBB7_1526
; %bb.1525:                             ;   in Loop: Header=BB7_1463 Depth=1
	v_mov_b32_e32 v2, s22
	v_mov_b32_e32 v3, s23
	global_store_dwordx4 v[27:28], v[2:5], off offset:8
.LBB7_1526:                             ;   in Loop: Header=BB7_1463 Depth=1
	s_or_b64 exec, exec, s[26:27]
	s_lshl_b64 s[22:23], s[24:25], 12
	v_mov_b32_e32 v2, s23
	v_add_co_u32_e32 v24, vcc, s22, v24
	v_addc_co_u32_e32 v29, vcc, v25, v2, vcc
	v_cmp_gt_u64_e64 vcc, s[16:17], 56
	v_or_b32_e32 v2, 2, v6
	s_lshl_b32 s15, s18, 2
	v_cndmask_b32_e32 v2, v2, v6, vcc
	s_add_i32 s15, s15, 28
	s_and_b32 s15, s15, 0x1e0
	v_and_b32_e32 v2, 0xffffff1f, v2
	v_or_b32_e32 v6, s15, v2
	v_readfirstlane_b32 s22, v24
	v_readfirstlane_b32 s23, v29
	s_nop 4
	global_store_dwordx4 v31, v[6:9], s[22:23]
	global_store_dwordx4 v31, v[10:13], s[22:23] offset:16
	global_store_dwordx4 v31, v[14:17], s[22:23] offset:32
	;; [unrolled: 1-line block ×3, first 2 shown]
	s_and_saveexec_b64 s[22:23], s[4:5]
	s_cbranch_execz .LBB7_1534
; %bb.1527:                             ;   in Loop: Header=BB7_1463 Depth=1
	global_load_dwordx2 v[10:11], v26, s[6:7] offset:32 glc
	global_load_dwordx2 v[2:3], v26, s[6:7] offset:40
	v_mov_b32_e32 v8, s20
	v_mov_b32_e32 v9, s21
	s_waitcnt vmcnt(0)
	v_readfirstlane_b32 s24, v2
	v_readfirstlane_b32 s25, v3
	s_and_b64 s[24:25], s[24:25], s[20:21]
	s_mul_i32 s15, s25, 24
	s_mul_hi_u32 s25, s24, 24
	s_mul_i32 s24, s24, 24
	s_add_i32 s15, s25, s15
	v_mov_b32_e32 v3, s15
	v_add_co_u32_e32 v2, vcc, s24, v22
	v_addc_co_u32_e32 v3, vcc, v23, v3, vcc
	global_store_dwordx2 v[2:3], v[10:11], off
	s_waitcnt vmcnt(0)
	global_atomic_cmpswap_x2 v[8:9], v26, v[8:11], s[6:7] offset:32 glc
	s_waitcnt vmcnt(0)
	v_cmp_ne_u64_e32 vcc, v[8:9], v[10:11]
	s_and_saveexec_b64 s[24:25], vcc
	s_cbranch_execz .LBB7_1530
; %bb.1528:                             ;   in Loop: Header=BB7_1463 Depth=1
	s_mov_b64 s[26:27], 0
.LBB7_1529:                             ;   Parent Loop BB7_1463 Depth=1
                                        ; =>  This Inner Loop Header: Depth=2
	s_sleep 1
	global_store_dwordx2 v[2:3], v[8:9], off
	v_mov_b32_e32 v6, s20
	v_mov_b32_e32 v7, s21
	s_waitcnt vmcnt(0)
	global_atomic_cmpswap_x2 v[6:7], v26, v[6:9], s[6:7] offset:32 glc
	s_waitcnt vmcnt(0)
	v_cmp_eq_u64_e32 vcc, v[6:7], v[8:9]
	v_mov_b32_e32 v9, v7
	s_or_b64 s[26:27], vcc, s[26:27]
	v_mov_b32_e32 v8, v6
	s_andn2_b64 exec, exec, s[26:27]
	s_cbranch_execnz .LBB7_1529
.LBB7_1530:                             ;   in Loop: Header=BB7_1463 Depth=1
	s_or_b64 exec, exec, s[24:25]
	global_load_dwordx2 v[2:3], v26, s[6:7] offset:16
	s_mov_b64 s[26:27], exec
	v_mbcnt_lo_u32_b32 v6, s26, 0
	v_mbcnt_hi_u32_b32 v6, s27, v6
	v_cmp_eq_u32_e32 vcc, 0, v6
	s_and_saveexec_b64 s[24:25], vcc
	s_cbranch_execz .LBB7_1532
; %bb.1531:                             ;   in Loop: Header=BB7_1463 Depth=1
	s_bcnt1_i32_b64 s15, s[26:27]
	v_mov_b32_e32 v25, s15
	s_waitcnt vmcnt(0)
	global_atomic_add_x2 v[2:3], v[25:26], off offset:8
.LBB7_1532:                             ;   in Loop: Header=BB7_1463 Depth=1
	s_or_b64 exec, exec, s[24:25]
	s_waitcnt vmcnt(0)
	global_load_dwordx2 v[6:7], v[2:3], off offset:16
	s_waitcnt vmcnt(0)
	v_cmp_eq_u64_e32 vcc, 0, v[6:7]
	s_cbranch_vccnz .LBB7_1534
; %bb.1533:                             ;   in Loop: Header=BB7_1463 Depth=1
	global_load_dword v25, v[2:3], off offset:24
	s_waitcnt vmcnt(0)
	v_and_b32_e32 v2, 0xffffff, v25
	v_readfirstlane_b32 m0, v2
	global_store_dwordx2 v[6:7], v[25:26], off
	s_sendmsg sendmsg(MSG_INTERRUPT)
.LBB7_1534:                             ;   in Loop: Header=BB7_1463 Depth=1
	s_or_b64 exec, exec, s[22:23]
	v_add_co_u32_e32 v2, vcc, v24, v31
	v_addc_co_u32_e32 v3, vcc, 0, v29, vcc
	s_branch .LBB7_1538
.LBB7_1535:                             ;   in Loop: Header=BB7_1538 Depth=2
	s_or_b64 exec, exec, s[22:23]
	v_readfirstlane_b32 s15, v6
	s_cmp_eq_u32 s15, 0
	s_cbranch_scc1 .LBB7_1537
; %bb.1536:                             ;   in Loop: Header=BB7_1538 Depth=2
	s_sleep 1
	s_cbranch_execnz .LBB7_1538
	s_branch .LBB7_1540
.LBB7_1537:                             ;   in Loop: Header=BB7_1463 Depth=1
	s_branch .LBB7_1540
.LBB7_1538:                             ;   Parent Loop BB7_1463 Depth=1
                                        ; =>  This Inner Loop Header: Depth=2
	v_mov_b32_e32 v6, 1
	s_and_saveexec_b64 s[22:23], s[4:5]
	s_cbranch_execz .LBB7_1535
; %bb.1539:                             ;   in Loop: Header=BB7_1538 Depth=2
	global_load_dword v6, v[27:28], off offset:20 glc
	s_waitcnt vmcnt(0)
	buffer_wbinvl1_vol
	v_and_b32_e32 v6, 1, v6
	s_branch .LBB7_1535
.LBB7_1540:                             ;   in Loop: Header=BB7_1463 Depth=1
	global_load_dwordx4 v[6:9], v[2:3], off
	s_and_saveexec_b64 s[22:23], s[4:5]
	s_cbranch_execz .LBB7_1462
; %bb.1541:                             ;   in Loop: Header=BB7_1463 Depth=1
	global_load_dwordx2 v[2:3], v26, s[6:7] offset:40
	global_load_dwordx2 v[12:13], v26, s[6:7] offset:24 glc
	global_load_dwordx2 v[14:15], v26, s[6:7]
	s_waitcnt vmcnt(3)
	v_mov_b32_e32 v9, s21
	s_waitcnt vmcnt(2)
	v_add_co_u32_e32 v10, vcc, 1, v2
	v_addc_co_u32_e32 v11, vcc, 0, v3, vcc
	v_add_co_u32_e32 v8, vcc, s20, v10
	v_addc_co_u32_e32 v9, vcc, v11, v9, vcc
	v_cmp_eq_u64_e32 vcc, 0, v[8:9]
	v_cndmask_b32_e32 v9, v9, v11, vcc
	v_cndmask_b32_e32 v8, v8, v10, vcc
	v_and_b32_e32 v3, v9, v3
	v_and_b32_e32 v2, v8, v2
	v_mul_lo_u32 v3, v3, 24
	v_mul_hi_u32 v11, v2, 24
	v_mul_lo_u32 v2, v2, 24
	s_waitcnt vmcnt(1)
	v_mov_b32_e32 v10, v12
	v_add_u32_e32 v3, v11, v3
	s_waitcnt vmcnt(0)
	v_add_co_u32_e32 v2, vcc, v14, v2
	v_addc_co_u32_e32 v3, vcc, v15, v3, vcc
	global_store_dwordx2 v[2:3], v[12:13], off
	v_mov_b32_e32 v11, v13
	s_waitcnt vmcnt(0)
	global_atomic_cmpswap_x2 v[10:11], v26, v[8:11], s[6:7] offset:24 glc
	s_waitcnt vmcnt(0)
	v_cmp_ne_u64_e32 vcc, v[10:11], v[12:13]
	s_and_b64 exec, exec, vcc
	s_cbranch_execz .LBB7_1462
; %bb.1542:                             ;   in Loop: Header=BB7_1463 Depth=1
	s_mov_b64 s[4:5], 0
.LBB7_1543:                             ;   Parent Loop BB7_1463 Depth=1
                                        ; =>  This Inner Loop Header: Depth=2
	s_sleep 1
	global_store_dwordx2 v[2:3], v[10:11], off
	s_waitcnt vmcnt(0)
	global_atomic_cmpswap_x2 v[12:13], v26, v[8:11], s[6:7] offset:24 glc
	s_waitcnt vmcnt(0)
	v_cmp_eq_u64_e32 vcc, v[12:13], v[10:11]
	v_mov_b32_e32 v10, v12
	s_or_b64 s[4:5], vcc, s[4:5]
	v_mov_b32_e32 v11, v13
	s_andn2_b64 exec, exec, s[4:5]
	s_cbranch_execnz .LBB7_1543
	s_branch .LBB7_1462
.LBB7_1544:
	s_mov_b64 s[4:5], 0
	s_branch .LBB7_1546
.LBB7_1545:
	s_mov_b64 s[4:5], -1
.LBB7_1546:
	s_mov_b32 s41, s12
	s_mov_b32 s48, s13
	;; [unrolled: 1-line block ×3, first 2 shown]
	s_and_b64 vcc, exec, s[4:5]
	s_cbranch_vccz .LBB7_1573
; %bb.1547:
	v_readfirstlane_b32 s4, v32
	s_waitcnt vmcnt(0)
	v_mov_b32_e32 v8, 0
	v_mov_b32_e32 v9, 0
	v_cmp_eq_u32_e64 s[4:5], s4, v32
	s_and_saveexec_b64 s[10:11], s[4:5]
	s_cbranch_execz .LBB7_1553
; %bb.1548:
	v_mov_b32_e32 v2, 0
	global_load_dwordx2 v[5:6], v2, s[6:7] offset:24 glc
	s_waitcnt vmcnt(0)
	buffer_wbinvl1_vol
	global_load_dwordx2 v[3:4], v2, s[6:7] offset:40
	global_load_dwordx2 v[7:8], v2, s[6:7]
	s_waitcnt vmcnt(1)
	v_and_b32_e32 v3, v3, v5
	v_and_b32_e32 v4, v4, v6
	v_mul_lo_u32 v4, v4, 24
	v_mul_hi_u32 v9, v3, 24
	v_mul_lo_u32 v3, v3, 24
	v_add_u32_e32 v4, v9, v4
	s_waitcnt vmcnt(0)
	v_add_co_u32_e32 v3, vcc, v7, v3
	v_addc_co_u32_e32 v4, vcc, v8, v4, vcc
	global_load_dwordx2 v[3:4], v[3:4], off glc
	s_waitcnt vmcnt(0)
	global_atomic_cmpswap_x2 v[8:9], v2, v[3:6], s[6:7] offset:24 glc
	s_waitcnt vmcnt(0)
	buffer_wbinvl1_vol
	v_cmp_ne_u64_e32 vcc, v[8:9], v[5:6]
	s_and_saveexec_b64 s[12:13], vcc
	s_cbranch_execz .LBB7_1552
; %bb.1549:
	s_mov_b64 s[14:15], 0
.LBB7_1550:                             ; =>This Inner Loop Header: Depth=1
	s_sleep 1
	global_load_dwordx2 v[3:4], v2, s[6:7] offset:40
	global_load_dwordx2 v[10:11], v2, s[6:7]
	v_mov_b32_e32 v5, v8
	v_mov_b32_e32 v6, v9
	s_waitcnt vmcnt(1)
	v_and_b32_e32 v3, v3, v5
	s_waitcnt vmcnt(0)
	v_mad_u64_u32 v[7:8], s[16:17], v3, 24, v[10:11]
	v_and_b32_e32 v4, v4, v6
	v_mov_b32_e32 v3, v8
	v_mad_u64_u32 v[3:4], s[16:17], v4, 24, v[3:4]
	v_mov_b32_e32 v8, v3
	global_load_dwordx2 v[3:4], v[7:8], off glc
	s_waitcnt vmcnt(0)
	global_atomic_cmpswap_x2 v[8:9], v2, v[3:6], s[6:7] offset:24 glc
	s_waitcnt vmcnt(0)
	buffer_wbinvl1_vol
	v_cmp_eq_u64_e32 vcc, v[8:9], v[5:6]
	s_or_b64 s[14:15], vcc, s[14:15]
	s_andn2_b64 exec, exec, s[14:15]
	s_cbranch_execnz .LBB7_1550
; %bb.1551:
	s_or_b64 exec, exec, s[14:15]
.LBB7_1552:
	s_or_b64 exec, exec, s[12:13]
.LBB7_1553:
	s_or_b64 exec, exec, s[10:11]
	v_mov_b32_e32 v2, 0
	global_load_dwordx2 v[10:11], v2, s[6:7] offset:40
	global_load_dwordx4 v[4:7], v2, s[6:7]
	v_readfirstlane_b32 s10, v8
	v_readfirstlane_b32 s11, v9
	s_mov_b64 s[12:13], exec
	s_waitcnt vmcnt(1)
	v_readfirstlane_b32 s14, v10
	v_readfirstlane_b32 s15, v11
	s_and_b64 s[14:15], s[10:11], s[14:15]
	s_mul_i32 s16, s15, 24
	s_mul_hi_u32 s17, s14, 24
	s_mul_i32 s18, s14, 24
	s_add_i32 s16, s17, s16
	v_mov_b32_e32 v3, s16
	s_waitcnt vmcnt(0)
	v_add_co_u32_e32 v8, vcc, s18, v4
	v_addc_co_u32_e32 v9, vcc, v5, v3, vcc
	s_and_saveexec_b64 s[16:17], s[4:5]
	s_cbranch_execz .LBB7_1555
; %bb.1554:
	v_mov_b32_e32 v10, s12
	v_mov_b32_e32 v11, s13
	v_mov_b32_e32 v12, 2
	v_mov_b32_e32 v13, 1
	global_store_dwordx4 v[8:9], v[10:13], off offset:8
.LBB7_1555:
	s_or_b64 exec, exec, s[16:17]
	s_lshl_b64 s[12:13], s[14:15], 12
	v_mov_b32_e32 v3, s13
	v_add_co_u32_e32 v6, vcc, s12, v6
	v_addc_co_u32_e32 v7, vcc, v7, v3, vcc
	s_movk_i32 s12, 0xff1d
	v_and_or_b32 v0, v0, s12, 34
	s_mov_b32 s12, 0
	v_mov_b32_e32 v3, v2
	v_readfirstlane_b32 s16, v6
	v_readfirstlane_b32 s17, v7
	s_mov_b32 s13, s12
	s_mov_b32 s14, s12
	;; [unrolled: 1-line block ×3, first 2 shown]
	s_nop 1
	global_store_dwordx4 v31, v[0:3], s[16:17]
	s_nop 0
	v_mov_b32_e32 v0, s12
	v_mov_b32_e32 v1, s13
	;; [unrolled: 1-line block ×4, first 2 shown]
	global_store_dwordx4 v31, v[0:3], s[16:17] offset:16
	global_store_dwordx4 v31, v[0:3], s[16:17] offset:32
	;; [unrolled: 1-line block ×3, first 2 shown]
	s_and_saveexec_b64 s[12:13], s[4:5]
	s_cbranch_execz .LBB7_1563
; %bb.1556:
	v_mov_b32_e32 v6, 0
	global_load_dwordx2 v[12:13], v6, s[6:7] offset:32 glc
	global_load_dwordx2 v[0:1], v6, s[6:7] offset:40
	v_mov_b32_e32 v10, s10
	v_mov_b32_e32 v11, s11
	s_waitcnt vmcnt(0)
	v_readfirstlane_b32 s14, v0
	v_readfirstlane_b32 s15, v1
	s_and_b64 s[14:15], s[14:15], s[10:11]
	s_mul_i32 s15, s15, 24
	s_mul_hi_u32 s16, s14, 24
	s_mul_i32 s14, s14, 24
	s_add_i32 s15, s16, s15
	v_mov_b32_e32 v0, s15
	v_add_co_u32_e32 v4, vcc, s14, v4
	v_addc_co_u32_e32 v5, vcc, v5, v0, vcc
	global_store_dwordx2 v[4:5], v[12:13], off
	s_waitcnt vmcnt(0)
	global_atomic_cmpswap_x2 v[2:3], v6, v[10:13], s[6:7] offset:32 glc
	s_waitcnt vmcnt(0)
	v_cmp_ne_u64_e32 vcc, v[2:3], v[12:13]
	s_and_saveexec_b64 s[14:15], vcc
	s_cbranch_execz .LBB7_1559
; %bb.1557:
	s_mov_b64 s[16:17], 0
.LBB7_1558:                             ; =>This Inner Loop Header: Depth=1
	s_sleep 1
	global_store_dwordx2 v[4:5], v[2:3], off
	v_mov_b32_e32 v0, s10
	v_mov_b32_e32 v1, s11
	s_waitcnt vmcnt(0)
	global_atomic_cmpswap_x2 v[0:1], v6, v[0:3], s[6:7] offset:32 glc
	s_waitcnt vmcnt(0)
	v_cmp_eq_u64_e32 vcc, v[0:1], v[2:3]
	v_mov_b32_e32 v3, v1
	s_or_b64 s[16:17], vcc, s[16:17]
	v_mov_b32_e32 v2, v0
	s_andn2_b64 exec, exec, s[16:17]
	s_cbranch_execnz .LBB7_1558
.LBB7_1559:
	s_or_b64 exec, exec, s[14:15]
	v_mov_b32_e32 v3, 0
	global_load_dwordx2 v[0:1], v3, s[6:7] offset:16
	s_mov_b64 s[14:15], exec
	v_mbcnt_lo_u32_b32 v2, s14, 0
	v_mbcnt_hi_u32_b32 v2, s15, v2
	v_cmp_eq_u32_e32 vcc, 0, v2
	s_and_saveexec_b64 s[16:17], vcc
	s_cbranch_execz .LBB7_1561
; %bb.1560:
	s_bcnt1_i32_b64 s14, s[14:15]
	v_mov_b32_e32 v2, s14
	s_waitcnt vmcnt(0)
	global_atomic_add_x2 v[0:1], v[2:3], off offset:8
.LBB7_1561:
	s_or_b64 exec, exec, s[16:17]
	s_waitcnt vmcnt(0)
	global_load_dwordx2 v[2:3], v[0:1], off offset:16
	s_waitcnt vmcnt(0)
	v_cmp_eq_u64_e32 vcc, 0, v[2:3]
	s_cbranch_vccnz .LBB7_1563
; %bb.1562:
	global_load_dword v0, v[0:1], off offset:24
	v_mov_b32_e32 v1, 0
	s_waitcnt vmcnt(0)
	global_store_dwordx2 v[2:3], v[0:1], off
	v_and_b32_e32 v0, 0xffffff, v0
	v_readfirstlane_b32 m0, v0
	s_sendmsg sendmsg(MSG_INTERRUPT)
.LBB7_1563:
	s_or_b64 exec, exec, s[12:13]
	s_branch .LBB7_1567
.LBB7_1564:                             ;   in Loop: Header=BB7_1567 Depth=1
	s_or_b64 exec, exec, s[12:13]
	v_readfirstlane_b32 s12, v0
	s_cmp_eq_u32 s12, 0
	s_cbranch_scc1 .LBB7_1566
; %bb.1565:                             ;   in Loop: Header=BB7_1567 Depth=1
	s_sleep 1
	s_cbranch_execnz .LBB7_1567
	s_branch .LBB7_1569
.LBB7_1566:
	s_branch .LBB7_1569
.LBB7_1567:                             ; =>This Inner Loop Header: Depth=1
	v_mov_b32_e32 v0, 1
	s_and_saveexec_b64 s[12:13], s[4:5]
	s_cbranch_execz .LBB7_1564
; %bb.1568:                             ;   in Loop: Header=BB7_1567 Depth=1
	global_load_dword v0, v[8:9], off offset:20 glc
	s_waitcnt vmcnt(0)
	buffer_wbinvl1_vol
	v_and_b32_e32 v0, 1, v0
	s_branch .LBB7_1564
.LBB7_1569:
	s_and_saveexec_b64 s[12:13], s[4:5]
	s_cbranch_execz .LBB7_1572
; %bb.1570:
	v_mov_b32_e32 v6, 0
	global_load_dwordx2 v[2:3], v6, s[6:7] offset:40
	global_load_dwordx2 v[7:8], v6, s[6:7] offset:24 glc
	global_load_dwordx2 v[4:5], v6, s[6:7]
	v_mov_b32_e32 v1, s11
	s_mov_b64 s[4:5], 0
	s_waitcnt vmcnt(2)
	v_add_co_u32_e32 v9, vcc, 1, v2
	v_addc_co_u32_e32 v10, vcc, 0, v3, vcc
	v_add_co_u32_e32 v0, vcc, s10, v9
	v_addc_co_u32_e32 v1, vcc, v10, v1, vcc
	v_cmp_eq_u64_e32 vcc, 0, v[0:1]
	v_cndmask_b32_e32 v1, v1, v10, vcc
	v_cndmask_b32_e32 v0, v0, v9, vcc
	v_and_b32_e32 v3, v1, v3
	v_and_b32_e32 v2, v0, v2
	v_mul_lo_u32 v3, v3, 24
	v_mul_hi_u32 v9, v2, 24
	v_mul_lo_u32 v10, v2, 24
	s_waitcnt vmcnt(1)
	v_mov_b32_e32 v2, v7
	v_add_u32_e32 v3, v9, v3
	s_waitcnt vmcnt(0)
	v_add_co_u32_e32 v4, vcc, v4, v10
	v_addc_co_u32_e32 v5, vcc, v5, v3, vcc
	global_store_dwordx2 v[4:5], v[7:8], off
	v_mov_b32_e32 v3, v8
	s_waitcnt vmcnt(0)
	global_atomic_cmpswap_x2 v[2:3], v6, v[0:3], s[6:7] offset:24 glc
	s_waitcnt vmcnt(0)
	v_cmp_ne_u64_e32 vcc, v[2:3], v[7:8]
	s_and_b64 exec, exec, vcc
	s_cbranch_execz .LBB7_1572
.LBB7_1571:                             ; =>This Inner Loop Header: Depth=1
	s_sleep 1
	global_store_dwordx2 v[4:5], v[2:3], off
	s_waitcnt vmcnt(0)
	global_atomic_cmpswap_x2 v[7:8], v6, v[0:3], s[6:7] offset:24 glc
	s_waitcnt vmcnt(0)
	v_cmp_eq_u64_e32 vcc, v[7:8], v[2:3]
	v_mov_b32_e32 v2, v7
	s_or_b64 s[4:5], vcc, s[4:5]
	v_mov_b32_e32 v3, v8
	s_andn2_b64 exec, exec, s[4:5]
	s_cbranch_execnz .LBB7_1571
.LBB7_1572:
	s_or_b64 exec, exec, s[12:13]
.LBB7_1573:
	s_getpc_b64 s[4:5]
	s_add_u32 s4, s4, .str@rel32@lo+4
	s_addc_u32 s5, s5, .str@rel32@hi+12
	s_waitcnt vmcnt(0)
	v_mov_b32_e32 v0, s4
	v_mov_b32_e32 v1, s5
	s_mov_b64 s[24:25], src_private_base
	s_getpc_b64 s[50:51]
	s_add_u32 s50, s50, _ZNK8migraphx13basic_printerIZNS_4coutEvEUlT_E_ElsEPKc@rel32@lo+4
	s_addc_u32 s51, s51, _ZNK8migraphx13basic_printerIZNS_4coutEvEUlT_E_ElsEPKc@rel32@hi+12
	s_mov_b64 s[42:43], s[8:9]
	s_swappc_b64 s[30:31], s[50:51]
	s_getpc_b64 s[4:5]
	s_add_u32 s4, s4, .str.3@rel32@lo+4
	s_addc_u32 s5, s5, .str.3@rel32@hi+12
	s_mov_b64 s[8:9], s[42:43]
	v_mov_b32_e32 v0, s4
	v_mov_b32_e32 v1, s5
	s_swappc_b64 s[30:31], s[50:51]
	v_lshrrev_b32_e64 v0, 6, s33
	s_mov_b64 s[8:9], s[42:43]
	v_add_u32_e32 v0, 0x48, v0
	v_mov_b32_e32 v1, s25
	s_getpc_b64 s[4:5]
	s_add_u32 s4, s4, _ZN8migraphx4testlsIKNS_13basic_printerIZNS_4coutEvEUlT_E_EEEERS3_S7_RKNS0_10expressionINS0_14lhs_expressionIRNS_5arrayIiLj6EEENS0_3nopEEESC_NS0_5equalEEE@rel32@lo+4
	s_addc_u32 s5, s5, _ZN8migraphx4testlsIKNS_13basic_printerIZNS_4coutEvEUlT_E_EEEERS3_S7_RKNS0_10expressionINS0_14lhs_expressionIRNS_5arrayIiLj6EEENS0_3nopEEESC_NS0_5equalEEE@rel32@hi+12
	s_swappc_b64 s[30:31], s[4:5]
	s_getpc_b64 s[4:5]
	s_add_u32 s4, s4, .str.4@rel32@lo+4
	s_addc_u32 s5, s5, .str.4@rel32@hi+12
	s_mov_b64 s[8:9], s[42:43]
	v_mov_b32_e32 v0, s4
	v_mov_b32_e32 v1, s5
	s_swappc_b64 s[30:31], s[50:51]
	s_mov_b64 s[8:9], s[42:43]
	v_mov_b32_e32 v0, 10
	s_getpc_b64 s[4:5]
	s_add_u32 s4, s4, _ZNK8migraphx13basic_printerIZNS_4coutEvEUlT_E_ElsEc@rel32@lo+4
	s_addc_u32 s5, s5, _ZNK8migraphx13basic_printerIZNS_4coutEvEUlT_E_ElsEc@rel32@hi+12
	s_swappc_b64 s[30:31], s[4:5]
	flat_load_dwordx2 v[0:1], v[42:43]
	s_mov_b64 s[8:9], s[42:43]
	s_mov_b32 s14, s49
	s_mov_b32 s13, s48
	;; [unrolled: 1-line block ×3, first 2 shown]
	s_waitcnt vmcnt(0) lgkmcnt(0)
	flat_load_dword v2, v[0:1]
	s_waitcnt vmcnt(0) lgkmcnt(0)
	v_add_u32_e32 v2, 1, v2
	flat_store_dword v[0:1], v2
.LBB7_1574:
	s_or_b64 exec, exec, s[46:47]
	s_getpc_b64 s[4:5]
	s_add_u32 s4, s4, _ZN8migraphx4test4failEv@rel32@lo+4
	s_addc_u32 s5, s5, _ZN8migraphx4test4failEv@rel32@hi+12
	s_swappc_b64 s[30:31], s[4:5]
	; divergent unreachable
.LBB7_1575:
	s_andn2_saveexec_b64 s[4:5], s[44:45]
	s_or_b64 exec, exec, s[4:5]
	v_readlane_b32 s30, v44, 0
	v_readlane_b32 s31, v44, 1
	;; [unrolled: 1-line block ×3, first 2 shown]
	s_or_saveexec_b64 s[6:7], -1
	buffer_load_dword v44, off, s[0:3], s33 offset:88 ; 4-byte Folded Reload
	s_mov_b64 exec, s[6:7]
	s_addk_i32 s32, 0xe800
	s_mov_b32 s33, s4
	s_waitcnt vmcnt(0)
	s_setpc_b64 s[30:31]
.Lfunc_end7:
	.size	_ZL22merge_large_differenceRN8migraphx4test12test_managerE, .Lfunc_end7-_ZL22merge_large_differenceRN8migraphx4test12test_managerE
                                        ; -- End function
	.section	.AMDGPU.csdata,"",@progbits
; Function info:
; codeLenInByte = 54000
; NumSgprs: 56
; NumVgprs: 56
; ScratchSize: 112
; MemoryBound: 0
	.text
	.p2align	2                               ; -- Begin function _ZL20merge_partial_rangesRN8migraphx4test12test_managerE
	.type	_ZL20merge_partial_rangesRN8migraphx4test12test_managerE,@function
_ZL20merge_partial_rangesRN8migraphx4test12test_managerE: ; @_ZL20merge_partial_rangesRN8migraphx4test12test_managerE
; %bb.0:
	s_waitcnt vmcnt(0) expcnt(0) lgkmcnt(0)
	s_mov_b32 s4, s33
	s_mov_b32 s33, s32
	s_or_saveexec_b64 s[6:7], -1
	buffer_store_dword v44, off, s[0:3], s33 offset:112 ; 4-byte Folded Spill
	s_mov_b64 exec, s[6:7]
	v_writelane_b32 v44, s4, 2
	v_writelane_b32 v44, s30, 0
	s_addk_i32 s32, 0x2000
	v_writelane_b32 v44, s31, 1
	v_mov_b32_e32 v2, 5
	buffer_store_dword v2, off, s[0:3], s33 offset:20
	v_mov_b32_e32 v2, 6
	buffer_store_dword v2, off, s[0:3], s33 offset:24
	;; [unrolled: 2-line block ×4, first 2 shown]
	v_mov_b32_e32 v2, 11
	v_mov_b32_e32 v43, v1
	;; [unrolled: 1-line block ×3, first 2 shown]
	buffer_store_dword v2, off, s[0:3], s33 offset:36
	v_mov_b32_e32 v2, 12
	buffer_store_dword v1, off, s[0:3], s33 offset:4
	v_mov_b32_e32 v1, 2
	;; [unrolled: 2-line block ×5, first 2 shown]
	v_lshrrev_b32_e64 v3, 6, s33
	v_mov_b32_e32 v42, v0
	v_mov_b32_e32 v0, 0
	buffer_store_dword v1, off, s[0:3], s33 offset:12
	v_mov_b32_e32 v1, 4
	buffer_store_dword v2, off, s[0:3], s33 offset:48
	v_mov_b32_e32 v2, 15
	v_add_u32_e32 v3, 56, v3
	s_mov_b64 s[4:5], 0
	v_mov_b32_e32 v4, 8
	buffer_store_dword v0, off, s[0:3], s33
	buffer_store_dword v1, off, s[0:3], s33 offset:16
	buffer_store_dword v2, off, s[0:3], s33 offset:52
	;; [unrolled: 1-line block ×7, first 2 shown]
                                        ; implicit-def: $sgpr6_sgpr7
                                        ; implicit-def: $sgpr16_sgpr17
                                        ; implicit-def: $sgpr10_sgpr11
	s_branch .LBB8_2
.LBB8_1:                                ;   in Loop: Header=BB8_2 Depth=1
	s_or_b64 exec, exec, s[18:19]
	s_and_b64 s[18:19], exec, s[16:17]
	s_or_b64 s[4:5], s[18:19], s[4:5]
	s_andn2_b64 s[6:7], s[6:7], exec
	s_and_b64 s[18:19], s[10:11], exec
	s_or_b64 s[6:7], s[6:7], s[18:19]
	s_andn2_b64 exec, exec, s[4:5]
	s_cbranch_execz .LBB8_4
.LBB8_2:                                ; =>This Inner Loop Header: Depth=1
	v_mov_b32_e32 v2, v4
	v_mov_b32_e32 v0, v3
	v_cmp_ne_u32_e32 vcc, 12, v1
	s_or_b64 s[10:11], s[10:11], exec
	s_or_b64 s[16:17], s[16:17], exec
                                        ; implicit-def: $vgpr4
                                        ; implicit-def: $vgpr3
	s_and_saveexec_b64 s[18:19], vcc
	s_cbranch_execz .LBB8_1
; %bb.3:                                ;   in Loop: Header=BB8_2 Depth=1
	v_lshrrev_b32_e64 v5, 6, s33
	v_lshrrev_b32_e64 v4, 6, s33
	v_add_u32_e32 v5, 32, v5
	v_add_u32_e32 v3, v4, v2
	;; [unrolled: 1-line block ×3, first 2 shown]
	buffer_load_dword v5, v4, s[0:3], 0 offen
	buffer_load_dword v6, v3, s[0:3], 0 offen
	s_andn2_b64 s[16:17], s[16:17], exec
	v_add_u32_e32 v3, 4, v0
	s_andn2_b64 s[10:11], s[10:11], exec
	s_waitcnt vmcnt(0)
	v_cmp_ge_i32_e32 vcc, v5, v6
	v_cndmask_b32_e64 v4, 0, 1, vcc
	v_cmp_lt_i32_e32 vcc, v5, v6
	v_lshl_add_u32 v4, v4, 2, v2
	v_min_i32_e32 v7, v5, v6
	v_cndmask_b32_e64 v5, 0, 1, vcc
	v_cmp_eq_u32_e32 vcc, 20, v4
	s_and_b64 s[20:21], vcc, exec
	v_lshl_add_u32 v1, v5, 2, v1
	s_or_b64 s[16:17], s[16:17], s[20:21]
	buffer_store_dword v7, v0, s[0:3], 0 offen
	s_branch .LBB8_1
.LBB8_4:
	s_or_b64 exec, exec, s[4:5]
	s_xor_b64 s[4:5], s[6:7], -1
	s_and_saveexec_b64 s[6:7], s[4:5]
	s_xor_b64 s[4:5], exec, s[6:7]
	s_cbranch_execz .LBB8_9
; %bb.5:
	v_cmp_ne_u32_e32 vcc, 12, v1
	s_and_saveexec_b64 s[6:7], vcc
	s_cbranch_execz .LBB8_8
; %bb.6:
	v_lshrrev_b32_e64 v5, 6, s33
	v_add_u32_e32 v5, 32, v5
	v_add_u32_e32 v4, v5, v1
	v_sub_u32_e32 v1, 12, v1
	s_mov_b32 s15, 0
	s_mov_b64 s[10:11], 0
.LBB8_7:                                ; =>This Inner Loop Header: Depth=1
	v_add_u32_e32 v5, s15, v4
	buffer_load_dword v5, v5, s[0:3], 0 offen
	v_add_u32_e32 v6, s15, v3
	s_add_i32 s15, s15, 4
	v_cmp_eq_u32_e32 vcc, s15, v1
	s_or_b64 s[10:11], vcc, s[10:11]
	s_waitcnt vmcnt(0)
	buffer_store_dword v5, v6, s[0:3], 0 offen
	s_andn2_b64 exec, exec, s[10:11]
	s_cbranch_execnz .LBB8_7
.LBB8_8:
	s_or_b64 exec, exec, s[6:7]
.LBB8_9:
	s_andn2_saveexec_b64 s[4:5], s[4:5]
	s_cbranch_execz .LBB8_13
; %bb.10:
	v_lshrrev_b32_e64 v3, 6, s33
	v_add_u32_e32 v1, v3, v2
	v_sub_u32_e32 v2, 20, v2
	s_mov_b32 s10, 0
	s_mov_b64 s[6:7], 0
.LBB8_11:                               ; =>This Inner Loop Header: Depth=1
	v_add_u32_e32 v3, s10, v1
	buffer_load_dword v3, v3, s[0:3], 0 offen
	v_add_u32_e32 v4, s10, v0
	s_add_i32 s10, s10, 4
	v_cmp_eq_u32_e32 vcc, s10, v2
	s_or_b64 s[6:7], vcc, s[6:7]
	s_waitcnt vmcnt(0)
	buffer_store_dword v3, v4, s[0:3], 0 offen
	s_andn2_b64 exec, exec, s[6:7]
	s_cbranch_execnz .LBB8_11
; %bb.12:
	s_or_b64 exec, exec, s[6:7]
.LBB8_13:
	s_or_b64 exec, exec, s[4:5]
	buffer_load_dword v0, off, s[0:3], s33 offset:72
	buffer_load_dword v1, off, s[0:3], s33 offset:64
	;; [unrolled: 1-line block ×5, first 2 shown]
	s_mov_b64 s[4:5], src_private_base
	v_mov_b32_e32 v5, 2
	v_mov_b32_e32 v6, 3
	v_mov_b32_e32 v7, 4
	v_mov_b32_e32 v8, 11
	v_mov_b32_e32 v9, 12
	buffer_store_dword v5, off, s[0:3], s33 offset:76
	buffer_store_dword v6, off, s[0:3], s33 offset:80
	;; [unrolled: 1-line block ×5, first 2 shown]
	v_mov_b32_e32 v5, s5
	v_lshrrev_b32_e64 v10, 6, s33
	v_add_u32_e32 v10, 56, v10
	v_lshrrev_b32_e64 v11, 6, s33
	v_add_u32_e32 v11, 0x4c, v11
	buffer_store_dword v10, off, s[0:3], s33 offset:96
	buffer_store_dword v11, off, s[0:3], s33 offset:104
	;; [unrolled: 1-line block ×4, first 2 shown]
	s_waitcnt vmcnt(13)
	v_cmp_ne_u32_e32 vcc, 12, v0
	s_waitcnt vmcnt(12)
	v_cmp_ne_u32_e64 s[4:5], 4, v1
	v_cndmask_b32_e64 v0, 0, 1, s[4:5]
	s_waitcnt vmcnt(11)
	v_cmp_ne_u32_e64 s[4:5], 11, v2
	v_cndmask_b32_e64 v1, 0, 1, s[4:5]
	s_waitcnt vmcnt(10)
	v_cmp_ne_u32_e64 s[4:5], 3, v3
	v_cndmask_b32_e64 v2, 0, 1, s[4:5]
	s_waitcnt vmcnt(9)
	v_cmp_ne_u32_e64 s[4:5], 2, v4
	v_cndmask_b32_e64 v3, 0, 1, s[4:5]
	v_lshlrev_b16_e32 v0, 2, v0
	v_lshlrev_b16_e32 v1, 3, v1
	;; [unrolled: 1-line block ×3, first 2 shown]
	v_or_b32_e32 v0, v1, v0
	v_or_b32_e32 v1, v3, v2
	v_and_b32_e32 v1, 3, v1
	v_or_b32_e32 v0, v1, v0
	v_and_b32_e32 v0, 15, v0
	v_cmp_ne_u16_e64 s[4:5], 0, v0
	s_or_b64 s[4:5], s[4:5], vcc
	s_and_saveexec_b64 s[6:7], s[4:5]
	s_xor_b64 s[44:45], exec, s[6:7]
	s_cbranch_execz .LBB8_1575
; %bb.14:
	v_and_b32_e32 v0, 0x3ff, v31
	v_cmp_eq_u32_e32 vcc, 0, v0
	s_and_saveexec_b64 s[46:47], vcc
	s_cbranch_execz .LBB8_1574
; %bb.15:
	s_load_dwordx2 s[6:7], s[8:9], 0x50
	v_mbcnt_lo_u32_b32 v0, -1, 0
	v_mbcnt_hi_u32_b32 v32, -1, v0
	v_readfirstlane_b32 s4, v32
	v_mov_b32_e32 v5, 0
	v_mov_b32_e32 v6, 0
	v_cmp_eq_u32_e64 s[4:5], s4, v32
	s_and_saveexec_b64 s[10:11], s[4:5]
	s_cbranch_execz .LBB8_21
; %bb.16:
	v_mov_b32_e32 v0, 0
	s_waitcnt lgkmcnt(0)
	global_load_dwordx2 v[3:4], v0, s[6:7] offset:24 glc
	s_waitcnt vmcnt(0)
	buffer_wbinvl1_vol
	global_load_dwordx2 v[1:2], v0, s[6:7] offset:40
	global_load_dwordx2 v[5:6], v0, s[6:7]
	s_waitcnt vmcnt(1)
	v_and_b32_e32 v1, v1, v3
	v_and_b32_e32 v2, v2, v4
	v_mul_lo_u32 v2, v2, 24
	v_mul_hi_u32 v7, v1, 24
	v_mul_lo_u32 v1, v1, 24
	v_add_u32_e32 v2, v7, v2
	s_waitcnt vmcnt(0)
	v_add_co_u32_e32 v1, vcc, v5, v1
	v_addc_co_u32_e32 v2, vcc, v6, v2, vcc
	global_load_dwordx2 v[1:2], v[1:2], off glc
	s_waitcnt vmcnt(0)
	global_atomic_cmpswap_x2 v[5:6], v0, v[1:4], s[6:7] offset:24 glc
	s_waitcnt vmcnt(0)
	buffer_wbinvl1_vol
	v_cmp_ne_u64_e32 vcc, v[5:6], v[3:4]
	s_and_saveexec_b64 s[16:17], vcc
	s_cbranch_execz .LBB8_20
; %bb.17:
	s_mov_b64 s[18:19], 0
.LBB8_18:                               ; =>This Inner Loop Header: Depth=1
	s_sleep 1
	global_load_dwordx2 v[1:2], v0, s[6:7] offset:40
	global_load_dwordx2 v[7:8], v0, s[6:7]
	v_mov_b32_e32 v3, v5
	v_mov_b32_e32 v4, v6
	s_waitcnt vmcnt(1)
	v_and_b32_e32 v1, v1, v3
	s_waitcnt vmcnt(0)
	v_mad_u64_u32 v[5:6], s[20:21], v1, 24, v[7:8]
	v_and_b32_e32 v2, v2, v4
	v_mov_b32_e32 v1, v6
	v_mad_u64_u32 v[1:2], s[20:21], v2, 24, v[1:2]
	v_mov_b32_e32 v6, v1
	global_load_dwordx2 v[1:2], v[5:6], off glc
	s_waitcnt vmcnt(0)
	global_atomic_cmpswap_x2 v[5:6], v0, v[1:4], s[6:7] offset:24 glc
	s_waitcnt vmcnt(0)
	buffer_wbinvl1_vol
	v_cmp_eq_u64_e32 vcc, v[5:6], v[3:4]
	s_or_b64 s[18:19], vcc, s[18:19]
	s_andn2_b64 exec, exec, s[18:19]
	s_cbranch_execnz .LBB8_18
; %bb.19:
	s_or_b64 exec, exec, s[18:19]
.LBB8_20:
	s_or_b64 exec, exec, s[16:17]
.LBB8_21:
	s_or_b64 exec, exec, s[10:11]
	v_mov_b32_e32 v4, 0
	s_waitcnt lgkmcnt(0)
	global_load_dwordx2 v[7:8], v4, s[6:7] offset:40
	global_load_dwordx4 v[0:3], v4, s[6:7]
	v_readfirstlane_b32 s10, v5
	v_readfirstlane_b32 s11, v6
	s_mov_b64 s[16:17], exec
	s_waitcnt vmcnt(1)
	v_readfirstlane_b32 s18, v7
	v_readfirstlane_b32 s19, v8
	s_and_b64 s[18:19], s[10:11], s[18:19]
	s_mul_i32 s15, s19, 24
	s_mul_hi_u32 s20, s18, 24
	s_mul_i32 s21, s18, 24
	s_add_i32 s15, s20, s15
	v_mov_b32_e32 v5, s15
	s_waitcnt vmcnt(0)
	v_add_co_u32_e32 v7, vcc, s21, v0
	v_addc_co_u32_e32 v8, vcc, v1, v5, vcc
	s_and_saveexec_b64 s[20:21], s[4:5]
	s_cbranch_execz .LBB8_23
; %bb.22:
	v_mov_b32_e32 v9, s16
	v_mov_b32_e32 v10, s17
	;; [unrolled: 1-line block ×4, first 2 shown]
	global_store_dwordx4 v[7:8], v[9:12], off offset:8
.LBB8_23:
	s_or_b64 exec, exec, s[20:21]
	s_lshl_b64 s[16:17], s[18:19], 12
	v_mov_b32_e32 v5, s17
	v_add_co_u32_e32 v2, vcc, s16, v2
	v_addc_co_u32_e32 v11, vcc, v3, v5, vcc
	s_mov_b32 s16, 0
	v_lshlrev_b32_e32 v31, 6, v32
	v_mov_b32_e32 v3, 33
	v_mov_b32_e32 v5, v4
	;; [unrolled: 1-line block ×3, first 2 shown]
	v_readfirstlane_b32 s20, v2
	v_readfirstlane_b32 s21, v11
	v_add_co_u32_e32 v9, vcc, v2, v31
	s_mov_b32 s17, s16
	s_mov_b32 s18, s16
	;; [unrolled: 1-line block ×3, first 2 shown]
	s_nop 0
	global_store_dwordx4 v31, v[3:6], s[20:21]
	v_mov_b32_e32 v2, s16
	v_addc_co_u32_e32 v10, vcc, 0, v11, vcc
	v_mov_b32_e32 v3, s17
	v_mov_b32_e32 v4, s18
	;; [unrolled: 1-line block ×3, first 2 shown]
	global_store_dwordx4 v31, v[2:5], s[20:21] offset:16
	global_store_dwordx4 v31, v[2:5], s[20:21] offset:32
	;; [unrolled: 1-line block ×3, first 2 shown]
	s_and_saveexec_b64 s[16:17], s[4:5]
	s_cbranch_execz .LBB8_31
; %bb.24:
	v_mov_b32_e32 v6, 0
	global_load_dwordx2 v[13:14], v6, s[6:7] offset:32 glc
	global_load_dwordx2 v[2:3], v6, s[6:7] offset:40
	v_mov_b32_e32 v11, s10
	v_mov_b32_e32 v12, s11
	s_waitcnt vmcnt(0)
	v_and_b32_e32 v2, s10, v2
	v_and_b32_e32 v3, s11, v3
	v_mul_lo_u32 v3, v3, 24
	v_mul_hi_u32 v4, v2, 24
	v_mul_lo_u32 v2, v2, 24
	v_add_u32_e32 v3, v4, v3
	v_add_co_u32_e32 v4, vcc, v0, v2
	v_addc_co_u32_e32 v5, vcc, v1, v3, vcc
	global_store_dwordx2 v[4:5], v[13:14], off
	s_waitcnt vmcnt(0)
	global_atomic_cmpswap_x2 v[2:3], v6, v[11:14], s[6:7] offset:32 glc
	s_waitcnt vmcnt(0)
	v_cmp_ne_u64_e32 vcc, v[2:3], v[13:14]
	s_and_saveexec_b64 s[18:19], vcc
	s_cbranch_execz .LBB8_27
; %bb.25:
	s_mov_b64 s[20:21], 0
.LBB8_26:                               ; =>This Inner Loop Header: Depth=1
	s_sleep 1
	global_store_dwordx2 v[4:5], v[2:3], off
	v_mov_b32_e32 v0, s10
	v_mov_b32_e32 v1, s11
	s_waitcnt vmcnt(0)
	global_atomic_cmpswap_x2 v[0:1], v6, v[0:3], s[6:7] offset:32 glc
	s_waitcnt vmcnt(0)
	v_cmp_eq_u64_e32 vcc, v[0:1], v[2:3]
	v_mov_b32_e32 v3, v1
	s_or_b64 s[20:21], vcc, s[20:21]
	v_mov_b32_e32 v2, v0
	s_andn2_b64 exec, exec, s[20:21]
	s_cbranch_execnz .LBB8_26
.LBB8_27:
	s_or_b64 exec, exec, s[18:19]
	v_mov_b32_e32 v3, 0
	global_load_dwordx2 v[0:1], v3, s[6:7] offset:16
	s_mov_b64 s[18:19], exec
	v_mbcnt_lo_u32_b32 v2, s18, 0
	v_mbcnt_hi_u32_b32 v2, s19, v2
	v_cmp_eq_u32_e32 vcc, 0, v2
	s_and_saveexec_b64 s[20:21], vcc
	s_cbranch_execz .LBB8_29
; %bb.28:
	s_bcnt1_i32_b64 s15, s[18:19]
	v_mov_b32_e32 v2, s15
	s_waitcnt vmcnt(0)
	global_atomic_add_x2 v[0:1], v[2:3], off offset:8
.LBB8_29:
	s_or_b64 exec, exec, s[20:21]
	s_waitcnt vmcnt(0)
	global_load_dwordx2 v[2:3], v[0:1], off offset:16
	s_waitcnt vmcnt(0)
	v_cmp_eq_u64_e32 vcc, 0, v[2:3]
	s_cbranch_vccnz .LBB8_31
; %bb.30:
	global_load_dword v0, v[0:1], off offset:24
	v_mov_b32_e32 v1, 0
	s_waitcnt vmcnt(0)
	global_store_dwordx2 v[2:3], v[0:1], off
	v_and_b32_e32 v0, 0xffffff, v0
	v_readfirstlane_b32 m0, v0
	s_sendmsg sendmsg(MSG_INTERRUPT)
.LBB8_31:
	s_or_b64 exec, exec, s[16:17]
	s_branch .LBB8_35
.LBB8_32:                               ;   in Loop: Header=BB8_35 Depth=1
	s_or_b64 exec, exec, s[16:17]
	v_readfirstlane_b32 s15, v0
	s_cmp_eq_u32 s15, 0
	s_cbranch_scc1 .LBB8_34
; %bb.33:                               ;   in Loop: Header=BB8_35 Depth=1
	s_sleep 1
	s_cbranch_execnz .LBB8_35
	s_branch .LBB8_37
.LBB8_34:
	s_branch .LBB8_37
.LBB8_35:                               ; =>This Inner Loop Header: Depth=1
	v_mov_b32_e32 v0, 1
	s_and_saveexec_b64 s[16:17], s[4:5]
	s_cbranch_execz .LBB8_32
; %bb.36:                               ;   in Loop: Header=BB8_35 Depth=1
	global_load_dword v0, v[7:8], off offset:20 glc
	s_waitcnt vmcnt(0)
	buffer_wbinvl1_vol
	v_and_b32_e32 v0, 1, v0
	s_branch .LBB8_32
.LBB8_37:
	global_load_dwordx2 v[4:5], v[9:10], off
	s_and_saveexec_b64 s[16:17], s[4:5]
	s_cbranch_execz .LBB8_40
; %bb.38:
	v_mov_b32_e32 v8, 0
	global_load_dwordx2 v[2:3], v8, s[6:7] offset:40
	global_load_dwordx2 v[9:10], v8, s[6:7] offset:24 glc
	global_load_dwordx2 v[6:7], v8, s[6:7]
	v_mov_b32_e32 v1, s11
	s_mov_b64 s[4:5], 0
	s_waitcnt vmcnt(2)
	v_add_co_u32_e32 v11, vcc, 1, v2
	v_addc_co_u32_e32 v12, vcc, 0, v3, vcc
	v_add_co_u32_e32 v0, vcc, s10, v11
	v_addc_co_u32_e32 v1, vcc, v12, v1, vcc
	v_cmp_eq_u64_e32 vcc, 0, v[0:1]
	v_cndmask_b32_e32 v1, v1, v12, vcc
	v_cndmask_b32_e32 v0, v0, v11, vcc
	v_and_b32_e32 v3, v1, v3
	v_and_b32_e32 v2, v0, v2
	v_mul_lo_u32 v3, v3, 24
	v_mul_hi_u32 v11, v2, 24
	v_mul_lo_u32 v12, v2, 24
	s_waitcnt vmcnt(1)
	v_mov_b32_e32 v2, v9
	v_add_u32_e32 v3, v11, v3
	s_waitcnt vmcnt(0)
	v_add_co_u32_e32 v6, vcc, v6, v12
	v_addc_co_u32_e32 v7, vcc, v7, v3, vcc
	global_store_dwordx2 v[6:7], v[9:10], off
	v_mov_b32_e32 v3, v10
	s_waitcnt vmcnt(0)
	global_atomic_cmpswap_x2 v[2:3], v8, v[0:3], s[6:7] offset:24 glc
	s_waitcnt vmcnt(0)
	v_cmp_ne_u64_e32 vcc, v[2:3], v[9:10]
	s_and_b64 exec, exec, vcc
	s_cbranch_execz .LBB8_40
.LBB8_39:                               ; =>This Inner Loop Header: Depth=1
	s_sleep 1
	global_store_dwordx2 v[6:7], v[2:3], off
	s_waitcnt vmcnt(0)
	global_atomic_cmpswap_x2 v[9:10], v8, v[0:3], s[6:7] offset:24 glc
	s_waitcnt vmcnt(0)
	v_cmp_eq_u64_e32 vcc, v[9:10], v[2:3]
	v_mov_b32_e32 v2, v9
	s_or_b64 s[4:5], vcc, s[4:5]
	v_mov_b32_e32 v3, v10
	s_andn2_b64 exec, exec, s[4:5]
	s_cbranch_execnz .LBB8_39
.LBB8_40:
	s_or_b64 exec, exec, s[16:17]
	s_getpc_b64 s[16:17]
	s_add_u32 s16, s16, .str.5@rel32@lo+4
	s_addc_u32 s17, s17, .str.5@rel32@hi+12
	s_cmp_lg_u64 s[16:17], 0
	s_cselect_b64 s[10:11], -1, 0
	s_and_b64 vcc, exec, s[10:11]
	s_cbranch_vccz .LBB8_125
; %bb.41:
	s_waitcnt vmcnt(0)
	v_and_b32_e32 v29, 2, v4
	v_mov_b32_e32 v26, 0
	v_and_b32_e32 v0, -3, v4
	v_mov_b32_e32 v1, v5
	s_mov_b64 s[18:19], 3
	v_mov_b32_e32 v8, 2
	v_mov_b32_e32 v9, 1
	s_branch .LBB8_43
.LBB8_42:                               ;   in Loop: Header=BB8_43 Depth=1
	s_or_b64 exec, exec, s[24:25]
	s_sub_u32 s18, s18, s20
	s_subb_u32 s19, s19, s21
	s_add_u32 s16, s16, s20
	s_addc_u32 s17, s17, s21
	s_cmp_lg_u64 s[18:19], 0
	s_cbranch_scc0 .LBB8_124
.LBB8_43:                               ; =>This Loop Header: Depth=1
                                        ;     Child Loop BB8_46 Depth 2
                                        ;     Child Loop BB8_53 Depth 2
	;; [unrolled: 1-line block ×11, first 2 shown]
	v_cmp_lt_u64_e64 s[4:5], s[18:19], 56
	v_cmp_gt_u64_e64 s[22:23], s[18:19], 7
	s_and_b64 s[4:5], s[4:5], exec
	s_cselect_b32 s21, s19, 0
	s_cselect_b32 s20, s18, 56
	s_and_b64 vcc, exec, s[22:23]
	s_cbranch_vccnz .LBB8_48
; %bb.44:                               ;   in Loop: Header=BB8_43 Depth=1
	s_waitcnt vmcnt(0)
	v_mov_b32_e32 v2, 0
	s_cmp_eq_u64 s[18:19], 0
	v_mov_b32_e32 v3, 0
	s_mov_b64 s[4:5], 0
	s_cbranch_scc1 .LBB8_47
; %bb.45:                               ;   in Loop: Header=BB8_43 Depth=1
	v_mov_b32_e32 v2, 0
	s_lshl_b64 s[22:23], s[20:21], 3
	s_mov_b64 s[24:25], 0
	v_mov_b32_e32 v3, 0
	s_mov_b64 s[26:27], s[16:17]
.LBB8_46:                               ;   Parent Loop BB8_43 Depth=1
                                        ; =>  This Inner Loop Header: Depth=2
	global_load_ubyte v6, v26, s[26:27]
	s_waitcnt vmcnt(0)
	v_and_b32_e32 v25, 0xffff, v6
	v_lshlrev_b64 v[6:7], s24, v[25:26]
	s_add_u32 s24, s24, 8
	s_addc_u32 s25, s25, 0
	s_add_u32 s26, s26, 1
	s_addc_u32 s27, s27, 0
	v_or_b32_e32 v2, v6, v2
	s_cmp_lg_u32 s22, s24
	v_or_b32_e32 v3, v7, v3
	s_cbranch_scc1 .LBB8_46
.LBB8_47:                               ;   in Loop: Header=BB8_43 Depth=1
	s_mov_b32 s15, 0
	s_andn2_b64 vcc, exec, s[4:5]
	s_mov_b64 s[4:5], s[16:17]
	s_cbranch_vccz .LBB8_49
	s_branch .LBB8_50
.LBB8_48:                               ;   in Loop: Header=BB8_43 Depth=1
                                        ; implicit-def: $vgpr2_vgpr3
                                        ; implicit-def: $sgpr15
	s_mov_b64 s[4:5], s[16:17]
.LBB8_49:                               ;   in Loop: Header=BB8_43 Depth=1
	global_load_dwordx2 v[2:3], v26, s[16:17]
	s_add_i32 s15, s20, -8
	s_add_u32 s4, s16, 8
	s_addc_u32 s5, s17, 0
.LBB8_50:                               ;   in Loop: Header=BB8_43 Depth=1
	s_cmp_gt_u32 s15, 7
	s_cbranch_scc1 .LBB8_54
; %bb.51:                               ;   in Loop: Header=BB8_43 Depth=1
	s_cmp_eq_u32 s15, 0
	s_cbranch_scc1 .LBB8_55
; %bb.52:                               ;   in Loop: Header=BB8_43 Depth=1
	v_mov_b32_e32 v10, 0
	s_mov_b64 s[22:23], 0
	v_mov_b32_e32 v11, 0
	s_mov_b64 s[24:25], 0
.LBB8_53:                               ;   Parent Loop BB8_43 Depth=1
                                        ; =>  This Inner Loop Header: Depth=2
	s_add_u32 s26, s4, s24
	s_addc_u32 s27, s5, s25
	global_load_ubyte v6, v26, s[26:27]
	s_add_u32 s24, s24, 1
	s_addc_u32 s25, s25, 0
	s_waitcnt vmcnt(0)
	v_and_b32_e32 v25, 0xffff, v6
	v_lshlrev_b64 v[6:7], s22, v[25:26]
	s_add_u32 s22, s22, 8
	s_addc_u32 s23, s23, 0
	v_or_b32_e32 v10, v6, v10
	s_cmp_lg_u32 s15, s24
	v_or_b32_e32 v11, v7, v11
	s_cbranch_scc1 .LBB8_53
	s_branch .LBB8_56
.LBB8_54:                               ;   in Loop: Header=BB8_43 Depth=1
                                        ; implicit-def: $vgpr10_vgpr11
                                        ; implicit-def: $sgpr26
	s_branch .LBB8_57
.LBB8_55:                               ;   in Loop: Header=BB8_43 Depth=1
	v_mov_b32_e32 v10, 0
	v_mov_b32_e32 v11, 0
.LBB8_56:                               ;   in Loop: Header=BB8_43 Depth=1
	s_mov_b32 s26, 0
	s_cbranch_execnz .LBB8_58
.LBB8_57:                               ;   in Loop: Header=BB8_43 Depth=1
	global_load_dwordx2 v[10:11], v26, s[4:5]
	s_add_i32 s26, s15, -8
	s_add_u32 s4, s4, 8
	s_addc_u32 s5, s5, 0
.LBB8_58:                               ;   in Loop: Header=BB8_43 Depth=1
	s_cmp_gt_u32 s26, 7
	s_cbranch_scc1 .LBB8_62
; %bb.59:                               ;   in Loop: Header=BB8_43 Depth=1
	s_cmp_eq_u32 s26, 0
	s_cbranch_scc1 .LBB8_63
; %bb.60:                               ;   in Loop: Header=BB8_43 Depth=1
	v_mov_b32_e32 v12, 0
	s_mov_b64 s[22:23], 0
	v_mov_b32_e32 v13, 0
	s_mov_b64 s[24:25], 0
.LBB8_61:                               ;   Parent Loop BB8_43 Depth=1
                                        ; =>  This Inner Loop Header: Depth=2
	s_add_u32 s28, s4, s24
	s_addc_u32 s29, s5, s25
	global_load_ubyte v6, v26, s[28:29]
	s_add_u32 s24, s24, 1
	s_addc_u32 s25, s25, 0
	s_waitcnt vmcnt(0)
	v_and_b32_e32 v25, 0xffff, v6
	v_lshlrev_b64 v[6:7], s22, v[25:26]
	s_add_u32 s22, s22, 8
	s_addc_u32 s23, s23, 0
	v_or_b32_e32 v12, v6, v12
	s_cmp_lg_u32 s26, s24
	v_or_b32_e32 v13, v7, v13
	s_cbranch_scc1 .LBB8_61
	s_branch .LBB8_64
.LBB8_62:                               ;   in Loop: Header=BB8_43 Depth=1
                                        ; implicit-def: $sgpr15
	s_branch .LBB8_65
.LBB8_63:                               ;   in Loop: Header=BB8_43 Depth=1
	v_mov_b32_e32 v12, 0
	v_mov_b32_e32 v13, 0
.LBB8_64:                               ;   in Loop: Header=BB8_43 Depth=1
	s_mov_b32 s15, 0
	s_cbranch_execnz .LBB8_66
.LBB8_65:                               ;   in Loop: Header=BB8_43 Depth=1
	global_load_dwordx2 v[12:13], v26, s[4:5]
	s_add_i32 s15, s26, -8
	s_add_u32 s4, s4, 8
	s_addc_u32 s5, s5, 0
.LBB8_66:                               ;   in Loop: Header=BB8_43 Depth=1
	s_cmp_gt_u32 s15, 7
	s_cbranch_scc1 .LBB8_70
; %bb.67:                               ;   in Loop: Header=BB8_43 Depth=1
	s_cmp_eq_u32 s15, 0
	s_cbranch_scc1 .LBB8_71
; %bb.68:                               ;   in Loop: Header=BB8_43 Depth=1
	v_mov_b32_e32 v14, 0
	s_mov_b64 s[22:23], 0
	v_mov_b32_e32 v15, 0
	s_mov_b64 s[24:25], 0
.LBB8_69:                               ;   Parent Loop BB8_43 Depth=1
                                        ; =>  This Inner Loop Header: Depth=2
	s_add_u32 s26, s4, s24
	s_addc_u32 s27, s5, s25
	global_load_ubyte v6, v26, s[26:27]
	s_add_u32 s24, s24, 1
	s_addc_u32 s25, s25, 0
	s_waitcnt vmcnt(0)
	v_and_b32_e32 v25, 0xffff, v6
	v_lshlrev_b64 v[6:7], s22, v[25:26]
	s_add_u32 s22, s22, 8
	s_addc_u32 s23, s23, 0
	v_or_b32_e32 v14, v6, v14
	s_cmp_lg_u32 s15, s24
	v_or_b32_e32 v15, v7, v15
	s_cbranch_scc1 .LBB8_69
	s_branch .LBB8_72
.LBB8_70:                               ;   in Loop: Header=BB8_43 Depth=1
                                        ; implicit-def: $vgpr14_vgpr15
                                        ; implicit-def: $sgpr26
	s_branch .LBB8_73
.LBB8_71:                               ;   in Loop: Header=BB8_43 Depth=1
	v_mov_b32_e32 v14, 0
	v_mov_b32_e32 v15, 0
.LBB8_72:                               ;   in Loop: Header=BB8_43 Depth=1
	s_mov_b32 s26, 0
	s_cbranch_execnz .LBB8_74
.LBB8_73:                               ;   in Loop: Header=BB8_43 Depth=1
	global_load_dwordx2 v[14:15], v26, s[4:5]
	s_add_i32 s26, s15, -8
	s_add_u32 s4, s4, 8
	s_addc_u32 s5, s5, 0
.LBB8_74:                               ;   in Loop: Header=BB8_43 Depth=1
	s_cmp_gt_u32 s26, 7
	s_cbranch_scc1 .LBB8_78
; %bb.75:                               ;   in Loop: Header=BB8_43 Depth=1
	s_cmp_eq_u32 s26, 0
	s_cbranch_scc1 .LBB8_79
; %bb.76:                               ;   in Loop: Header=BB8_43 Depth=1
	v_mov_b32_e32 v16, 0
	s_mov_b64 s[22:23], 0
	v_mov_b32_e32 v17, 0
	s_mov_b64 s[24:25], 0
.LBB8_77:                               ;   Parent Loop BB8_43 Depth=1
                                        ; =>  This Inner Loop Header: Depth=2
	s_add_u32 s28, s4, s24
	s_addc_u32 s29, s5, s25
	global_load_ubyte v6, v26, s[28:29]
	s_add_u32 s24, s24, 1
	s_addc_u32 s25, s25, 0
	s_waitcnt vmcnt(0)
	v_and_b32_e32 v25, 0xffff, v6
	v_lshlrev_b64 v[6:7], s22, v[25:26]
	s_add_u32 s22, s22, 8
	s_addc_u32 s23, s23, 0
	v_or_b32_e32 v16, v6, v16
	s_cmp_lg_u32 s26, s24
	v_or_b32_e32 v17, v7, v17
	s_cbranch_scc1 .LBB8_77
	s_branch .LBB8_80
.LBB8_78:                               ;   in Loop: Header=BB8_43 Depth=1
                                        ; implicit-def: $sgpr15
	s_branch .LBB8_81
.LBB8_79:                               ;   in Loop: Header=BB8_43 Depth=1
	v_mov_b32_e32 v16, 0
	v_mov_b32_e32 v17, 0
.LBB8_80:                               ;   in Loop: Header=BB8_43 Depth=1
	s_mov_b32 s15, 0
	s_cbranch_execnz .LBB8_82
.LBB8_81:                               ;   in Loop: Header=BB8_43 Depth=1
	global_load_dwordx2 v[16:17], v26, s[4:5]
	s_add_i32 s15, s26, -8
	s_add_u32 s4, s4, 8
	s_addc_u32 s5, s5, 0
.LBB8_82:                               ;   in Loop: Header=BB8_43 Depth=1
	s_cmp_gt_u32 s15, 7
	s_cbranch_scc1 .LBB8_86
; %bb.83:                               ;   in Loop: Header=BB8_43 Depth=1
	s_cmp_eq_u32 s15, 0
	s_cbranch_scc1 .LBB8_87
; %bb.84:                               ;   in Loop: Header=BB8_43 Depth=1
	v_mov_b32_e32 v18, 0
	s_mov_b64 s[22:23], 0
	v_mov_b32_e32 v19, 0
	s_mov_b64 s[24:25], 0
.LBB8_85:                               ;   Parent Loop BB8_43 Depth=1
                                        ; =>  This Inner Loop Header: Depth=2
	s_add_u32 s26, s4, s24
	s_addc_u32 s27, s5, s25
	global_load_ubyte v6, v26, s[26:27]
	s_add_u32 s24, s24, 1
	s_addc_u32 s25, s25, 0
	s_waitcnt vmcnt(0)
	v_and_b32_e32 v25, 0xffff, v6
	v_lshlrev_b64 v[6:7], s22, v[25:26]
	s_add_u32 s22, s22, 8
	s_addc_u32 s23, s23, 0
	v_or_b32_e32 v18, v6, v18
	s_cmp_lg_u32 s15, s24
	v_or_b32_e32 v19, v7, v19
	s_cbranch_scc1 .LBB8_85
	s_branch .LBB8_88
.LBB8_86:                               ;   in Loop: Header=BB8_43 Depth=1
                                        ; implicit-def: $vgpr18_vgpr19
                                        ; implicit-def: $sgpr26
	s_branch .LBB8_89
.LBB8_87:                               ;   in Loop: Header=BB8_43 Depth=1
	v_mov_b32_e32 v18, 0
	v_mov_b32_e32 v19, 0
.LBB8_88:                               ;   in Loop: Header=BB8_43 Depth=1
	s_mov_b32 s26, 0
	s_cbranch_execnz .LBB8_90
.LBB8_89:                               ;   in Loop: Header=BB8_43 Depth=1
	global_load_dwordx2 v[18:19], v26, s[4:5]
	s_add_i32 s26, s15, -8
	s_add_u32 s4, s4, 8
	s_addc_u32 s5, s5, 0
.LBB8_90:                               ;   in Loop: Header=BB8_43 Depth=1
	s_cmp_gt_u32 s26, 7
	s_cbranch_scc1 .LBB8_94
; %bb.91:                               ;   in Loop: Header=BB8_43 Depth=1
	s_cmp_eq_u32 s26, 0
	s_cbranch_scc1 .LBB8_95
; %bb.92:                               ;   in Loop: Header=BB8_43 Depth=1
	v_mov_b32_e32 v20, 0
	s_mov_b64 s[22:23], 0
	v_mov_b32_e32 v21, 0
	s_mov_b64 s[24:25], s[4:5]
.LBB8_93:                               ;   Parent Loop BB8_43 Depth=1
                                        ; =>  This Inner Loop Header: Depth=2
	global_load_ubyte v6, v26, s[24:25]
	s_add_i32 s26, s26, -1
	s_waitcnt vmcnt(0)
	v_and_b32_e32 v25, 0xffff, v6
	v_lshlrev_b64 v[6:7], s22, v[25:26]
	s_add_u32 s22, s22, 8
	s_addc_u32 s23, s23, 0
	s_add_u32 s24, s24, 1
	s_addc_u32 s25, s25, 0
	v_or_b32_e32 v20, v6, v20
	s_cmp_lg_u32 s26, 0
	v_or_b32_e32 v21, v7, v21
	s_cbranch_scc1 .LBB8_93
	s_branch .LBB8_96
.LBB8_94:                               ;   in Loop: Header=BB8_43 Depth=1
	s_branch .LBB8_97
.LBB8_95:                               ;   in Loop: Header=BB8_43 Depth=1
	v_mov_b32_e32 v20, 0
	v_mov_b32_e32 v21, 0
.LBB8_96:                               ;   in Loop: Header=BB8_43 Depth=1
	s_cbranch_execnz .LBB8_98
.LBB8_97:                               ;   in Loop: Header=BB8_43 Depth=1
	global_load_dwordx2 v[20:21], v26, s[4:5]
.LBB8_98:                               ;   in Loop: Header=BB8_43 Depth=1
	v_readfirstlane_b32 s4, v32
	v_mov_b32_e32 v6, 0
	v_mov_b32_e32 v7, 0
	v_cmp_eq_u32_e64 s[4:5], s4, v32
	s_and_saveexec_b64 s[22:23], s[4:5]
	s_cbranch_execz .LBB8_104
; %bb.99:                               ;   in Loop: Header=BB8_43 Depth=1
	global_load_dwordx2 v[24:25], v26, s[6:7] offset:24 glc
	s_waitcnt vmcnt(0)
	buffer_wbinvl1_vol
	global_load_dwordx2 v[6:7], v26, s[6:7] offset:40
	global_load_dwordx2 v[22:23], v26, s[6:7]
	s_waitcnt vmcnt(1)
	v_and_b32_e32 v6, v6, v24
	v_and_b32_e32 v7, v7, v25
	v_mul_lo_u32 v7, v7, 24
	v_mul_hi_u32 v27, v6, 24
	v_mul_lo_u32 v6, v6, 24
	v_add_u32_e32 v7, v27, v7
	s_waitcnt vmcnt(0)
	v_add_co_u32_e32 v6, vcc, v22, v6
	v_addc_co_u32_e32 v7, vcc, v23, v7, vcc
	global_load_dwordx2 v[22:23], v[6:7], off glc
	s_waitcnt vmcnt(0)
	global_atomic_cmpswap_x2 v[6:7], v26, v[22:25], s[6:7] offset:24 glc
	s_waitcnt vmcnt(0)
	buffer_wbinvl1_vol
	v_cmp_ne_u64_e32 vcc, v[6:7], v[24:25]
	s_and_saveexec_b64 s[24:25], vcc
	s_cbranch_execz .LBB8_103
; %bb.100:                              ;   in Loop: Header=BB8_43 Depth=1
	s_mov_b64 s[26:27], 0
.LBB8_101:                              ;   Parent Loop BB8_43 Depth=1
                                        ; =>  This Inner Loop Header: Depth=2
	s_sleep 1
	global_load_dwordx2 v[22:23], v26, s[6:7] offset:40
	global_load_dwordx2 v[27:28], v26, s[6:7]
	v_mov_b32_e32 v25, v7
	v_mov_b32_e32 v24, v6
	s_waitcnt vmcnt(1)
	v_and_b32_e32 v6, v22, v24
	s_waitcnt vmcnt(0)
	v_mad_u64_u32 v[6:7], s[28:29], v6, 24, v[27:28]
	v_and_b32_e32 v22, v23, v25
	v_mad_u64_u32 v[22:23], s[28:29], v22, 24, v[7:8]
	v_mov_b32_e32 v7, v22
	global_load_dwordx2 v[22:23], v[6:7], off glc
	s_waitcnt vmcnt(0)
	global_atomic_cmpswap_x2 v[6:7], v26, v[22:25], s[6:7] offset:24 glc
	s_waitcnt vmcnt(0)
	buffer_wbinvl1_vol
	v_cmp_eq_u64_e32 vcc, v[6:7], v[24:25]
	s_or_b64 s[26:27], vcc, s[26:27]
	s_andn2_b64 exec, exec, s[26:27]
	s_cbranch_execnz .LBB8_101
; %bb.102:                              ;   in Loop: Header=BB8_43 Depth=1
	s_or_b64 exec, exec, s[26:27]
.LBB8_103:                              ;   in Loop: Header=BB8_43 Depth=1
	s_or_b64 exec, exec, s[24:25]
.LBB8_104:                              ;   in Loop: Header=BB8_43 Depth=1
	s_or_b64 exec, exec, s[22:23]
	global_load_dwordx2 v[27:28], v26, s[6:7] offset:40
	global_load_dwordx4 v[22:25], v26, s[6:7]
	v_readfirstlane_b32 s22, v6
	v_readfirstlane_b32 s23, v7
	s_mov_b64 s[24:25], exec
	s_waitcnt vmcnt(1)
	v_readfirstlane_b32 s26, v27
	v_readfirstlane_b32 s27, v28
	s_and_b64 s[26:27], s[22:23], s[26:27]
	s_mul_i32 s15, s27, 24
	s_mul_hi_u32 s28, s26, 24
	s_mul_i32 s29, s26, 24
	s_add_i32 s15, s28, s15
	v_mov_b32_e32 v6, s15
	s_waitcnt vmcnt(0)
	v_add_co_u32_e32 v27, vcc, s29, v22
	v_addc_co_u32_e32 v28, vcc, v23, v6, vcc
	s_and_saveexec_b64 s[28:29], s[4:5]
	s_cbranch_execz .LBB8_106
; %bb.105:                              ;   in Loop: Header=BB8_43 Depth=1
	v_mov_b32_e32 v6, s24
	v_mov_b32_e32 v7, s25
	global_store_dwordx4 v[27:28], v[6:9], off offset:8
.LBB8_106:                              ;   in Loop: Header=BB8_43 Depth=1
	s_or_b64 exec, exec, s[28:29]
	s_lshl_b64 s[24:25], s[26:27], 12
	v_mov_b32_e32 v6, s25
	v_add_co_u32_e32 v24, vcc, s24, v24
	v_addc_co_u32_e32 v30, vcc, v25, v6, vcc
	v_cmp_gt_u64_e64 vcc, s[18:19], 56
	v_or_b32_e32 v7, v0, v29
	s_lshl_b32 s15, s20, 2
	v_cndmask_b32_e32 v0, v7, v0, vcc
	s_add_i32 s15, s15, 28
	v_or_b32_e32 v6, 0, v1
	s_and_b32 s15, s15, 0x1e0
	v_and_b32_e32 v0, 0xffffff1f, v0
	v_cndmask_b32_e32 v1, v6, v1, vcc
	v_or_b32_e32 v0, s15, v0
	v_readfirstlane_b32 s24, v24
	v_readfirstlane_b32 s25, v30
	s_nop 4
	global_store_dwordx4 v31, v[0:3], s[24:25]
	global_store_dwordx4 v31, v[10:13], s[24:25] offset:16
	global_store_dwordx4 v31, v[14:17], s[24:25] offset:32
	;; [unrolled: 1-line block ×3, first 2 shown]
	s_and_saveexec_b64 s[24:25], s[4:5]
	s_cbranch_execz .LBB8_114
; %bb.107:                              ;   in Loop: Header=BB8_43 Depth=1
	global_load_dwordx2 v[12:13], v26, s[6:7] offset:32 glc
	global_load_dwordx2 v[0:1], v26, s[6:7] offset:40
	v_mov_b32_e32 v10, s22
	v_mov_b32_e32 v11, s23
	s_waitcnt vmcnt(0)
	v_readfirstlane_b32 s26, v0
	v_readfirstlane_b32 s27, v1
	s_and_b64 s[26:27], s[26:27], s[22:23]
	s_mul_i32 s15, s27, 24
	s_mul_hi_u32 s27, s26, 24
	s_mul_i32 s26, s26, 24
	s_add_i32 s15, s27, s15
	v_mov_b32_e32 v0, s15
	v_add_co_u32_e32 v6, vcc, s26, v22
	v_addc_co_u32_e32 v7, vcc, v23, v0, vcc
	global_store_dwordx2 v[6:7], v[12:13], off
	s_waitcnt vmcnt(0)
	global_atomic_cmpswap_x2 v[2:3], v26, v[10:13], s[6:7] offset:32 glc
	s_waitcnt vmcnt(0)
	v_cmp_ne_u64_e32 vcc, v[2:3], v[12:13]
	s_and_saveexec_b64 s[26:27], vcc
	s_cbranch_execz .LBB8_110
; %bb.108:                              ;   in Loop: Header=BB8_43 Depth=1
	s_mov_b64 s[28:29], 0
.LBB8_109:                              ;   Parent Loop BB8_43 Depth=1
                                        ; =>  This Inner Loop Header: Depth=2
	s_sleep 1
	global_store_dwordx2 v[6:7], v[2:3], off
	v_mov_b32_e32 v0, s22
	v_mov_b32_e32 v1, s23
	s_waitcnt vmcnt(0)
	global_atomic_cmpswap_x2 v[0:1], v26, v[0:3], s[6:7] offset:32 glc
	s_waitcnt vmcnt(0)
	v_cmp_eq_u64_e32 vcc, v[0:1], v[2:3]
	v_mov_b32_e32 v3, v1
	s_or_b64 s[28:29], vcc, s[28:29]
	v_mov_b32_e32 v2, v0
	s_andn2_b64 exec, exec, s[28:29]
	s_cbranch_execnz .LBB8_109
.LBB8_110:                              ;   in Loop: Header=BB8_43 Depth=1
	s_or_b64 exec, exec, s[26:27]
	global_load_dwordx2 v[0:1], v26, s[6:7] offset:16
	s_mov_b64 s[28:29], exec
	v_mbcnt_lo_u32_b32 v2, s28, 0
	v_mbcnt_hi_u32_b32 v2, s29, v2
	v_cmp_eq_u32_e32 vcc, 0, v2
	s_and_saveexec_b64 s[26:27], vcc
	s_cbranch_execz .LBB8_112
; %bb.111:                              ;   in Loop: Header=BB8_43 Depth=1
	s_bcnt1_i32_b64 s15, s[28:29]
	v_mov_b32_e32 v25, s15
	s_waitcnt vmcnt(0)
	global_atomic_add_x2 v[0:1], v[25:26], off offset:8
.LBB8_112:                              ;   in Loop: Header=BB8_43 Depth=1
	s_or_b64 exec, exec, s[26:27]
	s_waitcnt vmcnt(0)
	global_load_dwordx2 v[2:3], v[0:1], off offset:16
	s_waitcnt vmcnt(0)
	v_cmp_eq_u64_e32 vcc, 0, v[2:3]
	s_cbranch_vccnz .LBB8_114
; %bb.113:                              ;   in Loop: Header=BB8_43 Depth=1
	global_load_dword v25, v[0:1], off offset:24
	s_waitcnt vmcnt(0)
	v_and_b32_e32 v0, 0xffffff, v25
	v_readfirstlane_b32 m0, v0
	global_store_dwordx2 v[2:3], v[25:26], off
	s_sendmsg sendmsg(MSG_INTERRUPT)
.LBB8_114:                              ;   in Loop: Header=BB8_43 Depth=1
	s_or_b64 exec, exec, s[24:25]
	v_add_co_u32_e32 v0, vcc, v24, v31
	v_addc_co_u32_e32 v1, vcc, 0, v30, vcc
	s_branch .LBB8_118
.LBB8_115:                              ;   in Loop: Header=BB8_118 Depth=2
	s_or_b64 exec, exec, s[24:25]
	v_readfirstlane_b32 s15, v2
	s_cmp_eq_u32 s15, 0
	s_cbranch_scc1 .LBB8_117
; %bb.116:                              ;   in Loop: Header=BB8_118 Depth=2
	s_sleep 1
	s_cbranch_execnz .LBB8_118
	s_branch .LBB8_120
.LBB8_117:                              ;   in Loop: Header=BB8_43 Depth=1
	s_branch .LBB8_120
.LBB8_118:                              ;   Parent Loop BB8_43 Depth=1
                                        ; =>  This Inner Loop Header: Depth=2
	v_mov_b32_e32 v2, 1
	s_and_saveexec_b64 s[24:25], s[4:5]
	s_cbranch_execz .LBB8_115
; %bb.119:                              ;   in Loop: Header=BB8_118 Depth=2
	global_load_dword v2, v[27:28], off offset:20 glc
	s_waitcnt vmcnt(0)
	buffer_wbinvl1_vol
	v_and_b32_e32 v2, 1, v2
	s_branch .LBB8_115
.LBB8_120:                              ;   in Loop: Header=BB8_43 Depth=1
	global_load_dwordx4 v[0:3], v[0:1], off
	s_and_saveexec_b64 s[24:25], s[4:5]
	s_cbranch_execz .LBB8_42
; %bb.121:                              ;   in Loop: Header=BB8_43 Depth=1
	global_load_dwordx2 v[2:3], v26, s[6:7] offset:40
	global_load_dwordx2 v[6:7], v26, s[6:7] offset:24 glc
	global_load_dwordx2 v[13:14], v26, s[6:7]
	v_mov_b32_e32 v11, s23
	s_waitcnt vmcnt(2)
	v_add_co_u32_e32 v12, vcc, 1, v2
	v_addc_co_u32_e32 v15, vcc, 0, v3, vcc
	v_add_co_u32_e32 v10, vcc, s22, v12
	v_addc_co_u32_e32 v11, vcc, v15, v11, vcc
	v_cmp_eq_u64_e32 vcc, 0, v[10:11]
	v_cndmask_b32_e32 v11, v11, v15, vcc
	v_cndmask_b32_e32 v10, v10, v12, vcc
	v_and_b32_e32 v3, v11, v3
	v_and_b32_e32 v2, v10, v2
	v_mul_lo_u32 v3, v3, 24
	v_mul_hi_u32 v15, v2, 24
	v_mul_lo_u32 v2, v2, 24
	s_waitcnt vmcnt(1)
	v_mov_b32_e32 v12, v6
	v_add_u32_e32 v3, v15, v3
	s_waitcnt vmcnt(0)
	v_add_co_u32_e32 v2, vcc, v13, v2
	v_addc_co_u32_e32 v3, vcc, v14, v3, vcc
	global_store_dwordx2 v[2:3], v[6:7], off
	v_mov_b32_e32 v13, v7
	s_waitcnt vmcnt(0)
	global_atomic_cmpswap_x2 v[12:13], v26, v[10:13], s[6:7] offset:24 glc
	s_waitcnt vmcnt(0)
	v_cmp_ne_u64_e32 vcc, v[12:13], v[6:7]
	s_and_b64 exec, exec, vcc
	s_cbranch_execz .LBB8_42
; %bb.122:                              ;   in Loop: Header=BB8_43 Depth=1
	s_mov_b64 s[4:5], 0
.LBB8_123:                              ;   Parent Loop BB8_43 Depth=1
                                        ; =>  This Inner Loop Header: Depth=2
	s_sleep 1
	global_store_dwordx2 v[2:3], v[12:13], off
	s_waitcnt vmcnt(0)
	global_atomic_cmpswap_x2 v[6:7], v26, v[10:13], s[6:7] offset:24 glc
	s_waitcnt vmcnt(0)
	v_cmp_eq_u64_e32 vcc, v[6:7], v[12:13]
	v_mov_b32_e32 v13, v7
	s_or_b64 s[4:5], vcc, s[4:5]
	v_mov_b32_e32 v12, v6
	s_andn2_b64 exec, exec, s[4:5]
	s_cbranch_execnz .LBB8_123
	s_branch .LBB8_42
.LBB8_124:
	s_branch .LBB8_152
.LBB8_125:
                                        ; implicit-def: $vgpr0_vgpr1
	s_cbranch_execz .LBB8_152
; %bb.126:
	v_readfirstlane_b32 s4, v32
	v_mov_b32_e32 v7, 0
	v_mov_b32_e32 v8, 0
	v_cmp_eq_u32_e64 s[4:5], s4, v32
	s_and_saveexec_b64 s[16:17], s[4:5]
	s_cbranch_execz .LBB8_132
; %bb.127:
	s_waitcnt vmcnt(0)
	v_mov_b32_e32 v0, 0
	global_load_dwordx2 v[9:10], v0, s[6:7] offset:24 glc
	s_waitcnt vmcnt(0)
	buffer_wbinvl1_vol
	global_load_dwordx2 v[1:2], v0, s[6:7] offset:40
	global_load_dwordx2 v[6:7], v0, s[6:7]
	s_waitcnt vmcnt(1)
	v_and_b32_e32 v1, v1, v9
	v_and_b32_e32 v2, v2, v10
	v_mul_lo_u32 v2, v2, 24
	v_mul_hi_u32 v3, v1, 24
	v_mul_lo_u32 v1, v1, 24
	v_add_u32_e32 v2, v3, v2
	s_waitcnt vmcnt(0)
	v_add_co_u32_e32 v1, vcc, v6, v1
	v_addc_co_u32_e32 v2, vcc, v7, v2, vcc
	global_load_dwordx2 v[7:8], v[1:2], off glc
	s_waitcnt vmcnt(0)
	global_atomic_cmpswap_x2 v[7:8], v0, v[7:10], s[6:7] offset:24 glc
	s_waitcnt vmcnt(0)
	buffer_wbinvl1_vol
	v_cmp_ne_u64_e32 vcc, v[7:8], v[9:10]
	s_and_saveexec_b64 s[18:19], vcc
	s_cbranch_execz .LBB8_131
; %bb.128:
	s_mov_b64 s[20:21], 0
.LBB8_129:                              ; =>This Inner Loop Header: Depth=1
	s_sleep 1
	global_load_dwordx2 v[1:2], v0, s[6:7] offset:40
	global_load_dwordx2 v[11:12], v0, s[6:7]
	v_mov_b32_e32 v10, v8
	v_mov_b32_e32 v9, v7
	s_waitcnt vmcnt(1)
	v_and_b32_e32 v1, v1, v9
	s_waitcnt vmcnt(0)
	v_mad_u64_u32 v[6:7], s[22:23], v1, 24, v[11:12]
	v_and_b32_e32 v2, v2, v10
	v_mov_b32_e32 v1, v7
	v_mad_u64_u32 v[1:2], s[22:23], v2, 24, v[1:2]
	v_mov_b32_e32 v7, v1
	global_load_dwordx2 v[7:8], v[6:7], off glc
	s_waitcnt vmcnt(0)
	global_atomic_cmpswap_x2 v[7:8], v0, v[7:10], s[6:7] offset:24 glc
	s_waitcnt vmcnt(0)
	buffer_wbinvl1_vol
	v_cmp_eq_u64_e32 vcc, v[7:8], v[9:10]
	s_or_b64 s[20:21], vcc, s[20:21]
	s_andn2_b64 exec, exec, s[20:21]
	s_cbranch_execnz .LBB8_129
; %bb.130:
	s_or_b64 exec, exec, s[20:21]
.LBB8_131:
	s_or_b64 exec, exec, s[18:19]
.LBB8_132:
	s_or_b64 exec, exec, s[16:17]
	v_mov_b32_e32 v6, 0
	global_load_dwordx2 v[9:10], v6, s[6:7] offset:40
	global_load_dwordx4 v[0:3], v6, s[6:7]
	v_readfirstlane_b32 s16, v7
	v_readfirstlane_b32 s17, v8
	s_mov_b64 s[18:19], exec
	s_waitcnt vmcnt(1)
	v_readfirstlane_b32 s20, v9
	v_readfirstlane_b32 s21, v10
	s_and_b64 s[20:21], s[16:17], s[20:21]
	s_mul_i32 s15, s21, 24
	s_mul_hi_u32 s22, s20, 24
	s_mul_i32 s23, s20, 24
	s_add_i32 s15, s22, s15
	v_mov_b32_e32 v7, s15
	s_waitcnt vmcnt(0)
	v_add_co_u32_e32 v8, vcc, s23, v0
	v_addc_co_u32_e32 v9, vcc, v1, v7, vcc
	s_and_saveexec_b64 s[22:23], s[4:5]
	s_cbranch_execz .LBB8_134
; %bb.133:
	v_mov_b32_e32 v10, s18
	v_mov_b32_e32 v11, s19
	;; [unrolled: 1-line block ×4, first 2 shown]
	global_store_dwordx4 v[8:9], v[10:13], off offset:8
.LBB8_134:
	s_or_b64 exec, exec, s[22:23]
	s_lshl_b64 s[18:19], s[20:21], 12
	v_mov_b32_e32 v7, s19
	v_add_co_u32_e32 v2, vcc, s18, v2
	v_addc_co_u32_e32 v3, vcc, v3, v7, vcc
	s_movk_i32 s15, 0xff1f
	v_and_or_b32 v4, v4, s15, 32
	v_add_co_u32_e32 v10, vcc, v2, v31
	s_mov_b32 s20, 0
	v_mov_b32_e32 v7, v6
	v_readfirstlane_b32 s18, v2
	v_readfirstlane_b32 s19, v3
	v_addc_co_u32_e32 v11, vcc, 0, v3, vcc
	s_mov_b32 s21, s20
	s_mov_b32 s22, s20
	s_mov_b32 s23, s20
	s_nop 0
	global_store_dwordx4 v31, v[4:7], s[18:19]
	v_mov_b32_e32 v2, s20
	v_mov_b32_e32 v3, s21
	;; [unrolled: 1-line block ×4, first 2 shown]
	global_store_dwordx4 v31, v[2:5], s[18:19] offset:16
	global_store_dwordx4 v31, v[2:5], s[18:19] offset:32
	global_store_dwordx4 v31, v[2:5], s[18:19] offset:48
	s_and_saveexec_b64 s[18:19], s[4:5]
	s_cbranch_execz .LBB8_142
; %bb.135:
	v_mov_b32_e32 v6, 0
	global_load_dwordx2 v[14:15], v6, s[6:7] offset:32 glc
	global_load_dwordx2 v[2:3], v6, s[6:7] offset:40
	v_mov_b32_e32 v12, s16
	v_mov_b32_e32 v13, s17
	s_waitcnt vmcnt(0)
	v_readfirstlane_b32 s20, v2
	v_readfirstlane_b32 s21, v3
	s_and_b64 s[20:21], s[20:21], s[16:17]
	s_mul_i32 s15, s21, 24
	s_mul_hi_u32 s21, s20, 24
	s_mul_i32 s20, s20, 24
	s_add_i32 s15, s21, s15
	v_mov_b32_e32 v2, s15
	v_add_co_u32_e32 v4, vcc, s20, v0
	v_addc_co_u32_e32 v5, vcc, v1, v2, vcc
	global_store_dwordx2 v[4:5], v[14:15], off
	s_waitcnt vmcnt(0)
	global_atomic_cmpswap_x2 v[2:3], v6, v[12:15], s[6:7] offset:32 glc
	s_waitcnt vmcnt(0)
	v_cmp_ne_u64_e32 vcc, v[2:3], v[14:15]
	s_and_saveexec_b64 s[20:21], vcc
	s_cbranch_execz .LBB8_138
; %bb.136:
	s_mov_b64 s[22:23], 0
.LBB8_137:                              ; =>This Inner Loop Header: Depth=1
	s_sleep 1
	global_store_dwordx2 v[4:5], v[2:3], off
	v_mov_b32_e32 v0, s16
	v_mov_b32_e32 v1, s17
	s_waitcnt vmcnt(0)
	global_atomic_cmpswap_x2 v[0:1], v6, v[0:3], s[6:7] offset:32 glc
	s_waitcnt vmcnt(0)
	v_cmp_eq_u64_e32 vcc, v[0:1], v[2:3]
	v_mov_b32_e32 v3, v1
	s_or_b64 s[22:23], vcc, s[22:23]
	v_mov_b32_e32 v2, v0
	s_andn2_b64 exec, exec, s[22:23]
	s_cbranch_execnz .LBB8_137
.LBB8_138:
	s_or_b64 exec, exec, s[20:21]
	v_mov_b32_e32 v3, 0
	global_load_dwordx2 v[0:1], v3, s[6:7] offset:16
	s_mov_b64 s[20:21], exec
	v_mbcnt_lo_u32_b32 v2, s20, 0
	v_mbcnt_hi_u32_b32 v2, s21, v2
	v_cmp_eq_u32_e32 vcc, 0, v2
	s_and_saveexec_b64 s[22:23], vcc
	s_cbranch_execz .LBB8_140
; %bb.139:
	s_bcnt1_i32_b64 s15, s[20:21]
	v_mov_b32_e32 v2, s15
	s_waitcnt vmcnt(0)
	global_atomic_add_x2 v[0:1], v[2:3], off offset:8
.LBB8_140:
	s_or_b64 exec, exec, s[22:23]
	s_waitcnt vmcnt(0)
	global_load_dwordx2 v[2:3], v[0:1], off offset:16
	s_waitcnt vmcnt(0)
	v_cmp_eq_u64_e32 vcc, 0, v[2:3]
	s_cbranch_vccnz .LBB8_142
; %bb.141:
	global_load_dword v0, v[0:1], off offset:24
	v_mov_b32_e32 v1, 0
	s_waitcnt vmcnt(0)
	global_store_dwordx2 v[2:3], v[0:1], off
	v_and_b32_e32 v0, 0xffffff, v0
	v_readfirstlane_b32 m0, v0
	s_sendmsg sendmsg(MSG_INTERRUPT)
.LBB8_142:
	s_or_b64 exec, exec, s[18:19]
	s_branch .LBB8_146
.LBB8_143:                              ;   in Loop: Header=BB8_146 Depth=1
	s_or_b64 exec, exec, s[18:19]
	v_readfirstlane_b32 s15, v0
	s_cmp_eq_u32 s15, 0
	s_cbranch_scc1 .LBB8_145
; %bb.144:                              ;   in Loop: Header=BB8_146 Depth=1
	s_sleep 1
	s_cbranch_execnz .LBB8_146
	s_branch .LBB8_148
.LBB8_145:
	s_branch .LBB8_148
.LBB8_146:                              ; =>This Inner Loop Header: Depth=1
	v_mov_b32_e32 v0, 1
	s_and_saveexec_b64 s[18:19], s[4:5]
	s_cbranch_execz .LBB8_143
; %bb.147:                              ;   in Loop: Header=BB8_146 Depth=1
	global_load_dword v0, v[8:9], off offset:20 glc
	s_waitcnt vmcnt(0)
	buffer_wbinvl1_vol
	v_and_b32_e32 v0, 1, v0
	s_branch .LBB8_143
.LBB8_148:
	global_load_dwordx2 v[0:1], v[10:11], off
	s_and_saveexec_b64 s[18:19], s[4:5]
	s_cbranch_execz .LBB8_151
; %bb.149:
	v_mov_b32_e32 v8, 0
	global_load_dwordx2 v[4:5], v8, s[6:7] offset:40
	global_load_dwordx2 v[9:10], v8, s[6:7] offset:24 glc
	global_load_dwordx2 v[6:7], v8, s[6:7]
	v_mov_b32_e32 v3, s17
	s_mov_b64 s[4:5], 0
	s_waitcnt vmcnt(2)
	v_add_co_u32_e32 v11, vcc, 1, v4
	v_addc_co_u32_e32 v12, vcc, 0, v5, vcc
	v_add_co_u32_e32 v2, vcc, s16, v11
	v_addc_co_u32_e32 v3, vcc, v12, v3, vcc
	v_cmp_eq_u64_e32 vcc, 0, v[2:3]
	v_cndmask_b32_e32 v3, v3, v12, vcc
	v_cndmask_b32_e32 v2, v2, v11, vcc
	v_and_b32_e32 v5, v3, v5
	v_and_b32_e32 v4, v2, v4
	v_mul_lo_u32 v5, v5, 24
	v_mul_hi_u32 v11, v4, 24
	v_mul_lo_u32 v12, v4, 24
	s_waitcnt vmcnt(1)
	v_mov_b32_e32 v4, v9
	v_add_u32_e32 v5, v11, v5
	s_waitcnt vmcnt(0)
	v_add_co_u32_e32 v6, vcc, v6, v12
	v_addc_co_u32_e32 v7, vcc, v7, v5, vcc
	global_store_dwordx2 v[6:7], v[9:10], off
	v_mov_b32_e32 v5, v10
	s_waitcnt vmcnt(0)
	global_atomic_cmpswap_x2 v[4:5], v8, v[2:5], s[6:7] offset:24 glc
	s_waitcnt vmcnt(0)
	v_cmp_ne_u64_e32 vcc, v[4:5], v[9:10]
	s_and_b64 exec, exec, vcc
	s_cbranch_execz .LBB8_151
.LBB8_150:                              ; =>This Inner Loop Header: Depth=1
	s_sleep 1
	global_store_dwordx2 v[6:7], v[4:5], off
	s_waitcnt vmcnt(0)
	global_atomic_cmpswap_x2 v[9:10], v8, v[2:5], s[6:7] offset:24 glc
	s_waitcnt vmcnt(0)
	v_cmp_eq_u64_e32 vcc, v[9:10], v[4:5]
	v_mov_b32_e32 v4, v9
	s_or_b64 s[4:5], vcc, s[4:5]
	v_mov_b32_e32 v5, v10
	s_andn2_b64 exec, exec, s[4:5]
	s_cbranch_execnz .LBB8_150
.LBB8_151:
	s_or_b64 exec, exec, s[18:19]
.LBB8_152:
	s_getpc_b64 s[16:17]
	s_add_u32 s16, s16, __PRETTY_FUNCTION__._ZL20merge_partial_rangesRN8migraphx4test12test_managerE@rel32@lo+4
	s_addc_u32 s17, s17, __PRETTY_FUNCTION__._ZL20merge_partial_rangesRN8migraphx4test12test_managerE@rel32@hi+12
	s_cmp_lg_u64 s[16:17], 0
	s_cbranch_scc0 .LBB8_237
; %bb.153:
	s_waitcnt vmcnt(0)
	v_and_b32_e32 v6, -3, v0
	v_mov_b32_e32 v7, v1
	s_mov_b64 s[18:19], 58
	v_mov_b32_e32 v26, 0
	v_mov_b32_e32 v4, 2
	;; [unrolled: 1-line block ×3, first 2 shown]
	s_branch .LBB8_155
.LBB8_154:                              ;   in Loop: Header=BB8_155 Depth=1
	s_or_b64 exec, exec, s[24:25]
	s_sub_u32 s18, s18, s20
	s_subb_u32 s19, s19, s21
	s_add_u32 s16, s16, s20
	s_addc_u32 s17, s17, s21
	s_cmp_lg_u64 s[18:19], 0
	s_cbranch_scc0 .LBB8_236
.LBB8_155:                              ; =>This Loop Header: Depth=1
                                        ;     Child Loop BB8_158 Depth 2
                                        ;     Child Loop BB8_165 Depth 2
	;; [unrolled: 1-line block ×11, first 2 shown]
	v_cmp_lt_u64_e64 s[4:5], s[18:19], 56
	v_cmp_gt_u64_e64 s[22:23], s[18:19], 7
	s_and_b64 s[4:5], s[4:5], exec
	s_cselect_b32 s21, s19, 0
	s_cselect_b32 s20, s18, 56
	s_and_b64 vcc, exec, s[22:23]
	s_cbranch_vccnz .LBB8_160
; %bb.156:                              ;   in Loop: Header=BB8_155 Depth=1
	s_waitcnt vmcnt(0)
	v_mov_b32_e32 v8, 0
	s_cmp_eq_u64 s[18:19], 0
	v_mov_b32_e32 v9, 0
	s_mov_b64 s[4:5], 0
	s_cbranch_scc1 .LBB8_159
; %bb.157:                              ;   in Loop: Header=BB8_155 Depth=1
	v_mov_b32_e32 v8, 0
	s_lshl_b64 s[22:23], s[20:21], 3
	s_mov_b64 s[24:25], 0
	v_mov_b32_e32 v9, 0
	s_mov_b64 s[26:27], s[16:17]
.LBB8_158:                              ;   Parent Loop BB8_155 Depth=1
                                        ; =>  This Inner Loop Header: Depth=2
	global_load_ubyte v2, v26, s[26:27]
	s_waitcnt vmcnt(0)
	v_and_b32_e32 v25, 0xffff, v2
	v_lshlrev_b64 v[2:3], s24, v[25:26]
	s_add_u32 s24, s24, 8
	s_addc_u32 s25, s25, 0
	s_add_u32 s26, s26, 1
	s_addc_u32 s27, s27, 0
	v_or_b32_e32 v8, v2, v8
	s_cmp_lg_u32 s22, s24
	v_or_b32_e32 v9, v3, v9
	s_cbranch_scc1 .LBB8_158
.LBB8_159:                              ;   in Loop: Header=BB8_155 Depth=1
	s_mov_b32 s15, 0
	s_andn2_b64 vcc, exec, s[4:5]
	s_mov_b64 s[4:5], s[16:17]
	s_cbranch_vccz .LBB8_161
	s_branch .LBB8_162
.LBB8_160:                              ;   in Loop: Header=BB8_155 Depth=1
                                        ; implicit-def: $sgpr15
	s_mov_b64 s[4:5], s[16:17]
.LBB8_161:                              ;   in Loop: Header=BB8_155 Depth=1
	global_load_dwordx2 v[8:9], v26, s[16:17]
	s_add_i32 s15, s20, -8
	s_add_u32 s4, s16, 8
	s_addc_u32 s5, s17, 0
.LBB8_162:                              ;   in Loop: Header=BB8_155 Depth=1
	s_cmp_gt_u32 s15, 7
	s_cbranch_scc1 .LBB8_166
; %bb.163:                              ;   in Loop: Header=BB8_155 Depth=1
	s_cmp_eq_u32 s15, 0
	s_cbranch_scc1 .LBB8_167
; %bb.164:                              ;   in Loop: Header=BB8_155 Depth=1
	v_mov_b32_e32 v10, 0
	s_mov_b64 s[22:23], 0
	v_mov_b32_e32 v11, 0
	s_mov_b64 s[24:25], 0
.LBB8_165:                              ;   Parent Loop BB8_155 Depth=1
                                        ; =>  This Inner Loop Header: Depth=2
	s_add_u32 s26, s4, s24
	s_addc_u32 s27, s5, s25
	global_load_ubyte v2, v26, s[26:27]
	s_add_u32 s24, s24, 1
	s_addc_u32 s25, s25, 0
	s_waitcnt vmcnt(0)
	v_and_b32_e32 v25, 0xffff, v2
	v_lshlrev_b64 v[2:3], s22, v[25:26]
	s_add_u32 s22, s22, 8
	s_addc_u32 s23, s23, 0
	v_or_b32_e32 v10, v2, v10
	s_cmp_lg_u32 s15, s24
	v_or_b32_e32 v11, v3, v11
	s_cbranch_scc1 .LBB8_165
	s_branch .LBB8_168
.LBB8_166:                              ;   in Loop: Header=BB8_155 Depth=1
                                        ; implicit-def: $vgpr10_vgpr11
                                        ; implicit-def: $sgpr26
	s_branch .LBB8_169
.LBB8_167:                              ;   in Loop: Header=BB8_155 Depth=1
	v_mov_b32_e32 v10, 0
	v_mov_b32_e32 v11, 0
.LBB8_168:                              ;   in Loop: Header=BB8_155 Depth=1
	s_mov_b32 s26, 0
	s_cbranch_execnz .LBB8_170
.LBB8_169:                              ;   in Loop: Header=BB8_155 Depth=1
	global_load_dwordx2 v[10:11], v26, s[4:5]
	s_add_i32 s26, s15, -8
	s_add_u32 s4, s4, 8
	s_addc_u32 s5, s5, 0
.LBB8_170:                              ;   in Loop: Header=BB8_155 Depth=1
	s_cmp_gt_u32 s26, 7
	s_cbranch_scc1 .LBB8_174
; %bb.171:                              ;   in Loop: Header=BB8_155 Depth=1
	s_cmp_eq_u32 s26, 0
	s_cbranch_scc1 .LBB8_175
; %bb.172:                              ;   in Loop: Header=BB8_155 Depth=1
	v_mov_b32_e32 v12, 0
	s_mov_b64 s[22:23], 0
	v_mov_b32_e32 v13, 0
	s_mov_b64 s[24:25], 0
.LBB8_173:                              ;   Parent Loop BB8_155 Depth=1
                                        ; =>  This Inner Loop Header: Depth=2
	s_add_u32 s28, s4, s24
	s_addc_u32 s29, s5, s25
	global_load_ubyte v2, v26, s[28:29]
	s_add_u32 s24, s24, 1
	s_addc_u32 s25, s25, 0
	s_waitcnt vmcnt(0)
	v_and_b32_e32 v25, 0xffff, v2
	v_lshlrev_b64 v[2:3], s22, v[25:26]
	s_add_u32 s22, s22, 8
	s_addc_u32 s23, s23, 0
	v_or_b32_e32 v12, v2, v12
	s_cmp_lg_u32 s26, s24
	v_or_b32_e32 v13, v3, v13
	s_cbranch_scc1 .LBB8_173
	s_branch .LBB8_176
.LBB8_174:                              ;   in Loop: Header=BB8_155 Depth=1
                                        ; implicit-def: $sgpr15
	s_branch .LBB8_177
.LBB8_175:                              ;   in Loop: Header=BB8_155 Depth=1
	v_mov_b32_e32 v12, 0
	v_mov_b32_e32 v13, 0
.LBB8_176:                              ;   in Loop: Header=BB8_155 Depth=1
	s_mov_b32 s15, 0
	s_cbranch_execnz .LBB8_178
.LBB8_177:                              ;   in Loop: Header=BB8_155 Depth=1
	global_load_dwordx2 v[12:13], v26, s[4:5]
	s_add_i32 s15, s26, -8
	s_add_u32 s4, s4, 8
	s_addc_u32 s5, s5, 0
.LBB8_178:                              ;   in Loop: Header=BB8_155 Depth=1
	s_cmp_gt_u32 s15, 7
	s_cbranch_scc1 .LBB8_182
; %bb.179:                              ;   in Loop: Header=BB8_155 Depth=1
	s_cmp_eq_u32 s15, 0
	s_cbranch_scc1 .LBB8_183
; %bb.180:                              ;   in Loop: Header=BB8_155 Depth=1
	v_mov_b32_e32 v14, 0
	s_mov_b64 s[22:23], 0
	v_mov_b32_e32 v15, 0
	s_mov_b64 s[24:25], 0
.LBB8_181:                              ;   Parent Loop BB8_155 Depth=1
                                        ; =>  This Inner Loop Header: Depth=2
	s_add_u32 s26, s4, s24
	s_addc_u32 s27, s5, s25
	global_load_ubyte v2, v26, s[26:27]
	s_add_u32 s24, s24, 1
	s_addc_u32 s25, s25, 0
	s_waitcnt vmcnt(0)
	v_and_b32_e32 v25, 0xffff, v2
	v_lshlrev_b64 v[2:3], s22, v[25:26]
	s_add_u32 s22, s22, 8
	s_addc_u32 s23, s23, 0
	v_or_b32_e32 v14, v2, v14
	s_cmp_lg_u32 s15, s24
	v_or_b32_e32 v15, v3, v15
	s_cbranch_scc1 .LBB8_181
	s_branch .LBB8_184
.LBB8_182:                              ;   in Loop: Header=BB8_155 Depth=1
                                        ; implicit-def: $vgpr14_vgpr15
                                        ; implicit-def: $sgpr26
	s_branch .LBB8_185
.LBB8_183:                              ;   in Loop: Header=BB8_155 Depth=1
	v_mov_b32_e32 v14, 0
	v_mov_b32_e32 v15, 0
.LBB8_184:                              ;   in Loop: Header=BB8_155 Depth=1
	s_mov_b32 s26, 0
	s_cbranch_execnz .LBB8_186
.LBB8_185:                              ;   in Loop: Header=BB8_155 Depth=1
	global_load_dwordx2 v[14:15], v26, s[4:5]
	s_add_i32 s26, s15, -8
	s_add_u32 s4, s4, 8
	s_addc_u32 s5, s5, 0
.LBB8_186:                              ;   in Loop: Header=BB8_155 Depth=1
	s_cmp_gt_u32 s26, 7
	s_cbranch_scc1 .LBB8_190
; %bb.187:                              ;   in Loop: Header=BB8_155 Depth=1
	s_cmp_eq_u32 s26, 0
	s_cbranch_scc1 .LBB8_191
; %bb.188:                              ;   in Loop: Header=BB8_155 Depth=1
	v_mov_b32_e32 v16, 0
	s_mov_b64 s[22:23], 0
	v_mov_b32_e32 v17, 0
	s_mov_b64 s[24:25], 0
.LBB8_189:                              ;   Parent Loop BB8_155 Depth=1
                                        ; =>  This Inner Loop Header: Depth=2
	s_add_u32 s28, s4, s24
	s_addc_u32 s29, s5, s25
	global_load_ubyte v2, v26, s[28:29]
	s_add_u32 s24, s24, 1
	s_addc_u32 s25, s25, 0
	s_waitcnt vmcnt(0)
	v_and_b32_e32 v25, 0xffff, v2
	v_lshlrev_b64 v[2:3], s22, v[25:26]
	s_add_u32 s22, s22, 8
	s_addc_u32 s23, s23, 0
	v_or_b32_e32 v16, v2, v16
	s_cmp_lg_u32 s26, s24
	v_or_b32_e32 v17, v3, v17
	s_cbranch_scc1 .LBB8_189
	s_branch .LBB8_192
.LBB8_190:                              ;   in Loop: Header=BB8_155 Depth=1
                                        ; implicit-def: $sgpr15
	s_branch .LBB8_193
.LBB8_191:                              ;   in Loop: Header=BB8_155 Depth=1
	v_mov_b32_e32 v16, 0
	v_mov_b32_e32 v17, 0
.LBB8_192:                              ;   in Loop: Header=BB8_155 Depth=1
	s_mov_b32 s15, 0
	s_cbranch_execnz .LBB8_194
.LBB8_193:                              ;   in Loop: Header=BB8_155 Depth=1
	global_load_dwordx2 v[16:17], v26, s[4:5]
	s_add_i32 s15, s26, -8
	s_add_u32 s4, s4, 8
	s_addc_u32 s5, s5, 0
.LBB8_194:                              ;   in Loop: Header=BB8_155 Depth=1
	s_cmp_gt_u32 s15, 7
	s_cbranch_scc1 .LBB8_198
; %bb.195:                              ;   in Loop: Header=BB8_155 Depth=1
	s_cmp_eq_u32 s15, 0
	s_cbranch_scc1 .LBB8_199
; %bb.196:                              ;   in Loop: Header=BB8_155 Depth=1
	v_mov_b32_e32 v18, 0
	s_mov_b64 s[22:23], 0
	v_mov_b32_e32 v19, 0
	s_mov_b64 s[24:25], 0
.LBB8_197:                              ;   Parent Loop BB8_155 Depth=1
                                        ; =>  This Inner Loop Header: Depth=2
	s_add_u32 s26, s4, s24
	s_addc_u32 s27, s5, s25
	global_load_ubyte v2, v26, s[26:27]
	s_add_u32 s24, s24, 1
	s_addc_u32 s25, s25, 0
	s_waitcnt vmcnt(0)
	v_and_b32_e32 v25, 0xffff, v2
	v_lshlrev_b64 v[2:3], s22, v[25:26]
	s_add_u32 s22, s22, 8
	s_addc_u32 s23, s23, 0
	v_or_b32_e32 v18, v2, v18
	s_cmp_lg_u32 s15, s24
	v_or_b32_e32 v19, v3, v19
	s_cbranch_scc1 .LBB8_197
	s_branch .LBB8_200
.LBB8_198:                              ;   in Loop: Header=BB8_155 Depth=1
                                        ; implicit-def: $vgpr18_vgpr19
                                        ; implicit-def: $sgpr26
	s_branch .LBB8_201
.LBB8_199:                              ;   in Loop: Header=BB8_155 Depth=1
	v_mov_b32_e32 v18, 0
	v_mov_b32_e32 v19, 0
.LBB8_200:                              ;   in Loop: Header=BB8_155 Depth=1
	s_mov_b32 s26, 0
	s_cbranch_execnz .LBB8_202
.LBB8_201:                              ;   in Loop: Header=BB8_155 Depth=1
	global_load_dwordx2 v[18:19], v26, s[4:5]
	s_add_i32 s26, s15, -8
	s_add_u32 s4, s4, 8
	s_addc_u32 s5, s5, 0
.LBB8_202:                              ;   in Loop: Header=BB8_155 Depth=1
	s_cmp_gt_u32 s26, 7
	s_cbranch_scc1 .LBB8_206
; %bb.203:                              ;   in Loop: Header=BB8_155 Depth=1
	s_cmp_eq_u32 s26, 0
	s_cbranch_scc1 .LBB8_207
; %bb.204:                              ;   in Loop: Header=BB8_155 Depth=1
	v_mov_b32_e32 v20, 0
	s_mov_b64 s[22:23], 0
	v_mov_b32_e32 v21, 0
	s_mov_b64 s[24:25], s[4:5]
.LBB8_205:                              ;   Parent Loop BB8_155 Depth=1
                                        ; =>  This Inner Loop Header: Depth=2
	global_load_ubyte v2, v26, s[24:25]
	s_add_i32 s26, s26, -1
	s_waitcnt vmcnt(0)
	v_and_b32_e32 v25, 0xffff, v2
	v_lshlrev_b64 v[2:3], s22, v[25:26]
	s_add_u32 s22, s22, 8
	s_addc_u32 s23, s23, 0
	s_add_u32 s24, s24, 1
	s_addc_u32 s25, s25, 0
	v_or_b32_e32 v20, v2, v20
	s_cmp_lg_u32 s26, 0
	v_or_b32_e32 v21, v3, v21
	s_cbranch_scc1 .LBB8_205
	s_branch .LBB8_208
.LBB8_206:                              ;   in Loop: Header=BB8_155 Depth=1
	s_branch .LBB8_209
.LBB8_207:                              ;   in Loop: Header=BB8_155 Depth=1
	v_mov_b32_e32 v20, 0
	v_mov_b32_e32 v21, 0
.LBB8_208:                              ;   in Loop: Header=BB8_155 Depth=1
	s_cbranch_execnz .LBB8_210
.LBB8_209:                              ;   in Loop: Header=BB8_155 Depth=1
	global_load_dwordx2 v[20:21], v26, s[4:5]
.LBB8_210:                              ;   in Loop: Header=BB8_155 Depth=1
	v_readfirstlane_b32 s4, v32
	v_mov_b32_e32 v2, 0
	v_mov_b32_e32 v3, 0
	v_cmp_eq_u32_e64 s[4:5], s4, v32
	s_and_saveexec_b64 s[22:23], s[4:5]
	s_cbranch_execz .LBB8_216
; %bb.211:                              ;   in Loop: Header=BB8_155 Depth=1
	global_load_dwordx2 v[24:25], v26, s[6:7] offset:24 glc
	s_waitcnt vmcnt(0)
	buffer_wbinvl1_vol
	global_load_dwordx2 v[2:3], v26, s[6:7] offset:40
	global_load_dwordx2 v[22:23], v26, s[6:7]
	s_waitcnt vmcnt(1)
	v_and_b32_e32 v2, v2, v24
	v_and_b32_e32 v3, v3, v25
	v_mul_lo_u32 v3, v3, 24
	v_mul_hi_u32 v27, v2, 24
	v_mul_lo_u32 v2, v2, 24
	v_add_u32_e32 v3, v27, v3
	s_waitcnt vmcnt(0)
	v_add_co_u32_e32 v2, vcc, v22, v2
	v_addc_co_u32_e32 v3, vcc, v23, v3, vcc
	global_load_dwordx2 v[22:23], v[2:3], off glc
	s_waitcnt vmcnt(0)
	global_atomic_cmpswap_x2 v[2:3], v26, v[22:25], s[6:7] offset:24 glc
	s_waitcnt vmcnt(0)
	buffer_wbinvl1_vol
	v_cmp_ne_u64_e32 vcc, v[2:3], v[24:25]
	s_and_saveexec_b64 s[24:25], vcc
	s_cbranch_execz .LBB8_215
; %bb.212:                              ;   in Loop: Header=BB8_155 Depth=1
	s_mov_b64 s[26:27], 0
.LBB8_213:                              ;   Parent Loop BB8_155 Depth=1
                                        ; =>  This Inner Loop Header: Depth=2
	s_sleep 1
	global_load_dwordx2 v[22:23], v26, s[6:7] offset:40
	global_load_dwordx2 v[27:28], v26, s[6:7]
	v_mov_b32_e32 v25, v3
	v_mov_b32_e32 v24, v2
	s_waitcnt vmcnt(1)
	v_and_b32_e32 v2, v22, v24
	s_waitcnt vmcnt(0)
	v_mad_u64_u32 v[2:3], s[28:29], v2, 24, v[27:28]
	v_and_b32_e32 v22, v23, v25
	v_mad_u64_u32 v[22:23], s[28:29], v22, 24, v[3:4]
	v_mov_b32_e32 v3, v22
	global_load_dwordx2 v[22:23], v[2:3], off glc
	s_waitcnt vmcnt(0)
	global_atomic_cmpswap_x2 v[2:3], v26, v[22:25], s[6:7] offset:24 glc
	s_waitcnt vmcnt(0)
	buffer_wbinvl1_vol
	v_cmp_eq_u64_e32 vcc, v[2:3], v[24:25]
	s_or_b64 s[26:27], vcc, s[26:27]
	s_andn2_b64 exec, exec, s[26:27]
	s_cbranch_execnz .LBB8_213
; %bb.214:                              ;   in Loop: Header=BB8_155 Depth=1
	s_or_b64 exec, exec, s[26:27]
.LBB8_215:                              ;   in Loop: Header=BB8_155 Depth=1
	s_or_b64 exec, exec, s[24:25]
.LBB8_216:                              ;   in Loop: Header=BB8_155 Depth=1
	s_or_b64 exec, exec, s[22:23]
	global_load_dwordx2 v[27:28], v26, s[6:7] offset:40
	global_load_dwordx4 v[22:25], v26, s[6:7]
	v_readfirstlane_b32 s22, v2
	v_readfirstlane_b32 s23, v3
	s_mov_b64 s[24:25], exec
	s_waitcnt vmcnt(1)
	v_readfirstlane_b32 s26, v27
	v_readfirstlane_b32 s27, v28
	s_and_b64 s[26:27], s[22:23], s[26:27]
	s_mul_i32 s15, s27, 24
	s_mul_hi_u32 s28, s26, 24
	s_mul_i32 s29, s26, 24
	s_add_i32 s15, s28, s15
	v_mov_b32_e32 v2, s15
	s_waitcnt vmcnt(0)
	v_add_co_u32_e32 v27, vcc, s29, v22
	v_addc_co_u32_e32 v28, vcc, v23, v2, vcc
	s_and_saveexec_b64 s[28:29], s[4:5]
	s_cbranch_execz .LBB8_218
; %bb.217:                              ;   in Loop: Header=BB8_155 Depth=1
	v_mov_b32_e32 v2, s24
	v_mov_b32_e32 v3, s25
	global_store_dwordx4 v[27:28], v[2:5], off offset:8
.LBB8_218:                              ;   in Loop: Header=BB8_155 Depth=1
	s_or_b64 exec, exec, s[28:29]
	s_lshl_b64 s[24:25], s[26:27], 12
	v_mov_b32_e32 v2, s25
	v_add_co_u32_e32 v24, vcc, s24, v24
	v_addc_co_u32_e32 v29, vcc, v25, v2, vcc
	v_cmp_gt_u64_e64 vcc, s[18:19], 56
	v_or_b32_e32 v2, 2, v6
	s_lshl_b32 s15, s20, 2
	v_cndmask_b32_e32 v2, v2, v6, vcc
	s_add_i32 s15, s15, 28
	s_and_b32 s15, s15, 0x1e0
	v_and_b32_e32 v2, 0xffffff1f, v2
	v_or_b32_e32 v6, s15, v2
	v_readfirstlane_b32 s24, v24
	v_readfirstlane_b32 s25, v29
	s_nop 4
	global_store_dwordx4 v31, v[6:9], s[24:25]
	global_store_dwordx4 v31, v[10:13], s[24:25] offset:16
	global_store_dwordx4 v31, v[14:17], s[24:25] offset:32
	global_store_dwordx4 v31, v[18:21], s[24:25] offset:48
	s_and_saveexec_b64 s[24:25], s[4:5]
	s_cbranch_execz .LBB8_226
; %bb.219:                              ;   in Loop: Header=BB8_155 Depth=1
	global_load_dwordx2 v[10:11], v26, s[6:7] offset:32 glc
	global_load_dwordx2 v[2:3], v26, s[6:7] offset:40
	v_mov_b32_e32 v8, s22
	v_mov_b32_e32 v9, s23
	s_waitcnt vmcnt(0)
	v_readfirstlane_b32 s26, v2
	v_readfirstlane_b32 s27, v3
	s_and_b64 s[26:27], s[26:27], s[22:23]
	s_mul_i32 s15, s27, 24
	s_mul_hi_u32 s27, s26, 24
	s_mul_i32 s26, s26, 24
	s_add_i32 s15, s27, s15
	v_mov_b32_e32 v3, s15
	v_add_co_u32_e32 v2, vcc, s26, v22
	v_addc_co_u32_e32 v3, vcc, v23, v3, vcc
	global_store_dwordx2 v[2:3], v[10:11], off
	s_waitcnt vmcnt(0)
	global_atomic_cmpswap_x2 v[8:9], v26, v[8:11], s[6:7] offset:32 glc
	s_waitcnt vmcnt(0)
	v_cmp_ne_u64_e32 vcc, v[8:9], v[10:11]
	s_and_saveexec_b64 s[26:27], vcc
	s_cbranch_execz .LBB8_222
; %bb.220:                              ;   in Loop: Header=BB8_155 Depth=1
	s_mov_b64 s[28:29], 0
.LBB8_221:                              ;   Parent Loop BB8_155 Depth=1
                                        ; =>  This Inner Loop Header: Depth=2
	s_sleep 1
	global_store_dwordx2 v[2:3], v[8:9], off
	v_mov_b32_e32 v6, s22
	v_mov_b32_e32 v7, s23
	s_waitcnt vmcnt(0)
	global_atomic_cmpswap_x2 v[6:7], v26, v[6:9], s[6:7] offset:32 glc
	s_waitcnt vmcnt(0)
	v_cmp_eq_u64_e32 vcc, v[6:7], v[8:9]
	v_mov_b32_e32 v9, v7
	s_or_b64 s[28:29], vcc, s[28:29]
	v_mov_b32_e32 v8, v6
	s_andn2_b64 exec, exec, s[28:29]
	s_cbranch_execnz .LBB8_221
.LBB8_222:                              ;   in Loop: Header=BB8_155 Depth=1
	s_or_b64 exec, exec, s[26:27]
	global_load_dwordx2 v[2:3], v26, s[6:7] offset:16
	s_mov_b64 s[28:29], exec
	v_mbcnt_lo_u32_b32 v6, s28, 0
	v_mbcnt_hi_u32_b32 v6, s29, v6
	v_cmp_eq_u32_e32 vcc, 0, v6
	s_and_saveexec_b64 s[26:27], vcc
	s_cbranch_execz .LBB8_224
; %bb.223:                              ;   in Loop: Header=BB8_155 Depth=1
	s_bcnt1_i32_b64 s15, s[28:29]
	v_mov_b32_e32 v25, s15
	s_waitcnt vmcnt(0)
	global_atomic_add_x2 v[2:3], v[25:26], off offset:8
.LBB8_224:                              ;   in Loop: Header=BB8_155 Depth=1
	s_or_b64 exec, exec, s[26:27]
	s_waitcnt vmcnt(0)
	global_load_dwordx2 v[6:7], v[2:3], off offset:16
	s_waitcnt vmcnt(0)
	v_cmp_eq_u64_e32 vcc, 0, v[6:7]
	s_cbranch_vccnz .LBB8_226
; %bb.225:                              ;   in Loop: Header=BB8_155 Depth=1
	global_load_dword v25, v[2:3], off offset:24
	s_waitcnt vmcnt(0)
	v_and_b32_e32 v2, 0xffffff, v25
	v_readfirstlane_b32 m0, v2
	global_store_dwordx2 v[6:7], v[25:26], off
	s_sendmsg sendmsg(MSG_INTERRUPT)
.LBB8_226:                              ;   in Loop: Header=BB8_155 Depth=1
	s_or_b64 exec, exec, s[24:25]
	v_add_co_u32_e32 v2, vcc, v24, v31
	v_addc_co_u32_e32 v3, vcc, 0, v29, vcc
	s_branch .LBB8_230
.LBB8_227:                              ;   in Loop: Header=BB8_230 Depth=2
	s_or_b64 exec, exec, s[24:25]
	v_readfirstlane_b32 s15, v6
	s_cmp_eq_u32 s15, 0
	s_cbranch_scc1 .LBB8_229
; %bb.228:                              ;   in Loop: Header=BB8_230 Depth=2
	s_sleep 1
	s_cbranch_execnz .LBB8_230
	s_branch .LBB8_232
.LBB8_229:                              ;   in Loop: Header=BB8_155 Depth=1
	s_branch .LBB8_232
.LBB8_230:                              ;   Parent Loop BB8_155 Depth=1
                                        ; =>  This Inner Loop Header: Depth=2
	v_mov_b32_e32 v6, 1
	s_and_saveexec_b64 s[24:25], s[4:5]
	s_cbranch_execz .LBB8_227
; %bb.231:                              ;   in Loop: Header=BB8_230 Depth=2
	global_load_dword v6, v[27:28], off offset:20 glc
	s_waitcnt vmcnt(0)
	buffer_wbinvl1_vol
	v_and_b32_e32 v6, 1, v6
	s_branch .LBB8_227
.LBB8_232:                              ;   in Loop: Header=BB8_155 Depth=1
	global_load_dwordx4 v[6:9], v[2:3], off
	s_and_saveexec_b64 s[24:25], s[4:5]
	s_cbranch_execz .LBB8_154
; %bb.233:                              ;   in Loop: Header=BB8_155 Depth=1
	global_load_dwordx2 v[2:3], v26, s[6:7] offset:40
	global_load_dwordx2 v[12:13], v26, s[6:7] offset:24 glc
	global_load_dwordx2 v[14:15], v26, s[6:7]
	s_waitcnt vmcnt(3)
	v_mov_b32_e32 v9, s23
	s_waitcnt vmcnt(2)
	v_add_co_u32_e32 v10, vcc, 1, v2
	v_addc_co_u32_e32 v11, vcc, 0, v3, vcc
	v_add_co_u32_e32 v8, vcc, s22, v10
	v_addc_co_u32_e32 v9, vcc, v11, v9, vcc
	v_cmp_eq_u64_e32 vcc, 0, v[8:9]
	v_cndmask_b32_e32 v9, v9, v11, vcc
	v_cndmask_b32_e32 v8, v8, v10, vcc
	v_and_b32_e32 v3, v9, v3
	v_and_b32_e32 v2, v8, v2
	v_mul_lo_u32 v3, v3, 24
	v_mul_hi_u32 v11, v2, 24
	v_mul_lo_u32 v2, v2, 24
	s_waitcnt vmcnt(1)
	v_mov_b32_e32 v10, v12
	v_add_u32_e32 v3, v11, v3
	s_waitcnt vmcnt(0)
	v_add_co_u32_e32 v2, vcc, v14, v2
	v_addc_co_u32_e32 v3, vcc, v15, v3, vcc
	global_store_dwordx2 v[2:3], v[12:13], off
	v_mov_b32_e32 v11, v13
	s_waitcnt vmcnt(0)
	global_atomic_cmpswap_x2 v[10:11], v26, v[8:11], s[6:7] offset:24 glc
	s_waitcnt vmcnt(0)
	v_cmp_ne_u64_e32 vcc, v[10:11], v[12:13]
	s_and_b64 exec, exec, vcc
	s_cbranch_execz .LBB8_154
; %bb.234:                              ;   in Loop: Header=BB8_155 Depth=1
	s_mov_b64 s[4:5], 0
.LBB8_235:                              ;   Parent Loop BB8_155 Depth=1
                                        ; =>  This Inner Loop Header: Depth=2
	s_sleep 1
	global_store_dwordx2 v[2:3], v[10:11], off
	s_waitcnt vmcnt(0)
	global_atomic_cmpswap_x2 v[12:13], v26, v[8:11], s[6:7] offset:24 glc
	s_waitcnt vmcnt(0)
	v_cmp_eq_u64_e32 vcc, v[12:13], v[10:11]
	v_mov_b32_e32 v10, v12
	s_or_b64 s[4:5], vcc, s[4:5]
	v_mov_b32_e32 v11, v13
	s_andn2_b64 exec, exec, s[4:5]
	s_cbranch_execnz .LBB8_235
	s_branch .LBB8_154
.LBB8_236:
	s_branch .LBB8_264
.LBB8_237:
	s_cbranch_execz .LBB8_264
; %bb.238:
	v_readfirstlane_b32 s4, v32
	s_waitcnt vmcnt(0)
	v_mov_b32_e32 v8, 0
	v_mov_b32_e32 v9, 0
	v_cmp_eq_u32_e64 s[4:5], s4, v32
	s_and_saveexec_b64 s[16:17], s[4:5]
	s_cbranch_execz .LBB8_244
; %bb.239:
	v_mov_b32_e32 v2, 0
	global_load_dwordx2 v[5:6], v2, s[6:7] offset:24 glc
	s_waitcnt vmcnt(0)
	buffer_wbinvl1_vol
	global_load_dwordx2 v[3:4], v2, s[6:7] offset:40
	global_load_dwordx2 v[7:8], v2, s[6:7]
	s_waitcnt vmcnt(1)
	v_and_b32_e32 v3, v3, v5
	v_and_b32_e32 v4, v4, v6
	v_mul_lo_u32 v4, v4, 24
	v_mul_hi_u32 v9, v3, 24
	v_mul_lo_u32 v3, v3, 24
	v_add_u32_e32 v4, v9, v4
	s_waitcnt vmcnt(0)
	v_add_co_u32_e32 v3, vcc, v7, v3
	v_addc_co_u32_e32 v4, vcc, v8, v4, vcc
	global_load_dwordx2 v[3:4], v[3:4], off glc
	s_waitcnt vmcnt(0)
	global_atomic_cmpswap_x2 v[8:9], v2, v[3:6], s[6:7] offset:24 glc
	s_waitcnt vmcnt(0)
	buffer_wbinvl1_vol
	v_cmp_ne_u64_e32 vcc, v[8:9], v[5:6]
	s_and_saveexec_b64 s[18:19], vcc
	s_cbranch_execz .LBB8_243
; %bb.240:
	s_mov_b64 s[20:21], 0
.LBB8_241:                              ; =>This Inner Loop Header: Depth=1
	s_sleep 1
	global_load_dwordx2 v[3:4], v2, s[6:7] offset:40
	global_load_dwordx2 v[10:11], v2, s[6:7]
	v_mov_b32_e32 v5, v8
	v_mov_b32_e32 v6, v9
	s_waitcnt vmcnt(1)
	v_and_b32_e32 v3, v3, v5
	s_waitcnt vmcnt(0)
	v_mad_u64_u32 v[7:8], s[22:23], v3, 24, v[10:11]
	v_and_b32_e32 v4, v4, v6
	v_mov_b32_e32 v3, v8
	v_mad_u64_u32 v[3:4], s[22:23], v4, 24, v[3:4]
	v_mov_b32_e32 v8, v3
	global_load_dwordx2 v[3:4], v[7:8], off glc
	s_waitcnt vmcnt(0)
	global_atomic_cmpswap_x2 v[8:9], v2, v[3:6], s[6:7] offset:24 glc
	s_waitcnt vmcnt(0)
	buffer_wbinvl1_vol
	v_cmp_eq_u64_e32 vcc, v[8:9], v[5:6]
	s_or_b64 s[20:21], vcc, s[20:21]
	s_andn2_b64 exec, exec, s[20:21]
	s_cbranch_execnz .LBB8_241
; %bb.242:
	s_or_b64 exec, exec, s[20:21]
.LBB8_243:
	s_or_b64 exec, exec, s[18:19]
.LBB8_244:
	s_or_b64 exec, exec, s[16:17]
	v_mov_b32_e32 v2, 0
	global_load_dwordx2 v[10:11], v2, s[6:7] offset:40
	global_load_dwordx4 v[4:7], v2, s[6:7]
	v_readfirstlane_b32 s16, v8
	v_readfirstlane_b32 s17, v9
	s_mov_b64 s[18:19], exec
	s_waitcnt vmcnt(1)
	v_readfirstlane_b32 s20, v10
	v_readfirstlane_b32 s21, v11
	s_and_b64 s[20:21], s[16:17], s[20:21]
	s_mul_i32 s15, s21, 24
	s_mul_hi_u32 s22, s20, 24
	s_mul_i32 s23, s20, 24
	s_add_i32 s15, s22, s15
	v_mov_b32_e32 v3, s15
	s_waitcnt vmcnt(0)
	v_add_co_u32_e32 v8, vcc, s23, v4
	v_addc_co_u32_e32 v9, vcc, v5, v3, vcc
	s_and_saveexec_b64 s[22:23], s[4:5]
	s_cbranch_execz .LBB8_246
; %bb.245:
	v_mov_b32_e32 v10, s18
	v_mov_b32_e32 v11, s19
	;; [unrolled: 1-line block ×4, first 2 shown]
	global_store_dwordx4 v[8:9], v[10:13], off offset:8
.LBB8_246:
	s_or_b64 exec, exec, s[22:23]
	s_lshl_b64 s[18:19], s[20:21], 12
	v_mov_b32_e32 v3, s19
	v_add_co_u32_e32 v6, vcc, s18, v6
	v_addc_co_u32_e32 v7, vcc, v7, v3, vcc
	s_movk_i32 s15, 0xff1d
	v_and_or_b32 v0, v0, s15, 34
	s_mov_b32 s20, 0
	v_mov_b32_e32 v3, v2
	v_readfirstlane_b32 s18, v6
	v_readfirstlane_b32 s19, v7
	s_mov_b32 s21, s20
	s_mov_b32 s22, s20
	;; [unrolled: 1-line block ×3, first 2 shown]
	s_nop 1
	global_store_dwordx4 v31, v[0:3], s[18:19]
	s_nop 0
	v_mov_b32_e32 v0, s20
	v_mov_b32_e32 v1, s21
	;; [unrolled: 1-line block ×4, first 2 shown]
	global_store_dwordx4 v31, v[0:3], s[18:19] offset:16
	global_store_dwordx4 v31, v[0:3], s[18:19] offset:32
	;; [unrolled: 1-line block ×3, first 2 shown]
	s_and_saveexec_b64 s[18:19], s[4:5]
	s_cbranch_execz .LBB8_254
; %bb.247:
	v_mov_b32_e32 v6, 0
	global_load_dwordx2 v[12:13], v6, s[6:7] offset:32 glc
	global_load_dwordx2 v[0:1], v6, s[6:7] offset:40
	v_mov_b32_e32 v10, s16
	v_mov_b32_e32 v11, s17
	s_waitcnt vmcnt(0)
	v_readfirstlane_b32 s20, v0
	v_readfirstlane_b32 s21, v1
	s_and_b64 s[20:21], s[20:21], s[16:17]
	s_mul_i32 s15, s21, 24
	s_mul_hi_u32 s21, s20, 24
	s_mul_i32 s20, s20, 24
	s_add_i32 s15, s21, s15
	v_mov_b32_e32 v0, s15
	v_add_co_u32_e32 v4, vcc, s20, v4
	v_addc_co_u32_e32 v5, vcc, v5, v0, vcc
	global_store_dwordx2 v[4:5], v[12:13], off
	s_waitcnt vmcnt(0)
	global_atomic_cmpswap_x2 v[2:3], v6, v[10:13], s[6:7] offset:32 glc
	s_waitcnt vmcnt(0)
	v_cmp_ne_u64_e32 vcc, v[2:3], v[12:13]
	s_and_saveexec_b64 s[20:21], vcc
	s_cbranch_execz .LBB8_250
; %bb.248:
	s_mov_b64 s[22:23], 0
.LBB8_249:                              ; =>This Inner Loop Header: Depth=1
	s_sleep 1
	global_store_dwordx2 v[4:5], v[2:3], off
	v_mov_b32_e32 v0, s16
	v_mov_b32_e32 v1, s17
	s_waitcnt vmcnt(0)
	global_atomic_cmpswap_x2 v[0:1], v6, v[0:3], s[6:7] offset:32 glc
	s_waitcnt vmcnt(0)
	v_cmp_eq_u64_e32 vcc, v[0:1], v[2:3]
	v_mov_b32_e32 v3, v1
	s_or_b64 s[22:23], vcc, s[22:23]
	v_mov_b32_e32 v2, v0
	s_andn2_b64 exec, exec, s[22:23]
	s_cbranch_execnz .LBB8_249
.LBB8_250:
	s_or_b64 exec, exec, s[20:21]
	v_mov_b32_e32 v3, 0
	global_load_dwordx2 v[0:1], v3, s[6:7] offset:16
	s_mov_b64 s[20:21], exec
	v_mbcnt_lo_u32_b32 v2, s20, 0
	v_mbcnt_hi_u32_b32 v2, s21, v2
	v_cmp_eq_u32_e32 vcc, 0, v2
	s_and_saveexec_b64 s[22:23], vcc
	s_cbranch_execz .LBB8_252
; %bb.251:
	s_bcnt1_i32_b64 s15, s[20:21]
	v_mov_b32_e32 v2, s15
	s_waitcnt vmcnt(0)
	global_atomic_add_x2 v[0:1], v[2:3], off offset:8
.LBB8_252:
	s_or_b64 exec, exec, s[22:23]
	s_waitcnt vmcnt(0)
	global_load_dwordx2 v[2:3], v[0:1], off offset:16
	s_waitcnt vmcnt(0)
	v_cmp_eq_u64_e32 vcc, 0, v[2:3]
	s_cbranch_vccnz .LBB8_254
; %bb.253:
	global_load_dword v0, v[0:1], off offset:24
	v_mov_b32_e32 v1, 0
	s_waitcnt vmcnt(0)
	global_store_dwordx2 v[2:3], v[0:1], off
	v_and_b32_e32 v0, 0xffffff, v0
	v_readfirstlane_b32 m0, v0
	s_sendmsg sendmsg(MSG_INTERRUPT)
.LBB8_254:
	s_or_b64 exec, exec, s[18:19]
	s_branch .LBB8_258
.LBB8_255:                              ;   in Loop: Header=BB8_258 Depth=1
	s_or_b64 exec, exec, s[18:19]
	v_readfirstlane_b32 s15, v0
	s_cmp_eq_u32 s15, 0
	s_cbranch_scc1 .LBB8_257
; %bb.256:                              ;   in Loop: Header=BB8_258 Depth=1
	s_sleep 1
	s_cbranch_execnz .LBB8_258
	s_branch .LBB8_260
.LBB8_257:
	s_branch .LBB8_260
.LBB8_258:                              ; =>This Inner Loop Header: Depth=1
	v_mov_b32_e32 v0, 1
	s_and_saveexec_b64 s[18:19], s[4:5]
	s_cbranch_execz .LBB8_255
; %bb.259:                              ;   in Loop: Header=BB8_258 Depth=1
	global_load_dword v0, v[8:9], off offset:20 glc
	s_waitcnt vmcnt(0)
	buffer_wbinvl1_vol
	v_and_b32_e32 v0, 1, v0
	s_branch .LBB8_255
.LBB8_260:
	s_and_saveexec_b64 s[18:19], s[4:5]
	s_cbranch_execz .LBB8_263
; %bb.261:
	v_mov_b32_e32 v6, 0
	global_load_dwordx2 v[2:3], v6, s[6:7] offset:40
	global_load_dwordx2 v[7:8], v6, s[6:7] offset:24 glc
	global_load_dwordx2 v[4:5], v6, s[6:7]
	v_mov_b32_e32 v1, s17
	s_mov_b64 s[4:5], 0
	s_waitcnt vmcnt(2)
	v_add_co_u32_e32 v9, vcc, 1, v2
	v_addc_co_u32_e32 v10, vcc, 0, v3, vcc
	v_add_co_u32_e32 v0, vcc, s16, v9
	v_addc_co_u32_e32 v1, vcc, v10, v1, vcc
	v_cmp_eq_u64_e32 vcc, 0, v[0:1]
	v_cndmask_b32_e32 v1, v1, v10, vcc
	v_cndmask_b32_e32 v0, v0, v9, vcc
	v_and_b32_e32 v3, v1, v3
	v_and_b32_e32 v2, v0, v2
	v_mul_lo_u32 v3, v3, 24
	v_mul_hi_u32 v9, v2, 24
	v_mul_lo_u32 v10, v2, 24
	s_waitcnt vmcnt(1)
	v_mov_b32_e32 v2, v7
	v_add_u32_e32 v3, v9, v3
	s_waitcnt vmcnt(0)
	v_add_co_u32_e32 v4, vcc, v4, v10
	v_addc_co_u32_e32 v5, vcc, v5, v3, vcc
	global_store_dwordx2 v[4:5], v[7:8], off
	v_mov_b32_e32 v3, v8
	s_waitcnt vmcnt(0)
	global_atomic_cmpswap_x2 v[2:3], v6, v[0:3], s[6:7] offset:24 glc
	s_waitcnt vmcnt(0)
	v_cmp_ne_u64_e32 vcc, v[2:3], v[7:8]
	s_and_b64 exec, exec, vcc
	s_cbranch_execz .LBB8_263
.LBB8_262:                              ; =>This Inner Loop Header: Depth=1
	s_sleep 1
	global_store_dwordx2 v[4:5], v[2:3], off
	s_waitcnt vmcnt(0)
	global_atomic_cmpswap_x2 v[7:8], v6, v[0:3], s[6:7] offset:24 glc
	s_waitcnt vmcnt(0)
	v_cmp_eq_u64_e32 vcc, v[7:8], v[2:3]
	v_mov_b32_e32 v2, v7
	s_or_b64 s[4:5], vcc, s[4:5]
	v_mov_b32_e32 v3, v8
	s_andn2_b64 exec, exec, s[4:5]
	s_cbranch_execnz .LBB8_262
.LBB8_263:
	s_or_b64 exec, exec, s[18:19]
.LBB8_264:
	v_readfirstlane_b32 s4, v32
	s_waitcnt vmcnt(0)
	v_mov_b32_e32 v5, 0
	v_mov_b32_e32 v6, 0
	v_cmp_eq_u32_e64 s[4:5], s4, v32
	s_and_saveexec_b64 s[16:17], s[4:5]
	s_cbranch_execz .LBB8_270
; %bb.265:
	v_mov_b32_e32 v0, 0
	global_load_dwordx2 v[3:4], v0, s[6:7] offset:24 glc
	s_waitcnt vmcnt(0)
	buffer_wbinvl1_vol
	global_load_dwordx2 v[1:2], v0, s[6:7] offset:40
	global_load_dwordx2 v[5:6], v0, s[6:7]
	s_waitcnt vmcnt(1)
	v_and_b32_e32 v1, v1, v3
	v_and_b32_e32 v2, v2, v4
	v_mul_lo_u32 v2, v2, 24
	v_mul_hi_u32 v7, v1, 24
	v_mul_lo_u32 v1, v1, 24
	v_add_u32_e32 v2, v7, v2
	s_waitcnt vmcnt(0)
	v_add_co_u32_e32 v1, vcc, v5, v1
	v_addc_co_u32_e32 v2, vcc, v6, v2, vcc
	global_load_dwordx2 v[1:2], v[1:2], off glc
	s_waitcnt vmcnt(0)
	global_atomic_cmpswap_x2 v[5:6], v0, v[1:4], s[6:7] offset:24 glc
	s_waitcnt vmcnt(0)
	buffer_wbinvl1_vol
	v_cmp_ne_u64_e32 vcc, v[5:6], v[3:4]
	s_and_saveexec_b64 s[18:19], vcc
	s_cbranch_execz .LBB8_269
; %bb.266:
	s_mov_b64 s[20:21], 0
.LBB8_267:                              ; =>This Inner Loop Header: Depth=1
	s_sleep 1
	global_load_dwordx2 v[1:2], v0, s[6:7] offset:40
	global_load_dwordx2 v[7:8], v0, s[6:7]
	v_mov_b32_e32 v3, v5
	v_mov_b32_e32 v4, v6
	s_waitcnt vmcnt(1)
	v_and_b32_e32 v1, v1, v3
	s_waitcnt vmcnt(0)
	v_mad_u64_u32 v[5:6], s[22:23], v1, 24, v[7:8]
	v_and_b32_e32 v2, v2, v4
	v_mov_b32_e32 v1, v6
	v_mad_u64_u32 v[1:2], s[22:23], v2, 24, v[1:2]
	v_mov_b32_e32 v6, v1
	global_load_dwordx2 v[1:2], v[5:6], off glc
	s_waitcnt vmcnt(0)
	global_atomic_cmpswap_x2 v[5:6], v0, v[1:4], s[6:7] offset:24 glc
	s_waitcnt vmcnt(0)
	buffer_wbinvl1_vol
	v_cmp_eq_u64_e32 vcc, v[5:6], v[3:4]
	s_or_b64 s[20:21], vcc, s[20:21]
	s_andn2_b64 exec, exec, s[20:21]
	s_cbranch_execnz .LBB8_267
; %bb.268:
	s_or_b64 exec, exec, s[20:21]
.LBB8_269:
	s_or_b64 exec, exec, s[18:19]
.LBB8_270:
	s_or_b64 exec, exec, s[16:17]
	v_mov_b32_e32 v4, 0
	global_load_dwordx2 v[7:8], v4, s[6:7] offset:40
	global_load_dwordx4 v[0:3], v4, s[6:7]
	v_readfirstlane_b32 s16, v5
	v_readfirstlane_b32 s17, v6
	s_mov_b64 s[18:19], exec
	s_waitcnt vmcnt(1)
	v_readfirstlane_b32 s20, v7
	v_readfirstlane_b32 s21, v8
	s_and_b64 s[20:21], s[16:17], s[20:21]
	s_mul_i32 s15, s21, 24
	s_mul_hi_u32 s22, s20, 24
	s_mul_i32 s23, s20, 24
	s_add_i32 s15, s22, s15
	v_mov_b32_e32 v5, s15
	s_waitcnt vmcnt(0)
	v_add_co_u32_e32 v7, vcc, s23, v0
	v_addc_co_u32_e32 v8, vcc, v1, v5, vcc
	s_and_saveexec_b64 s[22:23], s[4:5]
	s_cbranch_execz .LBB8_272
; %bb.271:
	v_mov_b32_e32 v9, s18
	v_mov_b32_e32 v10, s19
	;; [unrolled: 1-line block ×4, first 2 shown]
	global_store_dwordx4 v[7:8], v[9:12], off offset:8
.LBB8_272:
	s_or_b64 exec, exec, s[22:23]
	s_lshl_b64 s[18:19], s[20:21], 12
	v_mov_b32_e32 v5, s19
	v_add_co_u32_e32 v2, vcc, s18, v2
	v_addc_co_u32_e32 v11, vcc, v3, v5, vcc
	s_mov_b32 s20, 0
	v_mov_b32_e32 v3, 33
	v_mov_b32_e32 v5, v4
	;; [unrolled: 1-line block ×3, first 2 shown]
	v_readfirstlane_b32 s18, v2
	v_readfirstlane_b32 s19, v11
	v_add_co_u32_e32 v9, vcc, v2, v31
	s_mov_b32 s21, s20
	s_mov_b32 s22, s20
	s_mov_b32 s23, s20
	s_nop 0
	global_store_dwordx4 v31, v[3:6], s[18:19]
	v_mov_b32_e32 v2, s20
	v_addc_co_u32_e32 v10, vcc, 0, v11, vcc
	v_mov_b32_e32 v3, s21
	v_mov_b32_e32 v4, s22
	;; [unrolled: 1-line block ×3, first 2 shown]
	global_store_dwordx4 v31, v[2:5], s[18:19] offset:16
	global_store_dwordx4 v31, v[2:5], s[18:19] offset:32
	;; [unrolled: 1-line block ×3, first 2 shown]
	s_and_saveexec_b64 s[18:19], s[4:5]
	s_cbranch_execz .LBB8_280
; %bb.273:
	v_mov_b32_e32 v6, 0
	global_load_dwordx2 v[13:14], v6, s[6:7] offset:32 glc
	global_load_dwordx2 v[2:3], v6, s[6:7] offset:40
	v_mov_b32_e32 v11, s16
	v_mov_b32_e32 v12, s17
	s_waitcnt vmcnt(0)
	v_readfirstlane_b32 s20, v2
	v_readfirstlane_b32 s21, v3
	s_and_b64 s[20:21], s[20:21], s[16:17]
	s_mul_i32 s15, s21, 24
	s_mul_hi_u32 s21, s20, 24
	s_mul_i32 s20, s20, 24
	s_add_i32 s15, s21, s15
	v_mov_b32_e32 v2, s15
	v_add_co_u32_e32 v4, vcc, s20, v0
	v_addc_co_u32_e32 v5, vcc, v1, v2, vcc
	global_store_dwordx2 v[4:5], v[13:14], off
	s_waitcnt vmcnt(0)
	global_atomic_cmpswap_x2 v[2:3], v6, v[11:14], s[6:7] offset:32 glc
	s_waitcnt vmcnt(0)
	v_cmp_ne_u64_e32 vcc, v[2:3], v[13:14]
	s_and_saveexec_b64 s[20:21], vcc
	s_cbranch_execz .LBB8_276
; %bb.274:
	s_mov_b64 s[22:23], 0
.LBB8_275:                              ; =>This Inner Loop Header: Depth=1
	s_sleep 1
	global_store_dwordx2 v[4:5], v[2:3], off
	v_mov_b32_e32 v0, s16
	v_mov_b32_e32 v1, s17
	s_waitcnt vmcnt(0)
	global_atomic_cmpswap_x2 v[0:1], v6, v[0:3], s[6:7] offset:32 glc
	s_waitcnt vmcnt(0)
	v_cmp_eq_u64_e32 vcc, v[0:1], v[2:3]
	v_mov_b32_e32 v3, v1
	s_or_b64 s[22:23], vcc, s[22:23]
	v_mov_b32_e32 v2, v0
	s_andn2_b64 exec, exec, s[22:23]
	s_cbranch_execnz .LBB8_275
.LBB8_276:
	s_or_b64 exec, exec, s[20:21]
	v_mov_b32_e32 v3, 0
	global_load_dwordx2 v[0:1], v3, s[6:7] offset:16
	s_mov_b64 s[20:21], exec
	v_mbcnt_lo_u32_b32 v2, s20, 0
	v_mbcnt_hi_u32_b32 v2, s21, v2
	v_cmp_eq_u32_e32 vcc, 0, v2
	s_and_saveexec_b64 s[22:23], vcc
	s_cbranch_execz .LBB8_278
; %bb.277:
	s_bcnt1_i32_b64 s15, s[20:21]
	v_mov_b32_e32 v2, s15
	s_waitcnt vmcnt(0)
	global_atomic_add_x2 v[0:1], v[2:3], off offset:8
.LBB8_278:
	s_or_b64 exec, exec, s[22:23]
	s_waitcnt vmcnt(0)
	global_load_dwordx2 v[2:3], v[0:1], off offset:16
	s_waitcnt vmcnt(0)
	v_cmp_eq_u64_e32 vcc, 0, v[2:3]
	s_cbranch_vccnz .LBB8_280
; %bb.279:
	global_load_dword v0, v[0:1], off offset:24
	v_mov_b32_e32 v1, 0
	s_waitcnt vmcnt(0)
	global_store_dwordx2 v[2:3], v[0:1], off
	v_and_b32_e32 v0, 0xffffff, v0
	v_readfirstlane_b32 m0, v0
	s_sendmsg sendmsg(MSG_INTERRUPT)
.LBB8_280:
	s_or_b64 exec, exec, s[18:19]
	s_branch .LBB8_284
.LBB8_281:                              ;   in Loop: Header=BB8_284 Depth=1
	s_or_b64 exec, exec, s[18:19]
	v_readfirstlane_b32 s15, v0
	s_cmp_eq_u32 s15, 0
	s_cbranch_scc1 .LBB8_283
; %bb.282:                              ;   in Loop: Header=BB8_284 Depth=1
	s_sleep 1
	s_cbranch_execnz .LBB8_284
	s_branch .LBB8_286
.LBB8_283:
	s_branch .LBB8_286
.LBB8_284:                              ; =>This Inner Loop Header: Depth=1
	v_mov_b32_e32 v0, 1
	s_and_saveexec_b64 s[18:19], s[4:5]
	s_cbranch_execz .LBB8_281
; %bb.285:                              ;   in Loop: Header=BB8_284 Depth=1
	global_load_dword v0, v[7:8], off offset:20 glc
	s_waitcnt vmcnt(0)
	buffer_wbinvl1_vol
	v_and_b32_e32 v0, 1, v0
	s_branch .LBB8_281
.LBB8_286:
	global_load_dwordx2 v[0:1], v[9:10], off
	s_and_saveexec_b64 s[18:19], s[4:5]
	s_cbranch_execz .LBB8_289
; %bb.287:
	v_mov_b32_e32 v8, 0
	global_load_dwordx2 v[4:5], v8, s[6:7] offset:40
	global_load_dwordx2 v[9:10], v8, s[6:7] offset:24 glc
	global_load_dwordx2 v[6:7], v8, s[6:7]
	v_mov_b32_e32 v3, s17
	s_mov_b64 s[4:5], 0
	s_waitcnt vmcnt(2)
	v_add_co_u32_e32 v11, vcc, 1, v4
	v_addc_co_u32_e32 v12, vcc, 0, v5, vcc
	v_add_co_u32_e32 v2, vcc, s16, v11
	v_addc_co_u32_e32 v3, vcc, v12, v3, vcc
	v_cmp_eq_u64_e32 vcc, 0, v[2:3]
	v_cndmask_b32_e32 v3, v3, v12, vcc
	v_cndmask_b32_e32 v2, v2, v11, vcc
	v_and_b32_e32 v5, v3, v5
	v_and_b32_e32 v4, v2, v4
	v_mul_lo_u32 v5, v5, 24
	v_mul_hi_u32 v11, v4, 24
	v_mul_lo_u32 v12, v4, 24
	s_waitcnt vmcnt(1)
	v_mov_b32_e32 v4, v9
	v_add_u32_e32 v5, v11, v5
	s_waitcnt vmcnt(0)
	v_add_co_u32_e32 v6, vcc, v6, v12
	v_addc_co_u32_e32 v7, vcc, v7, v5, vcc
	global_store_dwordx2 v[6:7], v[9:10], off
	v_mov_b32_e32 v5, v10
	s_waitcnt vmcnt(0)
	global_atomic_cmpswap_x2 v[4:5], v8, v[2:5], s[6:7] offset:24 glc
	s_waitcnt vmcnt(0)
	v_cmp_ne_u64_e32 vcc, v[4:5], v[9:10]
	s_and_b64 exec, exec, vcc
	s_cbranch_execz .LBB8_289
.LBB8_288:                              ; =>This Inner Loop Header: Depth=1
	s_sleep 1
	global_store_dwordx2 v[6:7], v[4:5], off
	s_waitcnt vmcnt(0)
	global_atomic_cmpswap_x2 v[9:10], v8, v[2:5], s[6:7] offset:24 glc
	s_waitcnt vmcnt(0)
	v_cmp_eq_u64_e32 vcc, v[9:10], v[4:5]
	v_mov_b32_e32 v4, v9
	s_or_b64 s[4:5], vcc, s[4:5]
	v_mov_b32_e32 v5, v10
	s_andn2_b64 exec, exec, s[4:5]
	s_cbranch_execnz .LBB8_288
.LBB8_289:
	s_or_b64 exec, exec, s[18:19]
	s_getpc_b64 s[18:19]
	s_add_u32 s18, s18, .str.6@rel32@lo+4
	s_addc_u32 s19, s19, .str.6@rel32@hi+12
	s_cmp_lg_u64 s[18:19], 0
	s_cselect_b64 s[16:17], -1, 0
	s_and_b64 vcc, exec, s[16:17]
	s_cbranch_vccz .LBB8_374
; %bb.290:
	s_waitcnt vmcnt(0)
	v_and_b32_e32 v33, 2, v0
	v_mov_b32_e32 v28, 0
	v_and_b32_e32 v2, -3, v0
	v_mov_b32_e32 v3, v1
	s_mov_b64 s[20:21], 3
	v_mov_b32_e32 v6, 2
	v_mov_b32_e32 v7, 1
	s_branch .LBB8_292
.LBB8_291:                              ;   in Loop: Header=BB8_292 Depth=1
	s_or_b64 exec, exec, s[26:27]
	s_sub_u32 s20, s20, s22
	s_subb_u32 s21, s21, s23
	s_add_u32 s18, s18, s22
	s_addc_u32 s19, s19, s23
	s_cmp_lg_u64 s[20:21], 0
	s_cbranch_scc0 .LBB8_373
.LBB8_292:                              ; =>This Loop Header: Depth=1
                                        ;     Child Loop BB8_295 Depth 2
                                        ;     Child Loop BB8_302 Depth 2
	;; [unrolled: 1-line block ×11, first 2 shown]
	v_cmp_lt_u64_e64 s[4:5], s[20:21], 56
	v_cmp_gt_u64_e64 s[24:25], s[20:21], 7
	s_and_b64 s[4:5], s[4:5], exec
	s_cselect_b32 s23, s21, 0
	s_cselect_b32 s22, s20, 56
	s_and_b64 vcc, exec, s[24:25]
	s_cbranch_vccnz .LBB8_297
; %bb.293:                              ;   in Loop: Header=BB8_292 Depth=1
	v_mov_b32_e32 v10, 0
	s_cmp_eq_u64 s[20:21], 0
	v_mov_b32_e32 v11, 0
	s_mov_b64 s[4:5], 0
	s_cbranch_scc1 .LBB8_296
; %bb.294:                              ;   in Loop: Header=BB8_292 Depth=1
	v_mov_b32_e32 v10, 0
	s_lshl_b64 s[24:25], s[22:23], 3
	s_mov_b64 s[26:27], 0
	v_mov_b32_e32 v11, 0
	s_mov_b64 s[28:29], s[18:19]
.LBB8_295:                              ;   Parent Loop BB8_292 Depth=1
                                        ; =>  This Inner Loop Header: Depth=2
	global_load_ubyte v4, v28, s[28:29]
	s_waitcnt vmcnt(0)
	v_and_b32_e32 v27, 0xffff, v4
	v_lshlrev_b64 v[4:5], s26, v[27:28]
	s_add_u32 s26, s26, 8
	s_addc_u32 s27, s27, 0
	s_add_u32 s28, s28, 1
	s_addc_u32 s29, s29, 0
	v_or_b32_e32 v10, v4, v10
	s_cmp_lg_u32 s24, s26
	v_or_b32_e32 v11, v5, v11
	s_cbranch_scc1 .LBB8_295
.LBB8_296:                              ;   in Loop: Header=BB8_292 Depth=1
	s_mov_b32 s15, 0
	s_andn2_b64 vcc, exec, s[4:5]
	s_mov_b64 s[4:5], s[18:19]
	s_cbranch_vccz .LBB8_298
	s_branch .LBB8_299
.LBB8_297:                              ;   in Loop: Header=BB8_292 Depth=1
                                        ; implicit-def: $vgpr10_vgpr11
                                        ; implicit-def: $sgpr15
	s_mov_b64 s[4:5], s[18:19]
.LBB8_298:                              ;   in Loop: Header=BB8_292 Depth=1
	global_load_dwordx2 v[10:11], v28, s[18:19]
	s_add_i32 s15, s22, -8
	s_add_u32 s4, s18, 8
	s_addc_u32 s5, s19, 0
.LBB8_299:                              ;   in Loop: Header=BB8_292 Depth=1
	s_cmp_gt_u32 s15, 7
	s_cbranch_scc1 .LBB8_303
; %bb.300:                              ;   in Loop: Header=BB8_292 Depth=1
	s_cmp_eq_u32 s15, 0
	s_cbranch_scc1 .LBB8_304
; %bb.301:                              ;   in Loop: Header=BB8_292 Depth=1
	v_mov_b32_e32 v12, 0
	s_mov_b64 s[24:25], 0
	v_mov_b32_e32 v13, 0
	s_mov_b64 s[26:27], 0
.LBB8_302:                              ;   Parent Loop BB8_292 Depth=1
                                        ; =>  This Inner Loop Header: Depth=2
	s_add_u32 s28, s4, s26
	s_addc_u32 s29, s5, s27
	global_load_ubyte v4, v28, s[28:29]
	s_add_u32 s26, s26, 1
	s_addc_u32 s27, s27, 0
	s_waitcnt vmcnt(0)
	v_and_b32_e32 v27, 0xffff, v4
	v_lshlrev_b64 v[4:5], s24, v[27:28]
	s_add_u32 s24, s24, 8
	s_addc_u32 s25, s25, 0
	v_or_b32_e32 v12, v4, v12
	s_cmp_lg_u32 s15, s26
	v_or_b32_e32 v13, v5, v13
	s_cbranch_scc1 .LBB8_302
	s_branch .LBB8_305
.LBB8_303:                              ;   in Loop: Header=BB8_292 Depth=1
                                        ; implicit-def: $vgpr12_vgpr13
                                        ; implicit-def: $sgpr28
	s_branch .LBB8_306
.LBB8_304:                              ;   in Loop: Header=BB8_292 Depth=1
	v_mov_b32_e32 v12, 0
	v_mov_b32_e32 v13, 0
.LBB8_305:                              ;   in Loop: Header=BB8_292 Depth=1
	s_mov_b32 s28, 0
	s_cbranch_execnz .LBB8_307
.LBB8_306:                              ;   in Loop: Header=BB8_292 Depth=1
	global_load_dwordx2 v[12:13], v28, s[4:5]
	s_add_i32 s28, s15, -8
	s_add_u32 s4, s4, 8
	s_addc_u32 s5, s5, 0
.LBB8_307:                              ;   in Loop: Header=BB8_292 Depth=1
	s_cmp_gt_u32 s28, 7
	s_cbranch_scc1 .LBB8_311
; %bb.308:                              ;   in Loop: Header=BB8_292 Depth=1
	s_cmp_eq_u32 s28, 0
	s_cbranch_scc1 .LBB8_312
; %bb.309:                              ;   in Loop: Header=BB8_292 Depth=1
	v_mov_b32_e32 v14, 0
	s_mov_b64 s[24:25], 0
	v_mov_b32_e32 v15, 0
	s_mov_b64 s[26:27], 0
.LBB8_310:                              ;   Parent Loop BB8_292 Depth=1
                                        ; =>  This Inner Loop Header: Depth=2
	s_add_u32 vcc_lo, s4, s26
	s_addc_u32 vcc_hi, s5, s27
	global_load_ubyte v4, v28, vcc
	s_add_u32 s26, s26, 1
	s_addc_u32 s27, s27, 0
	s_waitcnt vmcnt(0)
	v_and_b32_e32 v27, 0xffff, v4
	v_lshlrev_b64 v[4:5], s24, v[27:28]
	s_add_u32 s24, s24, 8
	s_addc_u32 s25, s25, 0
	v_or_b32_e32 v14, v4, v14
	s_cmp_lg_u32 s28, s26
	v_or_b32_e32 v15, v5, v15
	s_cbranch_scc1 .LBB8_310
	s_branch .LBB8_313
.LBB8_311:                              ;   in Loop: Header=BB8_292 Depth=1
                                        ; implicit-def: $sgpr15
	s_branch .LBB8_314
.LBB8_312:                              ;   in Loop: Header=BB8_292 Depth=1
	v_mov_b32_e32 v14, 0
	v_mov_b32_e32 v15, 0
.LBB8_313:                              ;   in Loop: Header=BB8_292 Depth=1
	s_mov_b32 s15, 0
	s_cbranch_execnz .LBB8_315
.LBB8_314:                              ;   in Loop: Header=BB8_292 Depth=1
	global_load_dwordx2 v[14:15], v28, s[4:5]
	s_add_i32 s15, s28, -8
	s_add_u32 s4, s4, 8
	s_addc_u32 s5, s5, 0
.LBB8_315:                              ;   in Loop: Header=BB8_292 Depth=1
	s_cmp_gt_u32 s15, 7
	s_cbranch_scc1 .LBB8_319
; %bb.316:                              ;   in Loop: Header=BB8_292 Depth=1
	s_cmp_eq_u32 s15, 0
	s_cbranch_scc1 .LBB8_320
; %bb.317:                              ;   in Loop: Header=BB8_292 Depth=1
	v_mov_b32_e32 v16, 0
	s_mov_b64 s[24:25], 0
	v_mov_b32_e32 v17, 0
	s_mov_b64 s[26:27], 0
.LBB8_318:                              ;   Parent Loop BB8_292 Depth=1
                                        ; =>  This Inner Loop Header: Depth=2
	s_add_u32 s28, s4, s26
	s_addc_u32 s29, s5, s27
	global_load_ubyte v4, v28, s[28:29]
	s_add_u32 s26, s26, 1
	s_addc_u32 s27, s27, 0
	s_waitcnt vmcnt(0)
	v_and_b32_e32 v27, 0xffff, v4
	v_lshlrev_b64 v[4:5], s24, v[27:28]
	s_add_u32 s24, s24, 8
	s_addc_u32 s25, s25, 0
	v_or_b32_e32 v16, v4, v16
	s_cmp_lg_u32 s15, s26
	v_or_b32_e32 v17, v5, v17
	s_cbranch_scc1 .LBB8_318
	s_branch .LBB8_321
.LBB8_319:                              ;   in Loop: Header=BB8_292 Depth=1
                                        ; implicit-def: $vgpr16_vgpr17
                                        ; implicit-def: $sgpr28
	s_branch .LBB8_322
.LBB8_320:                              ;   in Loop: Header=BB8_292 Depth=1
	v_mov_b32_e32 v16, 0
	v_mov_b32_e32 v17, 0
.LBB8_321:                              ;   in Loop: Header=BB8_292 Depth=1
	s_mov_b32 s28, 0
	s_cbranch_execnz .LBB8_323
.LBB8_322:                              ;   in Loop: Header=BB8_292 Depth=1
	global_load_dwordx2 v[16:17], v28, s[4:5]
	s_add_i32 s28, s15, -8
	s_add_u32 s4, s4, 8
	s_addc_u32 s5, s5, 0
.LBB8_323:                              ;   in Loop: Header=BB8_292 Depth=1
	s_cmp_gt_u32 s28, 7
	s_cbranch_scc1 .LBB8_327
; %bb.324:                              ;   in Loop: Header=BB8_292 Depth=1
	s_cmp_eq_u32 s28, 0
	s_cbranch_scc1 .LBB8_328
; %bb.325:                              ;   in Loop: Header=BB8_292 Depth=1
	v_mov_b32_e32 v18, 0
	s_mov_b64 s[24:25], 0
	v_mov_b32_e32 v19, 0
	s_mov_b64 s[26:27], 0
.LBB8_326:                              ;   Parent Loop BB8_292 Depth=1
                                        ; =>  This Inner Loop Header: Depth=2
	s_add_u32 vcc_lo, s4, s26
	s_addc_u32 vcc_hi, s5, s27
	global_load_ubyte v4, v28, vcc
	s_add_u32 s26, s26, 1
	s_addc_u32 s27, s27, 0
	s_waitcnt vmcnt(0)
	v_and_b32_e32 v27, 0xffff, v4
	v_lshlrev_b64 v[4:5], s24, v[27:28]
	s_add_u32 s24, s24, 8
	s_addc_u32 s25, s25, 0
	v_or_b32_e32 v18, v4, v18
	s_cmp_lg_u32 s28, s26
	v_or_b32_e32 v19, v5, v19
	s_cbranch_scc1 .LBB8_326
	s_branch .LBB8_329
.LBB8_327:                              ;   in Loop: Header=BB8_292 Depth=1
                                        ; implicit-def: $sgpr15
	s_branch .LBB8_330
.LBB8_328:                              ;   in Loop: Header=BB8_292 Depth=1
	v_mov_b32_e32 v18, 0
	v_mov_b32_e32 v19, 0
.LBB8_329:                              ;   in Loop: Header=BB8_292 Depth=1
	s_mov_b32 s15, 0
	s_cbranch_execnz .LBB8_331
.LBB8_330:                              ;   in Loop: Header=BB8_292 Depth=1
	global_load_dwordx2 v[18:19], v28, s[4:5]
	s_add_i32 s15, s28, -8
	s_add_u32 s4, s4, 8
	s_addc_u32 s5, s5, 0
.LBB8_331:                              ;   in Loop: Header=BB8_292 Depth=1
	s_cmp_gt_u32 s15, 7
	s_cbranch_scc1 .LBB8_335
; %bb.332:                              ;   in Loop: Header=BB8_292 Depth=1
	s_cmp_eq_u32 s15, 0
	s_cbranch_scc1 .LBB8_336
; %bb.333:                              ;   in Loop: Header=BB8_292 Depth=1
	v_mov_b32_e32 v20, 0
	s_mov_b64 s[24:25], 0
	v_mov_b32_e32 v21, 0
	s_mov_b64 s[26:27], 0
.LBB8_334:                              ;   Parent Loop BB8_292 Depth=1
                                        ; =>  This Inner Loop Header: Depth=2
	s_add_u32 s28, s4, s26
	s_addc_u32 s29, s5, s27
	global_load_ubyte v4, v28, s[28:29]
	s_add_u32 s26, s26, 1
	s_addc_u32 s27, s27, 0
	s_waitcnt vmcnt(0)
	v_and_b32_e32 v27, 0xffff, v4
	v_lshlrev_b64 v[4:5], s24, v[27:28]
	s_add_u32 s24, s24, 8
	s_addc_u32 s25, s25, 0
	v_or_b32_e32 v20, v4, v20
	s_cmp_lg_u32 s15, s26
	v_or_b32_e32 v21, v5, v21
	s_cbranch_scc1 .LBB8_334
	s_branch .LBB8_337
.LBB8_335:                              ;   in Loop: Header=BB8_292 Depth=1
                                        ; implicit-def: $vgpr20_vgpr21
                                        ; implicit-def: $sgpr28
	s_branch .LBB8_338
.LBB8_336:                              ;   in Loop: Header=BB8_292 Depth=1
	v_mov_b32_e32 v20, 0
	v_mov_b32_e32 v21, 0
.LBB8_337:                              ;   in Loop: Header=BB8_292 Depth=1
	s_mov_b32 s28, 0
	s_cbranch_execnz .LBB8_339
.LBB8_338:                              ;   in Loop: Header=BB8_292 Depth=1
	global_load_dwordx2 v[20:21], v28, s[4:5]
	s_add_i32 s28, s15, -8
	s_add_u32 s4, s4, 8
	s_addc_u32 s5, s5, 0
.LBB8_339:                              ;   in Loop: Header=BB8_292 Depth=1
	s_cmp_gt_u32 s28, 7
	s_cbranch_scc1 .LBB8_343
; %bb.340:                              ;   in Loop: Header=BB8_292 Depth=1
	s_cmp_eq_u32 s28, 0
	s_cbranch_scc1 .LBB8_344
; %bb.341:                              ;   in Loop: Header=BB8_292 Depth=1
	v_mov_b32_e32 v22, 0
	s_mov_b64 s[24:25], 0
	v_mov_b32_e32 v23, 0
	s_mov_b64 s[26:27], s[4:5]
.LBB8_342:                              ;   Parent Loop BB8_292 Depth=1
                                        ; =>  This Inner Loop Header: Depth=2
	global_load_ubyte v4, v28, s[26:27]
	s_add_i32 s28, s28, -1
	s_waitcnt vmcnt(0)
	v_and_b32_e32 v27, 0xffff, v4
	v_lshlrev_b64 v[4:5], s24, v[27:28]
	s_add_u32 s24, s24, 8
	s_addc_u32 s25, s25, 0
	s_add_u32 s26, s26, 1
	s_addc_u32 s27, s27, 0
	v_or_b32_e32 v22, v4, v22
	s_cmp_lg_u32 s28, 0
	v_or_b32_e32 v23, v5, v23
	s_cbranch_scc1 .LBB8_342
	s_branch .LBB8_345
.LBB8_343:                              ;   in Loop: Header=BB8_292 Depth=1
	s_branch .LBB8_346
.LBB8_344:                              ;   in Loop: Header=BB8_292 Depth=1
	v_mov_b32_e32 v22, 0
	v_mov_b32_e32 v23, 0
.LBB8_345:                              ;   in Loop: Header=BB8_292 Depth=1
	s_cbranch_execnz .LBB8_347
.LBB8_346:                              ;   in Loop: Header=BB8_292 Depth=1
	global_load_dwordx2 v[22:23], v28, s[4:5]
.LBB8_347:                              ;   in Loop: Header=BB8_292 Depth=1
	v_readfirstlane_b32 s4, v32
	s_waitcnt vmcnt(0)
	v_mov_b32_e32 v4, 0
	v_mov_b32_e32 v5, 0
	v_cmp_eq_u32_e64 s[4:5], s4, v32
	s_and_saveexec_b64 s[24:25], s[4:5]
	s_cbranch_execz .LBB8_353
; %bb.348:                              ;   in Loop: Header=BB8_292 Depth=1
	global_load_dwordx2 v[26:27], v28, s[6:7] offset:24 glc
	s_waitcnt vmcnt(0)
	buffer_wbinvl1_vol
	global_load_dwordx2 v[4:5], v28, s[6:7] offset:40
	global_load_dwordx2 v[8:9], v28, s[6:7]
	s_waitcnt vmcnt(1)
	v_and_b32_e32 v4, v4, v26
	v_and_b32_e32 v5, v5, v27
	v_mul_lo_u32 v5, v5, 24
	v_mul_hi_u32 v24, v4, 24
	v_mul_lo_u32 v4, v4, 24
	v_add_u32_e32 v5, v24, v5
	s_waitcnt vmcnt(0)
	v_add_co_u32_e32 v4, vcc, v8, v4
	v_addc_co_u32_e32 v5, vcc, v9, v5, vcc
	global_load_dwordx2 v[24:25], v[4:5], off glc
	s_waitcnt vmcnt(0)
	global_atomic_cmpswap_x2 v[4:5], v28, v[24:27], s[6:7] offset:24 glc
	s_waitcnt vmcnt(0)
	buffer_wbinvl1_vol
	v_cmp_ne_u64_e32 vcc, v[4:5], v[26:27]
	s_and_saveexec_b64 s[26:27], vcc
	s_cbranch_execz .LBB8_352
; %bb.349:                              ;   in Loop: Header=BB8_292 Depth=1
	s_mov_b64 s[28:29], 0
.LBB8_350:                              ;   Parent Loop BB8_292 Depth=1
                                        ; =>  This Inner Loop Header: Depth=2
	s_sleep 1
	global_load_dwordx2 v[8:9], v28, s[6:7] offset:40
	global_load_dwordx2 v[24:25], v28, s[6:7]
	v_mov_b32_e32 v27, v5
	v_mov_b32_e32 v26, v4
	s_waitcnt vmcnt(1)
	v_and_b32_e32 v4, v8, v26
	s_waitcnt vmcnt(0)
	v_mad_u64_u32 v[4:5], vcc, v4, 24, v[24:25]
	v_and_b32_e32 v8, v9, v27
	v_mad_u64_u32 v[8:9], vcc, v8, 24, v[5:6]
	v_mov_b32_e32 v5, v8
	global_load_dwordx2 v[24:25], v[4:5], off glc
	s_waitcnt vmcnt(0)
	global_atomic_cmpswap_x2 v[4:5], v28, v[24:27], s[6:7] offset:24 glc
	s_waitcnt vmcnt(0)
	buffer_wbinvl1_vol
	v_cmp_eq_u64_e32 vcc, v[4:5], v[26:27]
	s_or_b64 s[28:29], vcc, s[28:29]
	s_andn2_b64 exec, exec, s[28:29]
	s_cbranch_execnz .LBB8_350
; %bb.351:                              ;   in Loop: Header=BB8_292 Depth=1
	s_or_b64 exec, exec, s[28:29]
.LBB8_352:                              ;   in Loop: Header=BB8_292 Depth=1
	s_or_b64 exec, exec, s[26:27]
.LBB8_353:                              ;   in Loop: Header=BB8_292 Depth=1
	s_or_b64 exec, exec, s[24:25]
	global_load_dwordx2 v[8:9], v28, s[6:7] offset:40
	global_load_dwordx4 v[24:27], v28, s[6:7]
	v_readfirstlane_b32 s24, v4
	v_readfirstlane_b32 s25, v5
	s_mov_b64 s[26:27], exec
	s_waitcnt vmcnt(1)
	v_readfirstlane_b32 s28, v8
	v_readfirstlane_b32 s29, v9
	s_and_b64 s[28:29], s[24:25], s[28:29]
	s_mul_i32 s15, s29, 24
	s_mul_hi_u32 vcc_lo, s28, 24
	s_mul_i32 vcc_hi, s28, 24
	s_add_i32 s15, vcc_lo, s15
	v_mov_b32_e32 v4, s15
	s_waitcnt vmcnt(0)
	v_add_co_u32_e32 v29, vcc, vcc_hi, v24
	v_addc_co_u32_e32 v30, vcc, v25, v4, vcc
	s_and_saveexec_b64 vcc, s[4:5]
	s_cbranch_execz .LBB8_355
; %bb.354:                              ;   in Loop: Header=BB8_292 Depth=1
	v_mov_b32_e32 v4, s26
	v_mov_b32_e32 v5, s27
	global_store_dwordx4 v[29:30], v[4:7], off offset:8
.LBB8_355:                              ;   in Loop: Header=BB8_292 Depth=1
	s_or_b64 exec, exec, vcc
	s_lshl_b64 s[26:27], s[28:29], 12
	v_mov_b32_e32 v4, s27
	v_add_co_u32_e32 v26, vcc, s26, v26
	v_addc_co_u32_e32 v34, vcc, v27, v4, vcc
	v_cmp_gt_u64_e64 vcc, s[20:21], 56
	v_or_b32_e32 v5, v2, v33
	s_lshl_b32 s15, s22, 2
	v_cndmask_b32_e32 v2, v5, v2, vcc
	s_add_i32 s15, s15, 28
	v_or_b32_e32 v4, 0, v3
	s_and_b32 s15, s15, 0x1e0
	v_and_b32_e32 v2, 0xffffff1f, v2
	v_cndmask_b32_e32 v9, v4, v3, vcc
	v_or_b32_e32 v8, s15, v2
	v_readfirstlane_b32 s26, v26
	v_readfirstlane_b32 s27, v34
	s_nop 4
	global_store_dwordx4 v31, v[8:11], s[26:27]
	global_store_dwordx4 v31, v[12:15], s[26:27] offset:16
	global_store_dwordx4 v31, v[16:19], s[26:27] offset:32
	;; [unrolled: 1-line block ×3, first 2 shown]
	s_and_saveexec_b64 s[26:27], s[4:5]
	s_cbranch_execz .LBB8_363
; %bb.356:                              ;   in Loop: Header=BB8_292 Depth=1
	global_load_dwordx2 v[12:13], v28, s[6:7] offset:32 glc
	global_load_dwordx2 v[2:3], v28, s[6:7] offset:40
	v_mov_b32_e32 v10, s24
	v_mov_b32_e32 v11, s25
	s_waitcnt vmcnt(0)
	v_readfirstlane_b32 s28, v2
	v_readfirstlane_b32 s29, v3
	s_and_b64 s[28:29], s[28:29], s[24:25]
	s_mul_i32 s15, s29, 24
	s_mul_hi_u32 s29, s28, 24
	s_mul_i32 s28, s28, 24
	s_add_i32 s15, s29, s15
	v_mov_b32_e32 v2, s15
	v_add_co_u32_e32 v8, vcc, s28, v24
	v_addc_co_u32_e32 v9, vcc, v25, v2, vcc
	global_store_dwordx2 v[8:9], v[12:13], off
	s_waitcnt vmcnt(0)
	global_atomic_cmpswap_x2 v[4:5], v28, v[10:13], s[6:7] offset:32 glc
	s_waitcnt vmcnt(0)
	v_cmp_ne_u64_e32 vcc, v[4:5], v[12:13]
	s_and_saveexec_b64 s[28:29], vcc
	s_cbranch_execz .LBB8_359
; %bb.357:                              ;   in Loop: Header=BB8_292 Depth=1
	s_mov_b64 s[30:31], 0
.LBB8_358:                              ;   Parent Loop BB8_292 Depth=1
                                        ; =>  This Inner Loop Header: Depth=2
	s_sleep 1
	global_store_dwordx2 v[8:9], v[4:5], off
	v_mov_b32_e32 v2, s24
	v_mov_b32_e32 v3, s25
	s_waitcnt vmcnt(0)
	global_atomic_cmpswap_x2 v[2:3], v28, v[2:5], s[6:7] offset:32 glc
	s_waitcnt vmcnt(0)
	v_cmp_eq_u64_e32 vcc, v[2:3], v[4:5]
	v_mov_b32_e32 v5, v3
	s_or_b64 s[30:31], vcc, s[30:31]
	v_mov_b32_e32 v4, v2
	s_andn2_b64 exec, exec, s[30:31]
	s_cbranch_execnz .LBB8_358
.LBB8_359:                              ;   in Loop: Header=BB8_292 Depth=1
	s_or_b64 exec, exec, s[28:29]
	global_load_dwordx2 v[2:3], v28, s[6:7] offset:16
	s_mov_b64 s[30:31], exec
	v_mbcnt_lo_u32_b32 v4, s30, 0
	v_mbcnt_hi_u32_b32 v4, s31, v4
	v_cmp_eq_u32_e32 vcc, 0, v4
	s_and_saveexec_b64 s[28:29], vcc
	s_cbranch_execz .LBB8_361
; %bb.360:                              ;   in Loop: Header=BB8_292 Depth=1
	s_bcnt1_i32_b64 s15, s[30:31]
	v_mov_b32_e32 v27, s15
	s_waitcnt vmcnt(0)
	global_atomic_add_x2 v[2:3], v[27:28], off offset:8
.LBB8_361:                              ;   in Loop: Header=BB8_292 Depth=1
	s_or_b64 exec, exec, s[28:29]
	s_waitcnt vmcnt(0)
	global_load_dwordx2 v[4:5], v[2:3], off offset:16
	s_waitcnt vmcnt(0)
	v_cmp_eq_u64_e32 vcc, 0, v[4:5]
	s_cbranch_vccnz .LBB8_363
; %bb.362:                              ;   in Loop: Header=BB8_292 Depth=1
	global_load_dword v27, v[2:3], off offset:24
	s_waitcnt vmcnt(0)
	v_and_b32_e32 v2, 0xffffff, v27
	v_readfirstlane_b32 m0, v2
	global_store_dwordx2 v[4:5], v[27:28], off
	s_sendmsg sendmsg(MSG_INTERRUPT)
.LBB8_363:                              ;   in Loop: Header=BB8_292 Depth=1
	s_or_b64 exec, exec, s[26:27]
	v_add_co_u32_e32 v2, vcc, v26, v31
	v_addc_co_u32_e32 v3, vcc, 0, v34, vcc
	s_branch .LBB8_367
.LBB8_364:                              ;   in Loop: Header=BB8_367 Depth=2
	s_or_b64 exec, exec, s[26:27]
	v_readfirstlane_b32 s15, v4
	s_cmp_eq_u32 s15, 0
	s_cbranch_scc1 .LBB8_366
; %bb.365:                              ;   in Loop: Header=BB8_367 Depth=2
	s_sleep 1
	s_cbranch_execnz .LBB8_367
	s_branch .LBB8_369
.LBB8_366:                              ;   in Loop: Header=BB8_292 Depth=1
	s_branch .LBB8_369
.LBB8_367:                              ;   Parent Loop BB8_292 Depth=1
                                        ; =>  This Inner Loop Header: Depth=2
	v_mov_b32_e32 v4, 1
	s_and_saveexec_b64 s[26:27], s[4:5]
	s_cbranch_execz .LBB8_364
; %bb.368:                              ;   in Loop: Header=BB8_367 Depth=2
	global_load_dword v4, v[29:30], off offset:20 glc
	s_waitcnt vmcnt(0)
	buffer_wbinvl1_vol
	v_and_b32_e32 v4, 1, v4
	s_branch .LBB8_364
.LBB8_369:                              ;   in Loop: Header=BB8_292 Depth=1
	global_load_dwordx4 v[2:5], v[2:3], off
	s_and_saveexec_b64 s[26:27], s[4:5]
	s_cbranch_execz .LBB8_291
; %bb.370:                              ;   in Loop: Header=BB8_292 Depth=1
	global_load_dwordx2 v[4:5], v28, s[6:7] offset:40
	global_load_dwordx2 v[12:13], v28, s[6:7] offset:24 glc
	global_load_dwordx2 v[14:15], v28, s[6:7]
	v_mov_b32_e32 v9, s25
	s_waitcnt vmcnt(2)
	v_add_co_u32_e32 v10, vcc, 1, v4
	v_addc_co_u32_e32 v11, vcc, 0, v5, vcc
	v_add_co_u32_e32 v8, vcc, s24, v10
	v_addc_co_u32_e32 v9, vcc, v11, v9, vcc
	v_cmp_eq_u64_e32 vcc, 0, v[8:9]
	v_cndmask_b32_e32 v9, v9, v11, vcc
	v_cndmask_b32_e32 v8, v8, v10, vcc
	v_and_b32_e32 v5, v9, v5
	v_and_b32_e32 v4, v8, v4
	v_mul_lo_u32 v5, v5, 24
	v_mul_hi_u32 v11, v4, 24
	v_mul_lo_u32 v4, v4, 24
	s_waitcnt vmcnt(1)
	v_mov_b32_e32 v10, v12
	v_add_u32_e32 v5, v11, v5
	s_waitcnt vmcnt(0)
	v_add_co_u32_e32 v4, vcc, v14, v4
	v_addc_co_u32_e32 v5, vcc, v15, v5, vcc
	global_store_dwordx2 v[4:5], v[12:13], off
	v_mov_b32_e32 v11, v13
	s_waitcnt vmcnt(0)
	global_atomic_cmpswap_x2 v[10:11], v28, v[8:11], s[6:7] offset:24 glc
	s_waitcnt vmcnt(0)
	v_cmp_ne_u64_e32 vcc, v[10:11], v[12:13]
	s_and_b64 exec, exec, vcc
	s_cbranch_execz .LBB8_291
; %bb.371:                              ;   in Loop: Header=BB8_292 Depth=1
	s_mov_b64 s[4:5], 0
.LBB8_372:                              ;   Parent Loop BB8_292 Depth=1
                                        ; =>  This Inner Loop Header: Depth=2
	s_sleep 1
	global_store_dwordx2 v[4:5], v[10:11], off
	s_waitcnt vmcnt(0)
	global_atomic_cmpswap_x2 v[12:13], v28, v[8:11], s[6:7] offset:24 glc
	s_waitcnt vmcnt(0)
	v_cmp_eq_u64_e32 vcc, v[12:13], v[10:11]
	v_mov_b32_e32 v10, v12
	s_or_b64 s[4:5], vcc, s[4:5]
	v_mov_b32_e32 v11, v13
	s_andn2_b64 exec, exec, s[4:5]
	s_cbranch_execnz .LBB8_372
	s_branch .LBB8_291
.LBB8_373:
	s_branch .LBB8_401
.LBB8_374:
                                        ; implicit-def: $vgpr2_vgpr3
	s_cbranch_execz .LBB8_401
; %bb.375:
	v_readfirstlane_b32 s4, v32
	v_mov_b32_e32 v8, 0
	v_mov_b32_e32 v9, 0
	v_cmp_eq_u32_e64 s[4:5], s4, v32
	s_and_saveexec_b64 s[18:19], s[4:5]
	s_cbranch_execz .LBB8_381
; %bb.376:
	s_waitcnt vmcnt(0)
	v_mov_b32_e32 v2, 0
	global_load_dwordx2 v[5:6], v2, s[6:7] offset:24 glc
	s_waitcnt vmcnt(0)
	buffer_wbinvl1_vol
	global_load_dwordx2 v[3:4], v2, s[6:7] offset:40
	global_load_dwordx2 v[7:8], v2, s[6:7]
	s_waitcnt vmcnt(1)
	v_and_b32_e32 v3, v3, v5
	v_and_b32_e32 v4, v4, v6
	v_mul_lo_u32 v4, v4, 24
	v_mul_hi_u32 v9, v3, 24
	v_mul_lo_u32 v3, v3, 24
	v_add_u32_e32 v4, v9, v4
	s_waitcnt vmcnt(0)
	v_add_co_u32_e32 v3, vcc, v7, v3
	v_addc_co_u32_e32 v4, vcc, v8, v4, vcc
	global_load_dwordx2 v[3:4], v[3:4], off glc
	s_waitcnt vmcnt(0)
	global_atomic_cmpswap_x2 v[8:9], v2, v[3:6], s[6:7] offset:24 glc
	s_waitcnt vmcnt(0)
	buffer_wbinvl1_vol
	v_cmp_ne_u64_e32 vcc, v[8:9], v[5:6]
	s_and_saveexec_b64 s[20:21], vcc
	s_cbranch_execz .LBB8_380
; %bb.377:
	s_mov_b64 s[22:23], 0
.LBB8_378:                              ; =>This Inner Loop Header: Depth=1
	s_sleep 1
	global_load_dwordx2 v[3:4], v2, s[6:7] offset:40
	global_load_dwordx2 v[10:11], v2, s[6:7]
	v_mov_b32_e32 v5, v8
	v_mov_b32_e32 v6, v9
	s_waitcnt vmcnt(1)
	v_and_b32_e32 v3, v3, v5
	s_waitcnt vmcnt(0)
	v_mad_u64_u32 v[7:8], s[24:25], v3, 24, v[10:11]
	v_and_b32_e32 v4, v4, v6
	v_mov_b32_e32 v3, v8
	v_mad_u64_u32 v[3:4], s[24:25], v4, 24, v[3:4]
	v_mov_b32_e32 v8, v3
	global_load_dwordx2 v[3:4], v[7:8], off glc
	s_waitcnt vmcnt(0)
	global_atomic_cmpswap_x2 v[8:9], v2, v[3:6], s[6:7] offset:24 glc
	s_waitcnt vmcnt(0)
	buffer_wbinvl1_vol
	v_cmp_eq_u64_e32 vcc, v[8:9], v[5:6]
	s_or_b64 s[22:23], vcc, s[22:23]
	s_andn2_b64 exec, exec, s[22:23]
	s_cbranch_execnz .LBB8_378
; %bb.379:
	s_or_b64 exec, exec, s[22:23]
.LBB8_380:
	s_or_b64 exec, exec, s[20:21]
.LBB8_381:
	s_or_b64 exec, exec, s[18:19]
	s_waitcnt vmcnt(0)
	v_mov_b32_e32 v2, 0
	global_load_dwordx2 v[10:11], v2, s[6:7] offset:40
	global_load_dwordx4 v[4:7], v2, s[6:7]
	v_readfirstlane_b32 s18, v8
	v_readfirstlane_b32 s19, v9
	s_mov_b64 s[20:21], exec
	s_waitcnt vmcnt(1)
	v_readfirstlane_b32 s22, v10
	v_readfirstlane_b32 s23, v11
	s_and_b64 s[22:23], s[18:19], s[22:23]
	s_mul_i32 s15, s23, 24
	s_mul_hi_u32 s24, s22, 24
	s_mul_i32 s25, s22, 24
	s_add_i32 s15, s24, s15
	v_mov_b32_e32 v3, s15
	s_waitcnt vmcnt(0)
	v_add_co_u32_e32 v8, vcc, s25, v4
	v_addc_co_u32_e32 v9, vcc, v5, v3, vcc
	s_and_saveexec_b64 s[24:25], s[4:5]
	s_cbranch_execz .LBB8_383
; %bb.382:
	v_mov_b32_e32 v10, s20
	v_mov_b32_e32 v11, s21
	;; [unrolled: 1-line block ×4, first 2 shown]
	global_store_dwordx4 v[8:9], v[10:13], off offset:8
.LBB8_383:
	s_or_b64 exec, exec, s[24:25]
	s_lshl_b64 s[20:21], s[22:23], 12
	v_mov_b32_e32 v3, s21
	v_add_co_u32_e32 v10, vcc, s20, v6
	v_addc_co_u32_e32 v11, vcc, v7, v3, vcc
	s_movk_i32 s15, 0xff1f
	v_and_or_b32 v0, v0, s15, 32
	s_mov_b32 s20, 0
	v_mov_b32_e32 v3, v2
	v_readfirstlane_b32 s24, v10
	v_readfirstlane_b32 s25, v11
	v_add_co_u32_e32 v6, vcc, v10, v31
	s_mov_b32 s21, s20
	s_mov_b32 s22, s20
	;; [unrolled: 1-line block ×3, first 2 shown]
	s_nop 0
	global_store_dwordx4 v31, v[0:3], s[24:25]
	v_addc_co_u32_e32 v7, vcc, 0, v11, vcc
	v_mov_b32_e32 v0, s20
	v_mov_b32_e32 v1, s21
	;; [unrolled: 1-line block ×4, first 2 shown]
	global_store_dwordx4 v31, v[0:3], s[24:25] offset:16
	global_store_dwordx4 v31, v[0:3], s[24:25] offset:32
	;; [unrolled: 1-line block ×3, first 2 shown]
	s_and_saveexec_b64 s[20:21], s[4:5]
	s_cbranch_execz .LBB8_391
; %bb.384:
	v_mov_b32_e32 v10, 0
	global_load_dwordx2 v[13:14], v10, s[6:7] offset:32 glc
	global_load_dwordx2 v[0:1], v10, s[6:7] offset:40
	v_mov_b32_e32 v11, s18
	v_mov_b32_e32 v12, s19
	s_waitcnt vmcnt(0)
	v_readfirstlane_b32 s22, v0
	v_readfirstlane_b32 s23, v1
	s_and_b64 s[22:23], s[22:23], s[18:19]
	s_mul_i32 s15, s23, 24
	s_mul_hi_u32 s23, s22, 24
	s_mul_i32 s22, s22, 24
	s_add_i32 s15, s23, s15
	v_mov_b32_e32 v0, s15
	v_add_co_u32_e32 v4, vcc, s22, v4
	v_addc_co_u32_e32 v5, vcc, v5, v0, vcc
	global_store_dwordx2 v[4:5], v[13:14], off
	s_waitcnt vmcnt(0)
	global_atomic_cmpswap_x2 v[2:3], v10, v[11:14], s[6:7] offset:32 glc
	s_waitcnt vmcnt(0)
	v_cmp_ne_u64_e32 vcc, v[2:3], v[13:14]
	s_and_saveexec_b64 s[22:23], vcc
	s_cbranch_execz .LBB8_387
; %bb.385:
	s_mov_b64 s[24:25], 0
.LBB8_386:                              ; =>This Inner Loop Header: Depth=1
	s_sleep 1
	global_store_dwordx2 v[4:5], v[2:3], off
	v_mov_b32_e32 v0, s18
	v_mov_b32_e32 v1, s19
	s_waitcnt vmcnt(0)
	global_atomic_cmpswap_x2 v[0:1], v10, v[0:3], s[6:7] offset:32 glc
	s_waitcnt vmcnt(0)
	v_cmp_eq_u64_e32 vcc, v[0:1], v[2:3]
	v_mov_b32_e32 v3, v1
	s_or_b64 s[24:25], vcc, s[24:25]
	v_mov_b32_e32 v2, v0
	s_andn2_b64 exec, exec, s[24:25]
	s_cbranch_execnz .LBB8_386
.LBB8_387:
	s_or_b64 exec, exec, s[22:23]
	v_mov_b32_e32 v3, 0
	global_load_dwordx2 v[0:1], v3, s[6:7] offset:16
	s_mov_b64 s[22:23], exec
	v_mbcnt_lo_u32_b32 v2, s22, 0
	v_mbcnt_hi_u32_b32 v2, s23, v2
	v_cmp_eq_u32_e32 vcc, 0, v2
	s_and_saveexec_b64 s[24:25], vcc
	s_cbranch_execz .LBB8_389
; %bb.388:
	s_bcnt1_i32_b64 s15, s[22:23]
	v_mov_b32_e32 v2, s15
	s_waitcnt vmcnt(0)
	global_atomic_add_x2 v[0:1], v[2:3], off offset:8
.LBB8_389:
	s_or_b64 exec, exec, s[24:25]
	s_waitcnt vmcnt(0)
	global_load_dwordx2 v[2:3], v[0:1], off offset:16
	s_waitcnt vmcnt(0)
	v_cmp_eq_u64_e32 vcc, 0, v[2:3]
	s_cbranch_vccnz .LBB8_391
; %bb.390:
	global_load_dword v0, v[0:1], off offset:24
	v_mov_b32_e32 v1, 0
	s_waitcnt vmcnt(0)
	global_store_dwordx2 v[2:3], v[0:1], off
	v_and_b32_e32 v0, 0xffffff, v0
	v_readfirstlane_b32 m0, v0
	s_sendmsg sendmsg(MSG_INTERRUPT)
.LBB8_391:
	s_or_b64 exec, exec, s[20:21]
	s_branch .LBB8_395
.LBB8_392:                              ;   in Loop: Header=BB8_395 Depth=1
	s_or_b64 exec, exec, s[20:21]
	v_readfirstlane_b32 s15, v0
	s_cmp_eq_u32 s15, 0
	s_cbranch_scc1 .LBB8_394
; %bb.393:                              ;   in Loop: Header=BB8_395 Depth=1
	s_sleep 1
	s_cbranch_execnz .LBB8_395
	s_branch .LBB8_397
.LBB8_394:
	s_branch .LBB8_397
.LBB8_395:                              ; =>This Inner Loop Header: Depth=1
	v_mov_b32_e32 v0, 1
	s_and_saveexec_b64 s[20:21], s[4:5]
	s_cbranch_execz .LBB8_392
; %bb.396:                              ;   in Loop: Header=BB8_395 Depth=1
	global_load_dword v0, v[8:9], off offset:20 glc
	s_waitcnt vmcnt(0)
	buffer_wbinvl1_vol
	v_and_b32_e32 v0, 1, v0
	s_branch .LBB8_392
.LBB8_397:
	global_load_dwordx2 v[2:3], v[6:7], off
	s_and_saveexec_b64 s[20:21], s[4:5]
	s_cbranch_execz .LBB8_400
; %bb.398:
	v_mov_b32_e32 v8, 0
	global_load_dwordx2 v[0:1], v8, s[6:7] offset:40
	global_load_dwordx2 v[9:10], v8, s[6:7] offset:24 glc
	global_load_dwordx2 v[11:12], v8, s[6:7]
	v_mov_b32_e32 v5, s19
	s_mov_b64 s[4:5], 0
	s_waitcnt vmcnt(2)
	v_add_co_u32_e32 v6, vcc, 1, v0
	v_addc_co_u32_e32 v7, vcc, 0, v1, vcc
	v_add_co_u32_e32 v4, vcc, s18, v6
	v_addc_co_u32_e32 v5, vcc, v7, v5, vcc
	v_cmp_eq_u64_e32 vcc, 0, v[4:5]
	v_cndmask_b32_e32 v5, v5, v7, vcc
	v_cndmask_b32_e32 v4, v4, v6, vcc
	v_and_b32_e32 v1, v5, v1
	v_and_b32_e32 v0, v4, v0
	v_mul_lo_u32 v1, v1, 24
	v_mul_hi_u32 v7, v0, 24
	v_mul_lo_u32 v0, v0, 24
	s_waitcnt vmcnt(1)
	v_mov_b32_e32 v6, v9
	v_add_u32_e32 v1, v7, v1
	s_waitcnt vmcnt(0)
	v_add_co_u32_e32 v0, vcc, v11, v0
	v_addc_co_u32_e32 v1, vcc, v12, v1, vcc
	global_store_dwordx2 v[0:1], v[9:10], off
	v_mov_b32_e32 v7, v10
	s_waitcnt vmcnt(0)
	global_atomic_cmpswap_x2 v[6:7], v8, v[4:7], s[6:7] offset:24 glc
	s_waitcnt vmcnt(0)
	v_cmp_ne_u64_e32 vcc, v[6:7], v[9:10]
	s_and_b64 exec, exec, vcc
	s_cbranch_execz .LBB8_400
.LBB8_399:                              ; =>This Inner Loop Header: Depth=1
	s_sleep 1
	global_store_dwordx2 v[0:1], v[6:7], off
	s_waitcnt vmcnt(0)
	global_atomic_cmpswap_x2 v[9:10], v8, v[4:7], s[6:7] offset:24 glc
	s_waitcnt vmcnt(0)
	v_cmp_eq_u64_e32 vcc, v[9:10], v[6:7]
	v_mov_b32_e32 v6, v9
	s_or_b64 s[4:5], vcc, s[4:5]
	v_mov_b32_e32 v7, v10
	s_andn2_b64 exec, exec, s[4:5]
	s_cbranch_execnz .LBB8_399
.LBB8_400:
	s_or_b64 exec, exec, s[20:21]
.LBB8_401:
	v_readfirstlane_b32 s4, v32
	s_waitcnt vmcnt(0)
	v_mov_b32_e32 v0, 0
	v_mov_b32_e32 v1, 0
	v_cmp_eq_u32_e64 s[4:5], s4, v32
	s_and_saveexec_b64 s[18:19], s[4:5]
	s_cbranch_execz .LBB8_407
; %bb.402:
	v_mov_b32_e32 v4, 0
	global_load_dwordx2 v[7:8], v4, s[6:7] offset:24 glc
	s_waitcnt vmcnt(0)
	buffer_wbinvl1_vol
	global_load_dwordx2 v[0:1], v4, s[6:7] offset:40
	global_load_dwordx2 v[5:6], v4, s[6:7]
	s_waitcnt vmcnt(1)
	v_and_b32_e32 v0, v0, v7
	v_and_b32_e32 v1, v1, v8
	v_mul_lo_u32 v1, v1, 24
	v_mul_hi_u32 v9, v0, 24
	v_mul_lo_u32 v0, v0, 24
	v_add_u32_e32 v1, v9, v1
	s_waitcnt vmcnt(0)
	v_add_co_u32_e32 v0, vcc, v5, v0
	v_addc_co_u32_e32 v1, vcc, v6, v1, vcc
	global_load_dwordx2 v[5:6], v[0:1], off glc
	s_waitcnt vmcnt(0)
	global_atomic_cmpswap_x2 v[0:1], v4, v[5:8], s[6:7] offset:24 glc
	s_waitcnt vmcnt(0)
	buffer_wbinvl1_vol
	v_cmp_ne_u64_e32 vcc, v[0:1], v[7:8]
	s_and_saveexec_b64 s[20:21], vcc
	s_cbranch_execz .LBB8_406
; %bb.403:
	s_mov_b64 s[22:23], 0
.LBB8_404:                              ; =>This Inner Loop Header: Depth=1
	s_sleep 1
	global_load_dwordx2 v[5:6], v4, s[6:7] offset:40
	global_load_dwordx2 v[9:10], v4, s[6:7]
	v_mov_b32_e32 v8, v1
	v_mov_b32_e32 v7, v0
	s_waitcnt vmcnt(1)
	v_and_b32_e32 v0, v5, v7
	s_waitcnt vmcnt(0)
	v_mad_u64_u32 v[0:1], s[24:25], v0, 24, v[9:10]
	v_and_b32_e32 v5, v6, v8
	v_mad_u64_u32 v[5:6], s[24:25], v5, 24, v[1:2]
	v_mov_b32_e32 v1, v5
	global_load_dwordx2 v[5:6], v[0:1], off glc
	s_waitcnt vmcnt(0)
	global_atomic_cmpswap_x2 v[0:1], v4, v[5:8], s[6:7] offset:24 glc
	s_waitcnt vmcnt(0)
	buffer_wbinvl1_vol
	v_cmp_eq_u64_e32 vcc, v[0:1], v[7:8]
	s_or_b64 s[22:23], vcc, s[22:23]
	s_andn2_b64 exec, exec, s[22:23]
	s_cbranch_execnz .LBB8_404
; %bb.405:
	s_or_b64 exec, exec, s[22:23]
.LBB8_406:
	s_or_b64 exec, exec, s[20:21]
.LBB8_407:
	s_or_b64 exec, exec, s[18:19]
	v_mov_b32_e32 v5, 0
	global_load_dwordx2 v[10:11], v5, s[6:7] offset:40
	global_load_dwordx4 v[6:9], v5, s[6:7]
	v_readfirstlane_b32 s18, v0
	v_readfirstlane_b32 s19, v1
	s_mov_b64 s[20:21], exec
	s_waitcnt vmcnt(1)
	v_readfirstlane_b32 s22, v10
	v_readfirstlane_b32 s23, v11
	s_and_b64 s[22:23], s[18:19], s[22:23]
	s_mul_i32 s15, s23, 24
	s_mul_hi_u32 s24, s22, 24
	s_mul_i32 s25, s22, 24
	s_add_i32 s15, s24, s15
	v_mov_b32_e32 v0, s15
	s_waitcnt vmcnt(0)
	v_add_co_u32_e32 v10, vcc, s25, v6
	v_addc_co_u32_e32 v11, vcc, v7, v0, vcc
	s_and_saveexec_b64 s[24:25], s[4:5]
	s_cbranch_execz .LBB8_409
; %bb.408:
	v_mov_b32_e32 v12, s20
	v_mov_b32_e32 v13, s21
	;; [unrolled: 1-line block ×4, first 2 shown]
	global_store_dwordx4 v[10:11], v[12:15], off offset:8
.LBB8_409:
	s_or_b64 exec, exec, s[24:25]
	s_lshl_b64 s[20:21], s[22:23], 12
	v_mov_b32_e32 v0, s21
	v_add_co_u32_e32 v1, vcc, s20, v8
	v_addc_co_u32_e32 v0, vcc, v9, v0, vcc
	s_movk_i32 s15, 0xff1d
	v_and_or_b32 v2, v2, s15, 34
	s_mov_b32 s20, 0
	v_mov_b32_e32 v4, 10
	v_readfirstlane_b32 s24, v1
	v_readfirstlane_b32 s25, v0
	s_mov_b32 s21, s20
	s_mov_b32 s22, s20
	;; [unrolled: 1-line block ×3, first 2 shown]
	s_nop 1
	global_store_dwordx4 v31, v[2:5], s[24:25]
	v_mov_b32_e32 v0, s20
	v_mov_b32_e32 v1, s21
	;; [unrolled: 1-line block ×4, first 2 shown]
	global_store_dwordx4 v31, v[0:3], s[24:25] offset:16
	global_store_dwordx4 v31, v[0:3], s[24:25] offset:32
	;; [unrolled: 1-line block ×3, first 2 shown]
	s_and_saveexec_b64 s[20:21], s[4:5]
	s_cbranch_execz .LBB8_417
; %bb.410:
	v_mov_b32_e32 v8, 0
	global_load_dwordx2 v[14:15], v8, s[6:7] offset:32 glc
	global_load_dwordx2 v[0:1], v8, s[6:7] offset:40
	v_mov_b32_e32 v12, s18
	v_mov_b32_e32 v13, s19
	s_waitcnt vmcnt(0)
	v_readfirstlane_b32 s22, v0
	v_readfirstlane_b32 s23, v1
	s_and_b64 s[22:23], s[22:23], s[18:19]
	s_mul_i32 s15, s23, 24
	s_mul_hi_u32 s23, s22, 24
	s_mul_i32 s22, s22, 24
	s_add_i32 s15, s23, s15
	v_mov_b32_e32 v0, s15
	v_add_co_u32_e32 v4, vcc, s22, v6
	v_addc_co_u32_e32 v5, vcc, v7, v0, vcc
	global_store_dwordx2 v[4:5], v[14:15], off
	s_waitcnt vmcnt(0)
	global_atomic_cmpswap_x2 v[2:3], v8, v[12:15], s[6:7] offset:32 glc
	s_waitcnt vmcnt(0)
	v_cmp_ne_u64_e32 vcc, v[2:3], v[14:15]
	s_and_saveexec_b64 s[22:23], vcc
	s_cbranch_execz .LBB8_413
; %bb.411:
	s_mov_b64 s[24:25], 0
.LBB8_412:                              ; =>This Inner Loop Header: Depth=1
	s_sleep 1
	global_store_dwordx2 v[4:5], v[2:3], off
	v_mov_b32_e32 v0, s18
	v_mov_b32_e32 v1, s19
	s_waitcnt vmcnt(0)
	global_atomic_cmpswap_x2 v[0:1], v8, v[0:3], s[6:7] offset:32 glc
	s_waitcnt vmcnt(0)
	v_cmp_eq_u64_e32 vcc, v[0:1], v[2:3]
	v_mov_b32_e32 v3, v1
	s_or_b64 s[24:25], vcc, s[24:25]
	v_mov_b32_e32 v2, v0
	s_andn2_b64 exec, exec, s[24:25]
	s_cbranch_execnz .LBB8_412
.LBB8_413:
	s_or_b64 exec, exec, s[22:23]
	v_mov_b32_e32 v3, 0
	global_load_dwordx2 v[0:1], v3, s[6:7] offset:16
	s_mov_b64 s[22:23], exec
	v_mbcnt_lo_u32_b32 v2, s22, 0
	v_mbcnt_hi_u32_b32 v2, s23, v2
	v_cmp_eq_u32_e32 vcc, 0, v2
	s_and_saveexec_b64 s[24:25], vcc
	s_cbranch_execz .LBB8_415
; %bb.414:
	s_bcnt1_i32_b64 s15, s[22:23]
	v_mov_b32_e32 v2, s15
	s_waitcnt vmcnt(0)
	global_atomic_add_x2 v[0:1], v[2:3], off offset:8
.LBB8_415:
	s_or_b64 exec, exec, s[24:25]
	s_waitcnt vmcnt(0)
	global_load_dwordx2 v[2:3], v[0:1], off offset:16
	s_waitcnt vmcnt(0)
	v_cmp_eq_u64_e32 vcc, 0, v[2:3]
	s_cbranch_vccnz .LBB8_417
; %bb.416:
	global_load_dword v0, v[0:1], off offset:24
	v_mov_b32_e32 v1, 0
	s_waitcnt vmcnt(0)
	global_store_dwordx2 v[2:3], v[0:1], off
	v_and_b32_e32 v0, 0xffffff, v0
	v_readfirstlane_b32 m0, v0
	s_sendmsg sendmsg(MSG_INTERRUPT)
.LBB8_417:
	s_or_b64 exec, exec, s[20:21]
	s_branch .LBB8_421
.LBB8_418:                              ;   in Loop: Header=BB8_421 Depth=1
	s_or_b64 exec, exec, s[20:21]
	v_readfirstlane_b32 s15, v0
	s_cmp_eq_u32 s15, 0
	s_cbranch_scc1 .LBB8_420
; %bb.419:                              ;   in Loop: Header=BB8_421 Depth=1
	s_sleep 1
	s_cbranch_execnz .LBB8_421
	s_branch .LBB8_423
.LBB8_420:
	s_branch .LBB8_423
.LBB8_421:                              ; =>This Inner Loop Header: Depth=1
	v_mov_b32_e32 v0, 1
	s_and_saveexec_b64 s[20:21], s[4:5]
	s_cbranch_execz .LBB8_418
; %bb.422:                              ;   in Loop: Header=BB8_421 Depth=1
	global_load_dword v0, v[10:11], off offset:20 glc
	s_waitcnt vmcnt(0)
	buffer_wbinvl1_vol
	v_and_b32_e32 v0, 1, v0
	s_branch .LBB8_418
.LBB8_423:
	s_and_saveexec_b64 s[20:21], s[4:5]
	s_cbranch_execz .LBB8_426
; %bb.424:
	v_mov_b32_e32 v6, 0
	global_load_dwordx2 v[2:3], v6, s[6:7] offset:40
	global_load_dwordx2 v[7:8], v6, s[6:7] offset:24 glc
	global_load_dwordx2 v[4:5], v6, s[6:7]
	v_mov_b32_e32 v1, s19
	s_mov_b64 s[4:5], 0
	s_waitcnt vmcnt(2)
	v_add_co_u32_e32 v9, vcc, 1, v2
	v_addc_co_u32_e32 v10, vcc, 0, v3, vcc
	v_add_co_u32_e32 v0, vcc, s18, v9
	v_addc_co_u32_e32 v1, vcc, v10, v1, vcc
	v_cmp_eq_u64_e32 vcc, 0, v[0:1]
	v_cndmask_b32_e32 v1, v1, v10, vcc
	v_cndmask_b32_e32 v0, v0, v9, vcc
	v_and_b32_e32 v3, v1, v3
	v_and_b32_e32 v2, v0, v2
	v_mul_lo_u32 v3, v3, 24
	v_mul_hi_u32 v9, v2, 24
	v_mul_lo_u32 v10, v2, 24
	s_waitcnt vmcnt(1)
	v_mov_b32_e32 v2, v7
	v_add_u32_e32 v3, v9, v3
	s_waitcnt vmcnt(0)
	v_add_co_u32_e32 v4, vcc, v4, v10
	v_addc_co_u32_e32 v5, vcc, v5, v3, vcc
	global_store_dwordx2 v[4:5], v[7:8], off
	v_mov_b32_e32 v3, v8
	s_waitcnt vmcnt(0)
	global_atomic_cmpswap_x2 v[2:3], v6, v[0:3], s[6:7] offset:24 glc
	s_waitcnt vmcnt(0)
	v_cmp_ne_u64_e32 vcc, v[2:3], v[7:8]
	s_and_b64 exec, exec, vcc
	s_cbranch_execz .LBB8_426
.LBB8_425:                              ; =>This Inner Loop Header: Depth=1
	s_sleep 1
	global_store_dwordx2 v[4:5], v[2:3], off
	s_waitcnt vmcnt(0)
	global_atomic_cmpswap_x2 v[7:8], v6, v[0:3], s[6:7] offset:24 glc
	s_waitcnt vmcnt(0)
	v_cmp_eq_u64_e32 vcc, v[7:8], v[2:3]
	v_mov_b32_e32 v2, v7
	s_or_b64 s[4:5], vcc, s[4:5]
	v_mov_b32_e32 v3, v8
	s_andn2_b64 exec, exec, s[4:5]
	s_cbranch_execnz .LBB8_425
.LBB8_426:
	s_or_b64 exec, exec, s[20:21]
	v_readfirstlane_b32 s4, v32
	v_mov_b32_e32 v5, 0
	v_mov_b32_e32 v6, 0
	v_cmp_eq_u32_e64 s[4:5], s4, v32
	s_and_saveexec_b64 s[18:19], s[4:5]
	s_cbranch_execz .LBB8_432
; %bb.427:
	v_mov_b32_e32 v0, 0
	global_load_dwordx2 v[3:4], v0, s[6:7] offset:24 glc
	s_waitcnt vmcnt(0)
	buffer_wbinvl1_vol
	global_load_dwordx2 v[1:2], v0, s[6:7] offset:40
	global_load_dwordx2 v[5:6], v0, s[6:7]
	s_waitcnt vmcnt(1)
	v_and_b32_e32 v1, v1, v3
	v_and_b32_e32 v2, v2, v4
	v_mul_lo_u32 v2, v2, 24
	v_mul_hi_u32 v7, v1, 24
	v_mul_lo_u32 v1, v1, 24
	v_add_u32_e32 v2, v7, v2
	s_waitcnt vmcnt(0)
	v_add_co_u32_e32 v1, vcc, v5, v1
	v_addc_co_u32_e32 v2, vcc, v6, v2, vcc
	global_load_dwordx2 v[1:2], v[1:2], off glc
	s_waitcnt vmcnt(0)
	global_atomic_cmpswap_x2 v[5:6], v0, v[1:4], s[6:7] offset:24 glc
	s_waitcnt vmcnt(0)
	buffer_wbinvl1_vol
	v_cmp_ne_u64_e32 vcc, v[5:6], v[3:4]
	s_and_saveexec_b64 s[20:21], vcc
	s_cbranch_execz .LBB8_431
; %bb.428:
	s_mov_b64 s[22:23], 0
.LBB8_429:                              ; =>This Inner Loop Header: Depth=1
	s_sleep 1
	global_load_dwordx2 v[1:2], v0, s[6:7] offset:40
	global_load_dwordx2 v[7:8], v0, s[6:7]
	v_mov_b32_e32 v3, v5
	v_mov_b32_e32 v4, v6
	s_waitcnt vmcnt(1)
	v_and_b32_e32 v1, v1, v3
	s_waitcnt vmcnt(0)
	v_mad_u64_u32 v[5:6], s[24:25], v1, 24, v[7:8]
	v_and_b32_e32 v2, v2, v4
	v_mov_b32_e32 v1, v6
	v_mad_u64_u32 v[1:2], s[24:25], v2, 24, v[1:2]
	v_mov_b32_e32 v6, v1
	global_load_dwordx2 v[1:2], v[5:6], off glc
	s_waitcnt vmcnt(0)
	global_atomic_cmpswap_x2 v[5:6], v0, v[1:4], s[6:7] offset:24 glc
	s_waitcnt vmcnt(0)
	buffer_wbinvl1_vol
	v_cmp_eq_u64_e32 vcc, v[5:6], v[3:4]
	s_or_b64 s[22:23], vcc, s[22:23]
	s_andn2_b64 exec, exec, s[22:23]
	s_cbranch_execnz .LBB8_429
; %bb.430:
	s_or_b64 exec, exec, s[22:23]
.LBB8_431:
	s_or_b64 exec, exec, s[20:21]
.LBB8_432:
	s_or_b64 exec, exec, s[18:19]
	v_mov_b32_e32 v4, 0
	global_load_dwordx2 v[7:8], v4, s[6:7] offset:40
	global_load_dwordx4 v[0:3], v4, s[6:7]
	v_readfirstlane_b32 s18, v5
	v_readfirstlane_b32 s19, v6
	s_mov_b64 s[20:21], exec
	s_waitcnt vmcnt(1)
	v_readfirstlane_b32 s22, v7
	v_readfirstlane_b32 s23, v8
	s_and_b64 s[22:23], s[18:19], s[22:23]
	s_mul_i32 s15, s23, 24
	s_mul_hi_u32 s24, s22, 24
	s_mul_i32 s25, s22, 24
	s_add_i32 s15, s24, s15
	v_mov_b32_e32 v5, s15
	s_waitcnt vmcnt(0)
	v_add_co_u32_e32 v7, vcc, s25, v0
	v_addc_co_u32_e32 v8, vcc, v1, v5, vcc
	s_and_saveexec_b64 s[24:25], s[4:5]
	s_cbranch_execz .LBB8_434
; %bb.433:
	v_mov_b32_e32 v9, s20
	v_mov_b32_e32 v10, s21
	;; [unrolled: 1-line block ×4, first 2 shown]
	global_store_dwordx4 v[7:8], v[9:12], off offset:8
.LBB8_434:
	s_or_b64 exec, exec, s[24:25]
	s_lshl_b64 s[20:21], s[22:23], 12
	v_mov_b32_e32 v5, s21
	v_add_co_u32_e32 v2, vcc, s20, v2
	v_addc_co_u32_e32 v11, vcc, v3, v5, vcc
	s_mov_b32 s20, 0
	v_mov_b32_e32 v3, 33
	v_mov_b32_e32 v5, v4
	;; [unrolled: 1-line block ×3, first 2 shown]
	v_readfirstlane_b32 s24, v2
	v_readfirstlane_b32 s25, v11
	v_add_co_u32_e32 v9, vcc, v2, v31
	s_mov_b32 s21, s20
	s_mov_b32 s22, s20
	;; [unrolled: 1-line block ×3, first 2 shown]
	s_nop 0
	global_store_dwordx4 v31, v[3:6], s[24:25]
	v_mov_b32_e32 v2, s20
	v_addc_co_u32_e32 v10, vcc, 0, v11, vcc
	v_mov_b32_e32 v3, s21
	v_mov_b32_e32 v4, s22
	v_mov_b32_e32 v5, s23
	global_store_dwordx4 v31, v[2:5], s[24:25] offset:16
	global_store_dwordx4 v31, v[2:5], s[24:25] offset:32
	;; [unrolled: 1-line block ×3, first 2 shown]
	s_and_saveexec_b64 s[20:21], s[4:5]
	s_cbranch_execz .LBB8_442
; %bb.435:
	v_mov_b32_e32 v6, 0
	global_load_dwordx2 v[13:14], v6, s[6:7] offset:32 glc
	global_load_dwordx2 v[2:3], v6, s[6:7] offset:40
	v_mov_b32_e32 v11, s18
	v_mov_b32_e32 v12, s19
	s_waitcnt vmcnt(0)
	v_readfirstlane_b32 s22, v2
	v_readfirstlane_b32 s23, v3
	s_and_b64 s[22:23], s[22:23], s[18:19]
	s_mul_i32 s15, s23, 24
	s_mul_hi_u32 s23, s22, 24
	s_mul_i32 s22, s22, 24
	s_add_i32 s15, s23, s15
	v_mov_b32_e32 v2, s15
	v_add_co_u32_e32 v4, vcc, s22, v0
	v_addc_co_u32_e32 v5, vcc, v1, v2, vcc
	global_store_dwordx2 v[4:5], v[13:14], off
	s_waitcnt vmcnt(0)
	global_atomic_cmpswap_x2 v[2:3], v6, v[11:14], s[6:7] offset:32 glc
	s_waitcnt vmcnt(0)
	v_cmp_ne_u64_e32 vcc, v[2:3], v[13:14]
	s_and_saveexec_b64 s[22:23], vcc
	s_cbranch_execz .LBB8_438
; %bb.436:
	s_mov_b64 s[24:25], 0
.LBB8_437:                              ; =>This Inner Loop Header: Depth=1
	s_sleep 1
	global_store_dwordx2 v[4:5], v[2:3], off
	v_mov_b32_e32 v0, s18
	v_mov_b32_e32 v1, s19
	s_waitcnt vmcnt(0)
	global_atomic_cmpswap_x2 v[0:1], v6, v[0:3], s[6:7] offset:32 glc
	s_waitcnt vmcnt(0)
	v_cmp_eq_u64_e32 vcc, v[0:1], v[2:3]
	v_mov_b32_e32 v3, v1
	s_or_b64 s[24:25], vcc, s[24:25]
	v_mov_b32_e32 v2, v0
	s_andn2_b64 exec, exec, s[24:25]
	s_cbranch_execnz .LBB8_437
.LBB8_438:
	s_or_b64 exec, exec, s[22:23]
	v_mov_b32_e32 v3, 0
	global_load_dwordx2 v[0:1], v3, s[6:7] offset:16
	s_mov_b64 s[22:23], exec
	v_mbcnt_lo_u32_b32 v2, s22, 0
	v_mbcnt_hi_u32_b32 v2, s23, v2
	v_cmp_eq_u32_e32 vcc, 0, v2
	s_and_saveexec_b64 s[24:25], vcc
	s_cbranch_execz .LBB8_440
; %bb.439:
	s_bcnt1_i32_b64 s15, s[22:23]
	v_mov_b32_e32 v2, s15
	s_waitcnt vmcnt(0)
	global_atomic_add_x2 v[0:1], v[2:3], off offset:8
.LBB8_440:
	s_or_b64 exec, exec, s[24:25]
	s_waitcnt vmcnt(0)
	global_load_dwordx2 v[2:3], v[0:1], off offset:16
	s_waitcnt vmcnt(0)
	v_cmp_eq_u64_e32 vcc, 0, v[2:3]
	s_cbranch_vccnz .LBB8_442
; %bb.441:
	global_load_dword v0, v[0:1], off offset:24
	v_mov_b32_e32 v1, 0
	s_waitcnt vmcnt(0)
	global_store_dwordx2 v[2:3], v[0:1], off
	v_and_b32_e32 v0, 0xffffff, v0
	v_readfirstlane_b32 m0, v0
	s_sendmsg sendmsg(MSG_INTERRUPT)
.LBB8_442:
	s_or_b64 exec, exec, s[20:21]
	s_branch .LBB8_446
.LBB8_443:                              ;   in Loop: Header=BB8_446 Depth=1
	s_or_b64 exec, exec, s[20:21]
	v_readfirstlane_b32 s15, v0
	s_cmp_eq_u32 s15, 0
	s_cbranch_scc1 .LBB8_445
; %bb.444:                              ;   in Loop: Header=BB8_446 Depth=1
	s_sleep 1
	s_cbranch_execnz .LBB8_446
	s_branch .LBB8_448
.LBB8_445:
	s_branch .LBB8_448
.LBB8_446:                              ; =>This Inner Loop Header: Depth=1
	v_mov_b32_e32 v0, 1
	s_and_saveexec_b64 s[20:21], s[4:5]
	s_cbranch_execz .LBB8_443
; %bb.447:                              ;   in Loop: Header=BB8_446 Depth=1
	global_load_dword v0, v[7:8], off offset:20 glc
	s_waitcnt vmcnt(0)
	buffer_wbinvl1_vol
	v_and_b32_e32 v0, 1, v0
	s_branch .LBB8_443
.LBB8_448:
	global_load_dwordx2 v[4:5], v[9:10], off
	s_and_saveexec_b64 s[20:21], s[4:5]
	s_cbranch_execz .LBB8_451
; %bb.449:
	v_mov_b32_e32 v8, 0
	global_load_dwordx2 v[2:3], v8, s[6:7] offset:40
	global_load_dwordx2 v[9:10], v8, s[6:7] offset:24 glc
	global_load_dwordx2 v[6:7], v8, s[6:7]
	v_mov_b32_e32 v1, s19
	s_mov_b64 s[4:5], 0
	s_waitcnt vmcnt(2)
	v_add_co_u32_e32 v11, vcc, 1, v2
	v_addc_co_u32_e32 v12, vcc, 0, v3, vcc
	v_add_co_u32_e32 v0, vcc, s18, v11
	v_addc_co_u32_e32 v1, vcc, v12, v1, vcc
	v_cmp_eq_u64_e32 vcc, 0, v[0:1]
	v_cndmask_b32_e32 v1, v1, v12, vcc
	v_cndmask_b32_e32 v0, v0, v11, vcc
	v_and_b32_e32 v3, v1, v3
	v_and_b32_e32 v2, v0, v2
	v_mul_lo_u32 v3, v3, 24
	v_mul_hi_u32 v11, v2, 24
	v_mul_lo_u32 v12, v2, 24
	s_waitcnt vmcnt(1)
	v_mov_b32_e32 v2, v9
	v_add_u32_e32 v3, v11, v3
	s_waitcnt vmcnt(0)
	v_add_co_u32_e32 v6, vcc, v6, v12
	v_addc_co_u32_e32 v7, vcc, v7, v3, vcc
	global_store_dwordx2 v[6:7], v[9:10], off
	v_mov_b32_e32 v3, v10
	s_waitcnt vmcnt(0)
	global_atomic_cmpswap_x2 v[2:3], v8, v[0:3], s[6:7] offset:24 glc
	s_waitcnt vmcnt(0)
	v_cmp_ne_u64_e32 vcc, v[2:3], v[9:10]
	s_and_b64 exec, exec, vcc
	s_cbranch_execz .LBB8_451
.LBB8_450:                              ; =>This Inner Loop Header: Depth=1
	s_sleep 1
	global_store_dwordx2 v[6:7], v[2:3], off
	s_waitcnt vmcnt(0)
	global_atomic_cmpswap_x2 v[9:10], v8, v[0:3], s[6:7] offset:24 glc
	s_waitcnt vmcnt(0)
	v_cmp_eq_u64_e32 vcc, v[9:10], v[2:3]
	v_mov_b32_e32 v2, v9
	s_or_b64 s[4:5], vcc, s[4:5]
	v_mov_b32_e32 v3, v10
	s_andn2_b64 exec, exec, s[4:5]
	s_cbranch_execnz .LBB8_450
.LBB8_451:
	s_or_b64 exec, exec, s[20:21]
	s_and_b64 vcc, exec, s[10:11]
	s_cbranch_vccz .LBB8_536
; %bb.452:
	s_waitcnt vmcnt(0)
	v_and_b32_e32 v29, 2, v4
	v_mov_b32_e32 v26, 0
	v_and_b32_e32 v0, -3, v4
	v_mov_b32_e32 v1, v5
	s_mov_b64 s[20:21], 3
	v_mov_b32_e32 v8, 2
	v_mov_b32_e32 v9, 1
	s_getpc_b64 s[18:19]
	s_add_u32 s18, s18, .str.5@rel32@lo+4
	s_addc_u32 s19, s19, .str.5@rel32@hi+12
	s_branch .LBB8_454
.LBB8_453:                              ;   in Loop: Header=BB8_454 Depth=1
	s_or_b64 exec, exec, s[26:27]
	s_sub_u32 s20, s20, s22
	s_subb_u32 s21, s21, s23
	s_add_u32 s18, s18, s22
	s_addc_u32 s19, s19, s23
	s_cmp_lg_u64 s[20:21], 0
	s_cbranch_scc0 .LBB8_535
.LBB8_454:                              ; =>This Loop Header: Depth=1
                                        ;     Child Loop BB8_457 Depth 2
                                        ;     Child Loop BB8_464 Depth 2
	;; [unrolled: 1-line block ×11, first 2 shown]
	v_cmp_lt_u64_e64 s[4:5], s[20:21], 56
	v_cmp_gt_u64_e64 s[24:25], s[20:21], 7
	s_and_b64 s[4:5], s[4:5], exec
	s_cselect_b32 s23, s21, 0
	s_cselect_b32 s22, s20, 56
	s_and_b64 vcc, exec, s[24:25]
	s_cbranch_vccnz .LBB8_459
; %bb.455:                              ;   in Loop: Header=BB8_454 Depth=1
	s_waitcnt vmcnt(0)
	v_mov_b32_e32 v2, 0
	s_cmp_eq_u64 s[20:21], 0
	v_mov_b32_e32 v3, 0
	s_mov_b64 s[4:5], 0
	s_cbranch_scc1 .LBB8_458
; %bb.456:                              ;   in Loop: Header=BB8_454 Depth=1
	v_mov_b32_e32 v2, 0
	s_lshl_b64 s[24:25], s[22:23], 3
	s_mov_b64 s[26:27], 0
	v_mov_b32_e32 v3, 0
	s_mov_b64 s[28:29], s[18:19]
.LBB8_457:                              ;   Parent Loop BB8_454 Depth=1
                                        ; =>  This Inner Loop Header: Depth=2
	global_load_ubyte v6, v26, s[28:29]
	s_waitcnt vmcnt(0)
	v_and_b32_e32 v25, 0xffff, v6
	v_lshlrev_b64 v[6:7], s26, v[25:26]
	s_add_u32 s26, s26, 8
	s_addc_u32 s27, s27, 0
	s_add_u32 s28, s28, 1
	s_addc_u32 s29, s29, 0
	v_or_b32_e32 v2, v6, v2
	s_cmp_lg_u32 s24, s26
	v_or_b32_e32 v3, v7, v3
	s_cbranch_scc1 .LBB8_457
.LBB8_458:                              ;   in Loop: Header=BB8_454 Depth=1
	s_mov_b32 s15, 0
	s_andn2_b64 vcc, exec, s[4:5]
	s_mov_b64 s[4:5], s[18:19]
	s_cbranch_vccz .LBB8_460
	s_branch .LBB8_461
.LBB8_459:                              ;   in Loop: Header=BB8_454 Depth=1
                                        ; implicit-def: $vgpr2_vgpr3
                                        ; implicit-def: $sgpr15
	s_mov_b64 s[4:5], s[18:19]
.LBB8_460:                              ;   in Loop: Header=BB8_454 Depth=1
	global_load_dwordx2 v[2:3], v26, s[18:19]
	s_add_i32 s15, s22, -8
	s_add_u32 s4, s18, 8
	s_addc_u32 s5, s19, 0
.LBB8_461:                              ;   in Loop: Header=BB8_454 Depth=1
	s_cmp_gt_u32 s15, 7
	s_cbranch_scc1 .LBB8_465
; %bb.462:                              ;   in Loop: Header=BB8_454 Depth=1
	s_cmp_eq_u32 s15, 0
	s_cbranch_scc1 .LBB8_466
; %bb.463:                              ;   in Loop: Header=BB8_454 Depth=1
	v_mov_b32_e32 v10, 0
	s_mov_b64 s[24:25], 0
	v_mov_b32_e32 v11, 0
	s_mov_b64 s[26:27], 0
.LBB8_464:                              ;   Parent Loop BB8_454 Depth=1
                                        ; =>  This Inner Loop Header: Depth=2
	s_add_u32 s28, s4, s26
	s_addc_u32 s29, s5, s27
	global_load_ubyte v6, v26, s[28:29]
	s_add_u32 s26, s26, 1
	s_addc_u32 s27, s27, 0
	s_waitcnt vmcnt(0)
	v_and_b32_e32 v25, 0xffff, v6
	v_lshlrev_b64 v[6:7], s24, v[25:26]
	s_add_u32 s24, s24, 8
	s_addc_u32 s25, s25, 0
	v_or_b32_e32 v10, v6, v10
	s_cmp_lg_u32 s15, s26
	v_or_b32_e32 v11, v7, v11
	s_cbranch_scc1 .LBB8_464
	s_branch .LBB8_467
.LBB8_465:                              ;   in Loop: Header=BB8_454 Depth=1
                                        ; implicit-def: $vgpr10_vgpr11
                                        ; implicit-def: $sgpr28
	s_branch .LBB8_468
.LBB8_466:                              ;   in Loop: Header=BB8_454 Depth=1
	v_mov_b32_e32 v10, 0
	v_mov_b32_e32 v11, 0
.LBB8_467:                              ;   in Loop: Header=BB8_454 Depth=1
	s_mov_b32 s28, 0
	s_cbranch_execnz .LBB8_469
.LBB8_468:                              ;   in Loop: Header=BB8_454 Depth=1
	global_load_dwordx2 v[10:11], v26, s[4:5]
	s_add_i32 s28, s15, -8
	s_add_u32 s4, s4, 8
	s_addc_u32 s5, s5, 0
.LBB8_469:                              ;   in Loop: Header=BB8_454 Depth=1
	s_cmp_gt_u32 s28, 7
	s_cbranch_scc1 .LBB8_473
; %bb.470:                              ;   in Loop: Header=BB8_454 Depth=1
	s_cmp_eq_u32 s28, 0
	s_cbranch_scc1 .LBB8_474
; %bb.471:                              ;   in Loop: Header=BB8_454 Depth=1
	v_mov_b32_e32 v12, 0
	s_mov_b64 s[24:25], 0
	v_mov_b32_e32 v13, 0
	s_mov_b64 s[26:27], 0
.LBB8_472:                              ;   Parent Loop BB8_454 Depth=1
                                        ; =>  This Inner Loop Header: Depth=2
	s_add_u32 vcc_lo, s4, s26
	s_addc_u32 vcc_hi, s5, s27
	global_load_ubyte v6, v26, vcc
	s_add_u32 s26, s26, 1
	s_addc_u32 s27, s27, 0
	s_waitcnt vmcnt(0)
	v_and_b32_e32 v25, 0xffff, v6
	v_lshlrev_b64 v[6:7], s24, v[25:26]
	s_add_u32 s24, s24, 8
	s_addc_u32 s25, s25, 0
	v_or_b32_e32 v12, v6, v12
	s_cmp_lg_u32 s28, s26
	v_or_b32_e32 v13, v7, v13
	s_cbranch_scc1 .LBB8_472
	s_branch .LBB8_475
.LBB8_473:                              ;   in Loop: Header=BB8_454 Depth=1
                                        ; implicit-def: $sgpr15
	s_branch .LBB8_476
.LBB8_474:                              ;   in Loop: Header=BB8_454 Depth=1
	v_mov_b32_e32 v12, 0
	v_mov_b32_e32 v13, 0
.LBB8_475:                              ;   in Loop: Header=BB8_454 Depth=1
	s_mov_b32 s15, 0
	s_cbranch_execnz .LBB8_477
.LBB8_476:                              ;   in Loop: Header=BB8_454 Depth=1
	global_load_dwordx2 v[12:13], v26, s[4:5]
	s_add_i32 s15, s28, -8
	s_add_u32 s4, s4, 8
	s_addc_u32 s5, s5, 0
.LBB8_477:                              ;   in Loop: Header=BB8_454 Depth=1
	s_cmp_gt_u32 s15, 7
	s_cbranch_scc1 .LBB8_481
; %bb.478:                              ;   in Loop: Header=BB8_454 Depth=1
	s_cmp_eq_u32 s15, 0
	s_cbranch_scc1 .LBB8_482
; %bb.479:                              ;   in Loop: Header=BB8_454 Depth=1
	v_mov_b32_e32 v14, 0
	s_mov_b64 s[24:25], 0
	v_mov_b32_e32 v15, 0
	s_mov_b64 s[26:27], 0
.LBB8_480:                              ;   Parent Loop BB8_454 Depth=1
                                        ; =>  This Inner Loop Header: Depth=2
	s_add_u32 s28, s4, s26
	s_addc_u32 s29, s5, s27
	global_load_ubyte v6, v26, s[28:29]
	s_add_u32 s26, s26, 1
	s_addc_u32 s27, s27, 0
	s_waitcnt vmcnt(0)
	v_and_b32_e32 v25, 0xffff, v6
	v_lshlrev_b64 v[6:7], s24, v[25:26]
	s_add_u32 s24, s24, 8
	s_addc_u32 s25, s25, 0
	v_or_b32_e32 v14, v6, v14
	s_cmp_lg_u32 s15, s26
	v_or_b32_e32 v15, v7, v15
	s_cbranch_scc1 .LBB8_480
	s_branch .LBB8_483
.LBB8_481:                              ;   in Loop: Header=BB8_454 Depth=1
                                        ; implicit-def: $vgpr14_vgpr15
                                        ; implicit-def: $sgpr28
	s_branch .LBB8_484
.LBB8_482:                              ;   in Loop: Header=BB8_454 Depth=1
	v_mov_b32_e32 v14, 0
	v_mov_b32_e32 v15, 0
.LBB8_483:                              ;   in Loop: Header=BB8_454 Depth=1
	s_mov_b32 s28, 0
	s_cbranch_execnz .LBB8_485
.LBB8_484:                              ;   in Loop: Header=BB8_454 Depth=1
	global_load_dwordx2 v[14:15], v26, s[4:5]
	s_add_i32 s28, s15, -8
	s_add_u32 s4, s4, 8
	s_addc_u32 s5, s5, 0
.LBB8_485:                              ;   in Loop: Header=BB8_454 Depth=1
	s_cmp_gt_u32 s28, 7
	s_cbranch_scc1 .LBB8_489
; %bb.486:                              ;   in Loop: Header=BB8_454 Depth=1
	s_cmp_eq_u32 s28, 0
	s_cbranch_scc1 .LBB8_490
; %bb.487:                              ;   in Loop: Header=BB8_454 Depth=1
	v_mov_b32_e32 v16, 0
	s_mov_b64 s[24:25], 0
	v_mov_b32_e32 v17, 0
	s_mov_b64 s[26:27], 0
.LBB8_488:                              ;   Parent Loop BB8_454 Depth=1
                                        ; =>  This Inner Loop Header: Depth=2
	s_add_u32 vcc_lo, s4, s26
	s_addc_u32 vcc_hi, s5, s27
	global_load_ubyte v6, v26, vcc
	s_add_u32 s26, s26, 1
	s_addc_u32 s27, s27, 0
	s_waitcnt vmcnt(0)
	v_and_b32_e32 v25, 0xffff, v6
	v_lshlrev_b64 v[6:7], s24, v[25:26]
	s_add_u32 s24, s24, 8
	s_addc_u32 s25, s25, 0
	v_or_b32_e32 v16, v6, v16
	s_cmp_lg_u32 s28, s26
	v_or_b32_e32 v17, v7, v17
	s_cbranch_scc1 .LBB8_488
	s_branch .LBB8_491
.LBB8_489:                              ;   in Loop: Header=BB8_454 Depth=1
                                        ; implicit-def: $sgpr15
	s_branch .LBB8_492
.LBB8_490:                              ;   in Loop: Header=BB8_454 Depth=1
	v_mov_b32_e32 v16, 0
	v_mov_b32_e32 v17, 0
.LBB8_491:                              ;   in Loop: Header=BB8_454 Depth=1
	s_mov_b32 s15, 0
	s_cbranch_execnz .LBB8_493
.LBB8_492:                              ;   in Loop: Header=BB8_454 Depth=1
	global_load_dwordx2 v[16:17], v26, s[4:5]
	s_add_i32 s15, s28, -8
	s_add_u32 s4, s4, 8
	s_addc_u32 s5, s5, 0
.LBB8_493:                              ;   in Loop: Header=BB8_454 Depth=1
	s_cmp_gt_u32 s15, 7
	s_cbranch_scc1 .LBB8_497
; %bb.494:                              ;   in Loop: Header=BB8_454 Depth=1
	s_cmp_eq_u32 s15, 0
	s_cbranch_scc1 .LBB8_498
; %bb.495:                              ;   in Loop: Header=BB8_454 Depth=1
	v_mov_b32_e32 v18, 0
	s_mov_b64 s[24:25], 0
	v_mov_b32_e32 v19, 0
	s_mov_b64 s[26:27], 0
.LBB8_496:                              ;   Parent Loop BB8_454 Depth=1
                                        ; =>  This Inner Loop Header: Depth=2
	s_add_u32 s28, s4, s26
	s_addc_u32 s29, s5, s27
	global_load_ubyte v6, v26, s[28:29]
	s_add_u32 s26, s26, 1
	s_addc_u32 s27, s27, 0
	s_waitcnt vmcnt(0)
	v_and_b32_e32 v25, 0xffff, v6
	v_lshlrev_b64 v[6:7], s24, v[25:26]
	s_add_u32 s24, s24, 8
	s_addc_u32 s25, s25, 0
	v_or_b32_e32 v18, v6, v18
	s_cmp_lg_u32 s15, s26
	v_or_b32_e32 v19, v7, v19
	s_cbranch_scc1 .LBB8_496
	s_branch .LBB8_499
.LBB8_497:                              ;   in Loop: Header=BB8_454 Depth=1
                                        ; implicit-def: $vgpr18_vgpr19
                                        ; implicit-def: $sgpr28
	s_branch .LBB8_500
.LBB8_498:                              ;   in Loop: Header=BB8_454 Depth=1
	v_mov_b32_e32 v18, 0
	v_mov_b32_e32 v19, 0
.LBB8_499:                              ;   in Loop: Header=BB8_454 Depth=1
	s_mov_b32 s28, 0
	s_cbranch_execnz .LBB8_501
.LBB8_500:                              ;   in Loop: Header=BB8_454 Depth=1
	global_load_dwordx2 v[18:19], v26, s[4:5]
	s_add_i32 s28, s15, -8
	s_add_u32 s4, s4, 8
	s_addc_u32 s5, s5, 0
.LBB8_501:                              ;   in Loop: Header=BB8_454 Depth=1
	s_cmp_gt_u32 s28, 7
	s_cbranch_scc1 .LBB8_505
; %bb.502:                              ;   in Loop: Header=BB8_454 Depth=1
	s_cmp_eq_u32 s28, 0
	s_cbranch_scc1 .LBB8_506
; %bb.503:                              ;   in Loop: Header=BB8_454 Depth=1
	v_mov_b32_e32 v20, 0
	s_mov_b64 s[24:25], 0
	v_mov_b32_e32 v21, 0
	s_mov_b64 s[26:27], s[4:5]
.LBB8_504:                              ;   Parent Loop BB8_454 Depth=1
                                        ; =>  This Inner Loop Header: Depth=2
	global_load_ubyte v6, v26, s[26:27]
	s_add_i32 s28, s28, -1
	s_waitcnt vmcnt(0)
	v_and_b32_e32 v25, 0xffff, v6
	v_lshlrev_b64 v[6:7], s24, v[25:26]
	s_add_u32 s24, s24, 8
	s_addc_u32 s25, s25, 0
	s_add_u32 s26, s26, 1
	s_addc_u32 s27, s27, 0
	v_or_b32_e32 v20, v6, v20
	s_cmp_lg_u32 s28, 0
	v_or_b32_e32 v21, v7, v21
	s_cbranch_scc1 .LBB8_504
	s_branch .LBB8_507
.LBB8_505:                              ;   in Loop: Header=BB8_454 Depth=1
	s_branch .LBB8_508
.LBB8_506:                              ;   in Loop: Header=BB8_454 Depth=1
	v_mov_b32_e32 v20, 0
	v_mov_b32_e32 v21, 0
.LBB8_507:                              ;   in Loop: Header=BB8_454 Depth=1
	s_cbranch_execnz .LBB8_509
.LBB8_508:                              ;   in Loop: Header=BB8_454 Depth=1
	global_load_dwordx2 v[20:21], v26, s[4:5]
.LBB8_509:                              ;   in Loop: Header=BB8_454 Depth=1
	v_readfirstlane_b32 s4, v32
	v_mov_b32_e32 v6, 0
	v_mov_b32_e32 v7, 0
	v_cmp_eq_u32_e64 s[4:5], s4, v32
	s_and_saveexec_b64 s[24:25], s[4:5]
	s_cbranch_execz .LBB8_515
; %bb.510:                              ;   in Loop: Header=BB8_454 Depth=1
	global_load_dwordx2 v[24:25], v26, s[6:7] offset:24 glc
	s_waitcnt vmcnt(0)
	buffer_wbinvl1_vol
	global_load_dwordx2 v[6:7], v26, s[6:7] offset:40
	global_load_dwordx2 v[22:23], v26, s[6:7]
	s_waitcnt vmcnt(1)
	v_and_b32_e32 v6, v6, v24
	v_and_b32_e32 v7, v7, v25
	v_mul_lo_u32 v7, v7, 24
	v_mul_hi_u32 v27, v6, 24
	v_mul_lo_u32 v6, v6, 24
	v_add_u32_e32 v7, v27, v7
	s_waitcnt vmcnt(0)
	v_add_co_u32_e32 v6, vcc, v22, v6
	v_addc_co_u32_e32 v7, vcc, v23, v7, vcc
	global_load_dwordx2 v[22:23], v[6:7], off glc
	s_waitcnt vmcnt(0)
	global_atomic_cmpswap_x2 v[6:7], v26, v[22:25], s[6:7] offset:24 glc
	s_waitcnt vmcnt(0)
	buffer_wbinvl1_vol
	v_cmp_ne_u64_e32 vcc, v[6:7], v[24:25]
	s_and_saveexec_b64 s[26:27], vcc
	s_cbranch_execz .LBB8_514
; %bb.511:                              ;   in Loop: Header=BB8_454 Depth=1
	s_mov_b64 s[28:29], 0
.LBB8_512:                              ;   Parent Loop BB8_454 Depth=1
                                        ; =>  This Inner Loop Header: Depth=2
	s_sleep 1
	global_load_dwordx2 v[22:23], v26, s[6:7] offset:40
	global_load_dwordx2 v[27:28], v26, s[6:7]
	v_mov_b32_e32 v25, v7
	v_mov_b32_e32 v24, v6
	s_waitcnt vmcnt(1)
	v_and_b32_e32 v6, v22, v24
	s_waitcnt vmcnt(0)
	v_mad_u64_u32 v[6:7], vcc, v6, 24, v[27:28]
	v_and_b32_e32 v22, v23, v25
	v_mad_u64_u32 v[22:23], vcc, v22, 24, v[7:8]
	v_mov_b32_e32 v7, v22
	global_load_dwordx2 v[22:23], v[6:7], off glc
	s_waitcnt vmcnt(0)
	global_atomic_cmpswap_x2 v[6:7], v26, v[22:25], s[6:7] offset:24 glc
	s_waitcnt vmcnt(0)
	buffer_wbinvl1_vol
	v_cmp_eq_u64_e32 vcc, v[6:7], v[24:25]
	s_or_b64 s[28:29], vcc, s[28:29]
	s_andn2_b64 exec, exec, s[28:29]
	s_cbranch_execnz .LBB8_512
; %bb.513:                              ;   in Loop: Header=BB8_454 Depth=1
	s_or_b64 exec, exec, s[28:29]
.LBB8_514:                              ;   in Loop: Header=BB8_454 Depth=1
	s_or_b64 exec, exec, s[26:27]
.LBB8_515:                              ;   in Loop: Header=BB8_454 Depth=1
	s_or_b64 exec, exec, s[24:25]
	global_load_dwordx2 v[27:28], v26, s[6:7] offset:40
	global_load_dwordx4 v[22:25], v26, s[6:7]
	v_readfirstlane_b32 s24, v6
	v_readfirstlane_b32 s25, v7
	s_mov_b64 s[26:27], exec
	s_waitcnt vmcnt(1)
	v_readfirstlane_b32 s28, v27
	v_readfirstlane_b32 s29, v28
	s_and_b64 s[28:29], s[24:25], s[28:29]
	s_mul_i32 s15, s29, 24
	s_mul_hi_u32 vcc_lo, s28, 24
	s_mul_i32 vcc_hi, s28, 24
	s_add_i32 s15, vcc_lo, s15
	v_mov_b32_e32 v6, s15
	s_waitcnt vmcnt(0)
	v_add_co_u32_e32 v27, vcc, vcc_hi, v22
	v_addc_co_u32_e32 v28, vcc, v23, v6, vcc
	s_and_saveexec_b64 vcc, s[4:5]
	s_cbranch_execz .LBB8_517
; %bb.516:                              ;   in Loop: Header=BB8_454 Depth=1
	v_mov_b32_e32 v6, s26
	v_mov_b32_e32 v7, s27
	global_store_dwordx4 v[27:28], v[6:9], off offset:8
.LBB8_517:                              ;   in Loop: Header=BB8_454 Depth=1
	s_or_b64 exec, exec, vcc
	s_lshl_b64 s[26:27], s[28:29], 12
	v_mov_b32_e32 v6, s27
	v_add_co_u32_e32 v24, vcc, s26, v24
	v_addc_co_u32_e32 v30, vcc, v25, v6, vcc
	v_cmp_gt_u64_e64 vcc, s[20:21], 56
	v_or_b32_e32 v7, v0, v29
	s_lshl_b32 s15, s22, 2
	v_cndmask_b32_e32 v0, v7, v0, vcc
	s_add_i32 s15, s15, 28
	v_or_b32_e32 v6, 0, v1
	s_and_b32 s15, s15, 0x1e0
	v_and_b32_e32 v0, 0xffffff1f, v0
	v_cndmask_b32_e32 v1, v6, v1, vcc
	v_or_b32_e32 v0, s15, v0
	v_readfirstlane_b32 s26, v24
	v_readfirstlane_b32 s27, v30
	s_nop 4
	global_store_dwordx4 v31, v[0:3], s[26:27]
	global_store_dwordx4 v31, v[10:13], s[26:27] offset:16
	global_store_dwordx4 v31, v[14:17], s[26:27] offset:32
	;; [unrolled: 1-line block ×3, first 2 shown]
	s_and_saveexec_b64 s[26:27], s[4:5]
	s_cbranch_execz .LBB8_525
; %bb.518:                              ;   in Loop: Header=BB8_454 Depth=1
	global_load_dwordx2 v[12:13], v26, s[6:7] offset:32 glc
	global_load_dwordx2 v[0:1], v26, s[6:7] offset:40
	v_mov_b32_e32 v10, s24
	v_mov_b32_e32 v11, s25
	s_waitcnt vmcnt(0)
	v_readfirstlane_b32 s28, v0
	v_readfirstlane_b32 s29, v1
	s_and_b64 s[28:29], s[28:29], s[24:25]
	s_mul_i32 s15, s29, 24
	s_mul_hi_u32 s29, s28, 24
	s_mul_i32 s28, s28, 24
	s_add_i32 s15, s29, s15
	v_mov_b32_e32 v0, s15
	v_add_co_u32_e32 v6, vcc, s28, v22
	v_addc_co_u32_e32 v7, vcc, v23, v0, vcc
	global_store_dwordx2 v[6:7], v[12:13], off
	s_waitcnt vmcnt(0)
	global_atomic_cmpswap_x2 v[2:3], v26, v[10:13], s[6:7] offset:32 glc
	s_waitcnt vmcnt(0)
	v_cmp_ne_u64_e32 vcc, v[2:3], v[12:13]
	s_and_saveexec_b64 s[28:29], vcc
	s_cbranch_execz .LBB8_521
; %bb.519:                              ;   in Loop: Header=BB8_454 Depth=1
	s_mov_b64 s[30:31], 0
.LBB8_520:                              ;   Parent Loop BB8_454 Depth=1
                                        ; =>  This Inner Loop Header: Depth=2
	s_sleep 1
	global_store_dwordx2 v[6:7], v[2:3], off
	v_mov_b32_e32 v0, s24
	v_mov_b32_e32 v1, s25
	s_waitcnt vmcnt(0)
	global_atomic_cmpswap_x2 v[0:1], v26, v[0:3], s[6:7] offset:32 glc
	s_waitcnt vmcnt(0)
	v_cmp_eq_u64_e32 vcc, v[0:1], v[2:3]
	v_mov_b32_e32 v3, v1
	s_or_b64 s[30:31], vcc, s[30:31]
	v_mov_b32_e32 v2, v0
	s_andn2_b64 exec, exec, s[30:31]
	s_cbranch_execnz .LBB8_520
.LBB8_521:                              ;   in Loop: Header=BB8_454 Depth=1
	s_or_b64 exec, exec, s[28:29]
	global_load_dwordx2 v[0:1], v26, s[6:7] offset:16
	s_mov_b64 s[30:31], exec
	v_mbcnt_lo_u32_b32 v2, s30, 0
	v_mbcnt_hi_u32_b32 v2, s31, v2
	v_cmp_eq_u32_e32 vcc, 0, v2
	s_and_saveexec_b64 s[28:29], vcc
	s_cbranch_execz .LBB8_523
; %bb.522:                              ;   in Loop: Header=BB8_454 Depth=1
	s_bcnt1_i32_b64 s15, s[30:31]
	v_mov_b32_e32 v25, s15
	s_waitcnt vmcnt(0)
	global_atomic_add_x2 v[0:1], v[25:26], off offset:8
.LBB8_523:                              ;   in Loop: Header=BB8_454 Depth=1
	s_or_b64 exec, exec, s[28:29]
	s_waitcnt vmcnt(0)
	global_load_dwordx2 v[2:3], v[0:1], off offset:16
	s_waitcnt vmcnt(0)
	v_cmp_eq_u64_e32 vcc, 0, v[2:3]
	s_cbranch_vccnz .LBB8_525
; %bb.524:                              ;   in Loop: Header=BB8_454 Depth=1
	global_load_dword v25, v[0:1], off offset:24
	s_waitcnt vmcnt(0)
	v_and_b32_e32 v0, 0xffffff, v25
	v_readfirstlane_b32 m0, v0
	global_store_dwordx2 v[2:3], v[25:26], off
	s_sendmsg sendmsg(MSG_INTERRUPT)
.LBB8_525:                              ;   in Loop: Header=BB8_454 Depth=1
	s_or_b64 exec, exec, s[26:27]
	v_add_co_u32_e32 v0, vcc, v24, v31
	v_addc_co_u32_e32 v1, vcc, 0, v30, vcc
	s_branch .LBB8_529
.LBB8_526:                              ;   in Loop: Header=BB8_529 Depth=2
	s_or_b64 exec, exec, s[26:27]
	v_readfirstlane_b32 s15, v2
	s_cmp_eq_u32 s15, 0
	s_cbranch_scc1 .LBB8_528
; %bb.527:                              ;   in Loop: Header=BB8_529 Depth=2
	s_sleep 1
	s_cbranch_execnz .LBB8_529
	s_branch .LBB8_531
.LBB8_528:                              ;   in Loop: Header=BB8_454 Depth=1
	s_branch .LBB8_531
.LBB8_529:                              ;   Parent Loop BB8_454 Depth=1
                                        ; =>  This Inner Loop Header: Depth=2
	v_mov_b32_e32 v2, 1
	s_and_saveexec_b64 s[26:27], s[4:5]
	s_cbranch_execz .LBB8_526
; %bb.530:                              ;   in Loop: Header=BB8_529 Depth=2
	global_load_dword v2, v[27:28], off offset:20 glc
	s_waitcnt vmcnt(0)
	buffer_wbinvl1_vol
	v_and_b32_e32 v2, 1, v2
	s_branch .LBB8_526
.LBB8_531:                              ;   in Loop: Header=BB8_454 Depth=1
	global_load_dwordx4 v[0:3], v[0:1], off
	s_and_saveexec_b64 s[26:27], s[4:5]
	s_cbranch_execz .LBB8_453
; %bb.532:                              ;   in Loop: Header=BB8_454 Depth=1
	global_load_dwordx2 v[2:3], v26, s[6:7] offset:40
	global_load_dwordx2 v[6:7], v26, s[6:7] offset:24 glc
	global_load_dwordx2 v[13:14], v26, s[6:7]
	v_mov_b32_e32 v11, s25
	s_waitcnt vmcnt(2)
	v_add_co_u32_e32 v12, vcc, 1, v2
	v_addc_co_u32_e32 v15, vcc, 0, v3, vcc
	v_add_co_u32_e32 v10, vcc, s24, v12
	v_addc_co_u32_e32 v11, vcc, v15, v11, vcc
	v_cmp_eq_u64_e32 vcc, 0, v[10:11]
	v_cndmask_b32_e32 v11, v11, v15, vcc
	v_cndmask_b32_e32 v10, v10, v12, vcc
	v_and_b32_e32 v3, v11, v3
	v_and_b32_e32 v2, v10, v2
	v_mul_lo_u32 v3, v3, 24
	v_mul_hi_u32 v15, v2, 24
	v_mul_lo_u32 v2, v2, 24
	s_waitcnt vmcnt(1)
	v_mov_b32_e32 v12, v6
	v_add_u32_e32 v3, v15, v3
	s_waitcnt vmcnt(0)
	v_add_co_u32_e32 v2, vcc, v13, v2
	v_addc_co_u32_e32 v3, vcc, v14, v3, vcc
	global_store_dwordx2 v[2:3], v[6:7], off
	v_mov_b32_e32 v13, v7
	s_waitcnt vmcnt(0)
	global_atomic_cmpswap_x2 v[12:13], v26, v[10:13], s[6:7] offset:24 glc
	s_waitcnt vmcnt(0)
	v_cmp_ne_u64_e32 vcc, v[12:13], v[6:7]
	s_and_b64 exec, exec, vcc
	s_cbranch_execz .LBB8_453
; %bb.533:                              ;   in Loop: Header=BB8_454 Depth=1
	s_mov_b64 s[4:5], 0
.LBB8_534:                              ;   Parent Loop BB8_454 Depth=1
                                        ; =>  This Inner Loop Header: Depth=2
	s_sleep 1
	global_store_dwordx2 v[2:3], v[12:13], off
	s_waitcnt vmcnt(0)
	global_atomic_cmpswap_x2 v[6:7], v26, v[10:13], s[6:7] offset:24 glc
	s_waitcnt vmcnt(0)
	v_cmp_eq_u64_e32 vcc, v[6:7], v[12:13]
	v_mov_b32_e32 v13, v7
	s_or_b64 s[4:5], vcc, s[4:5]
	v_mov_b32_e32 v12, v6
	s_andn2_b64 exec, exec, s[4:5]
	s_cbranch_execnz .LBB8_534
	s_branch .LBB8_453
.LBB8_535:
	s_branch .LBB8_563
.LBB8_536:
                                        ; implicit-def: $vgpr0_vgpr1
	s_cbranch_execz .LBB8_563
; %bb.537:
	v_readfirstlane_b32 s4, v32
	v_mov_b32_e32 v7, 0
	v_mov_b32_e32 v8, 0
	v_cmp_eq_u32_e64 s[4:5], s4, v32
	s_and_saveexec_b64 s[18:19], s[4:5]
	s_cbranch_execz .LBB8_543
; %bb.538:
	s_waitcnt vmcnt(0)
	v_mov_b32_e32 v0, 0
	global_load_dwordx2 v[9:10], v0, s[6:7] offset:24 glc
	s_waitcnt vmcnt(0)
	buffer_wbinvl1_vol
	global_load_dwordx2 v[1:2], v0, s[6:7] offset:40
	global_load_dwordx2 v[6:7], v0, s[6:7]
	s_waitcnt vmcnt(1)
	v_and_b32_e32 v1, v1, v9
	v_and_b32_e32 v2, v2, v10
	v_mul_lo_u32 v2, v2, 24
	v_mul_hi_u32 v3, v1, 24
	v_mul_lo_u32 v1, v1, 24
	v_add_u32_e32 v2, v3, v2
	s_waitcnt vmcnt(0)
	v_add_co_u32_e32 v1, vcc, v6, v1
	v_addc_co_u32_e32 v2, vcc, v7, v2, vcc
	global_load_dwordx2 v[7:8], v[1:2], off glc
	s_waitcnt vmcnt(0)
	global_atomic_cmpswap_x2 v[7:8], v0, v[7:10], s[6:7] offset:24 glc
	s_waitcnt vmcnt(0)
	buffer_wbinvl1_vol
	v_cmp_ne_u64_e32 vcc, v[7:8], v[9:10]
	s_and_saveexec_b64 s[20:21], vcc
	s_cbranch_execz .LBB8_542
; %bb.539:
	s_mov_b64 s[22:23], 0
.LBB8_540:                              ; =>This Inner Loop Header: Depth=1
	s_sleep 1
	global_load_dwordx2 v[1:2], v0, s[6:7] offset:40
	global_load_dwordx2 v[11:12], v0, s[6:7]
	v_mov_b32_e32 v10, v8
	v_mov_b32_e32 v9, v7
	s_waitcnt vmcnt(1)
	v_and_b32_e32 v1, v1, v9
	s_waitcnt vmcnt(0)
	v_mad_u64_u32 v[6:7], s[24:25], v1, 24, v[11:12]
	v_and_b32_e32 v2, v2, v10
	v_mov_b32_e32 v1, v7
	v_mad_u64_u32 v[1:2], s[24:25], v2, 24, v[1:2]
	v_mov_b32_e32 v7, v1
	global_load_dwordx2 v[7:8], v[6:7], off glc
	s_waitcnt vmcnt(0)
	global_atomic_cmpswap_x2 v[7:8], v0, v[7:10], s[6:7] offset:24 glc
	s_waitcnt vmcnt(0)
	buffer_wbinvl1_vol
	v_cmp_eq_u64_e32 vcc, v[7:8], v[9:10]
	s_or_b64 s[22:23], vcc, s[22:23]
	s_andn2_b64 exec, exec, s[22:23]
	s_cbranch_execnz .LBB8_540
; %bb.541:
	s_or_b64 exec, exec, s[22:23]
.LBB8_542:
	s_or_b64 exec, exec, s[20:21]
.LBB8_543:
	s_or_b64 exec, exec, s[18:19]
	v_mov_b32_e32 v6, 0
	global_load_dwordx2 v[9:10], v6, s[6:7] offset:40
	global_load_dwordx4 v[0:3], v6, s[6:7]
	v_readfirstlane_b32 s18, v7
	v_readfirstlane_b32 s19, v8
	s_mov_b64 s[20:21], exec
	s_waitcnt vmcnt(1)
	v_readfirstlane_b32 s22, v9
	v_readfirstlane_b32 s23, v10
	s_and_b64 s[22:23], s[18:19], s[22:23]
	s_mul_i32 s15, s23, 24
	s_mul_hi_u32 s24, s22, 24
	s_mul_i32 s25, s22, 24
	s_add_i32 s15, s24, s15
	v_mov_b32_e32 v7, s15
	s_waitcnt vmcnt(0)
	v_add_co_u32_e32 v8, vcc, s25, v0
	v_addc_co_u32_e32 v9, vcc, v1, v7, vcc
	s_and_saveexec_b64 s[24:25], s[4:5]
	s_cbranch_execz .LBB8_545
; %bb.544:
	v_mov_b32_e32 v10, s20
	v_mov_b32_e32 v11, s21
	;; [unrolled: 1-line block ×4, first 2 shown]
	global_store_dwordx4 v[8:9], v[10:13], off offset:8
.LBB8_545:
	s_or_b64 exec, exec, s[24:25]
	s_lshl_b64 s[20:21], s[22:23], 12
	v_mov_b32_e32 v7, s21
	v_add_co_u32_e32 v2, vcc, s20, v2
	v_addc_co_u32_e32 v3, vcc, v3, v7, vcc
	s_movk_i32 s15, 0xff1f
	v_and_or_b32 v4, v4, s15, 32
	v_add_co_u32_e32 v10, vcc, v2, v31
	s_mov_b32 s20, 0
	v_mov_b32_e32 v7, v6
	v_readfirstlane_b32 s24, v2
	v_readfirstlane_b32 s25, v3
	v_addc_co_u32_e32 v11, vcc, 0, v3, vcc
	s_mov_b32 s21, s20
	s_mov_b32 s22, s20
	;; [unrolled: 1-line block ×3, first 2 shown]
	s_nop 0
	global_store_dwordx4 v31, v[4:7], s[24:25]
	v_mov_b32_e32 v2, s20
	v_mov_b32_e32 v3, s21
	;; [unrolled: 1-line block ×4, first 2 shown]
	global_store_dwordx4 v31, v[2:5], s[24:25] offset:16
	global_store_dwordx4 v31, v[2:5], s[24:25] offset:32
	;; [unrolled: 1-line block ×3, first 2 shown]
	s_and_saveexec_b64 s[20:21], s[4:5]
	s_cbranch_execz .LBB8_553
; %bb.546:
	v_mov_b32_e32 v6, 0
	global_load_dwordx2 v[14:15], v6, s[6:7] offset:32 glc
	global_load_dwordx2 v[2:3], v6, s[6:7] offset:40
	v_mov_b32_e32 v12, s18
	v_mov_b32_e32 v13, s19
	s_waitcnt vmcnt(0)
	v_readfirstlane_b32 s22, v2
	v_readfirstlane_b32 s23, v3
	s_and_b64 s[22:23], s[22:23], s[18:19]
	s_mul_i32 s15, s23, 24
	s_mul_hi_u32 s23, s22, 24
	s_mul_i32 s22, s22, 24
	s_add_i32 s15, s23, s15
	v_mov_b32_e32 v2, s15
	v_add_co_u32_e32 v4, vcc, s22, v0
	v_addc_co_u32_e32 v5, vcc, v1, v2, vcc
	global_store_dwordx2 v[4:5], v[14:15], off
	s_waitcnt vmcnt(0)
	global_atomic_cmpswap_x2 v[2:3], v6, v[12:15], s[6:7] offset:32 glc
	s_waitcnt vmcnt(0)
	v_cmp_ne_u64_e32 vcc, v[2:3], v[14:15]
	s_and_saveexec_b64 s[22:23], vcc
	s_cbranch_execz .LBB8_549
; %bb.547:
	s_mov_b64 s[24:25], 0
.LBB8_548:                              ; =>This Inner Loop Header: Depth=1
	s_sleep 1
	global_store_dwordx2 v[4:5], v[2:3], off
	v_mov_b32_e32 v0, s18
	v_mov_b32_e32 v1, s19
	s_waitcnt vmcnt(0)
	global_atomic_cmpswap_x2 v[0:1], v6, v[0:3], s[6:7] offset:32 glc
	s_waitcnt vmcnt(0)
	v_cmp_eq_u64_e32 vcc, v[0:1], v[2:3]
	v_mov_b32_e32 v3, v1
	s_or_b64 s[24:25], vcc, s[24:25]
	v_mov_b32_e32 v2, v0
	s_andn2_b64 exec, exec, s[24:25]
	s_cbranch_execnz .LBB8_548
.LBB8_549:
	s_or_b64 exec, exec, s[22:23]
	v_mov_b32_e32 v3, 0
	global_load_dwordx2 v[0:1], v3, s[6:7] offset:16
	s_mov_b64 s[22:23], exec
	v_mbcnt_lo_u32_b32 v2, s22, 0
	v_mbcnt_hi_u32_b32 v2, s23, v2
	v_cmp_eq_u32_e32 vcc, 0, v2
	s_and_saveexec_b64 s[24:25], vcc
	s_cbranch_execz .LBB8_551
; %bb.550:
	s_bcnt1_i32_b64 s15, s[22:23]
	v_mov_b32_e32 v2, s15
	s_waitcnt vmcnt(0)
	global_atomic_add_x2 v[0:1], v[2:3], off offset:8
.LBB8_551:
	s_or_b64 exec, exec, s[24:25]
	s_waitcnt vmcnt(0)
	global_load_dwordx2 v[2:3], v[0:1], off offset:16
	s_waitcnt vmcnt(0)
	v_cmp_eq_u64_e32 vcc, 0, v[2:3]
	s_cbranch_vccnz .LBB8_553
; %bb.552:
	global_load_dword v0, v[0:1], off offset:24
	v_mov_b32_e32 v1, 0
	s_waitcnt vmcnt(0)
	global_store_dwordx2 v[2:3], v[0:1], off
	v_and_b32_e32 v0, 0xffffff, v0
	v_readfirstlane_b32 m0, v0
	s_sendmsg sendmsg(MSG_INTERRUPT)
.LBB8_553:
	s_or_b64 exec, exec, s[20:21]
	s_branch .LBB8_557
.LBB8_554:                              ;   in Loop: Header=BB8_557 Depth=1
	s_or_b64 exec, exec, s[20:21]
	v_readfirstlane_b32 s15, v0
	s_cmp_eq_u32 s15, 0
	s_cbranch_scc1 .LBB8_556
; %bb.555:                              ;   in Loop: Header=BB8_557 Depth=1
	s_sleep 1
	s_cbranch_execnz .LBB8_557
	s_branch .LBB8_559
.LBB8_556:
	s_branch .LBB8_559
.LBB8_557:                              ; =>This Inner Loop Header: Depth=1
	v_mov_b32_e32 v0, 1
	s_and_saveexec_b64 s[20:21], s[4:5]
	s_cbranch_execz .LBB8_554
; %bb.558:                              ;   in Loop: Header=BB8_557 Depth=1
	global_load_dword v0, v[8:9], off offset:20 glc
	s_waitcnt vmcnt(0)
	buffer_wbinvl1_vol
	v_and_b32_e32 v0, 1, v0
	s_branch .LBB8_554
.LBB8_559:
	global_load_dwordx2 v[0:1], v[10:11], off
	s_and_saveexec_b64 s[20:21], s[4:5]
	s_cbranch_execz .LBB8_562
; %bb.560:
	v_mov_b32_e32 v8, 0
	global_load_dwordx2 v[4:5], v8, s[6:7] offset:40
	global_load_dwordx2 v[9:10], v8, s[6:7] offset:24 glc
	global_load_dwordx2 v[6:7], v8, s[6:7]
	v_mov_b32_e32 v3, s19
	s_mov_b64 s[4:5], 0
	s_waitcnt vmcnt(2)
	v_add_co_u32_e32 v11, vcc, 1, v4
	v_addc_co_u32_e32 v12, vcc, 0, v5, vcc
	v_add_co_u32_e32 v2, vcc, s18, v11
	v_addc_co_u32_e32 v3, vcc, v12, v3, vcc
	v_cmp_eq_u64_e32 vcc, 0, v[2:3]
	v_cndmask_b32_e32 v3, v3, v12, vcc
	v_cndmask_b32_e32 v2, v2, v11, vcc
	v_and_b32_e32 v5, v3, v5
	v_and_b32_e32 v4, v2, v4
	v_mul_lo_u32 v5, v5, 24
	v_mul_hi_u32 v11, v4, 24
	v_mul_lo_u32 v12, v4, 24
	s_waitcnt vmcnt(1)
	v_mov_b32_e32 v4, v9
	v_add_u32_e32 v5, v11, v5
	s_waitcnt vmcnt(0)
	v_add_co_u32_e32 v6, vcc, v6, v12
	v_addc_co_u32_e32 v7, vcc, v7, v5, vcc
	global_store_dwordx2 v[6:7], v[9:10], off
	v_mov_b32_e32 v5, v10
	s_waitcnt vmcnt(0)
	global_atomic_cmpswap_x2 v[4:5], v8, v[2:5], s[6:7] offset:24 glc
	s_waitcnt vmcnt(0)
	v_cmp_ne_u64_e32 vcc, v[4:5], v[9:10]
	s_and_b64 exec, exec, vcc
	s_cbranch_execz .LBB8_562
.LBB8_561:                              ; =>This Inner Loop Header: Depth=1
	s_sleep 1
	global_store_dwordx2 v[6:7], v[4:5], off
	s_waitcnt vmcnt(0)
	global_atomic_cmpswap_x2 v[9:10], v8, v[2:5], s[6:7] offset:24 glc
	s_waitcnt vmcnt(0)
	v_cmp_eq_u64_e32 vcc, v[9:10], v[4:5]
	v_mov_b32_e32 v4, v9
	s_or_b64 s[4:5], vcc, s[4:5]
	v_mov_b32_e32 v5, v10
	s_andn2_b64 exec, exec, s[4:5]
	s_cbranch_execnz .LBB8_561
.LBB8_562:
	s_or_b64 exec, exec, s[20:21]
.LBB8_563:
	s_getpc_b64 s[18:19]
	s_add_u32 s18, s18, .str.1@rel32@lo+4
	s_addc_u32 s19, s19, .str.1@rel32@hi+12
	s_cmp_lg_u64 s[18:19], 0
	s_cbranch_scc0 .LBB8_648
; %bb.564:
	s_waitcnt vmcnt(0)
	v_and_b32_e32 v6, -3, v0
	v_mov_b32_e32 v7, v1
	s_mov_b64 s[20:21], 0x53
	v_mov_b32_e32 v26, 0
	v_mov_b32_e32 v4, 2
	;; [unrolled: 1-line block ×3, first 2 shown]
	s_branch .LBB8_566
.LBB8_565:                              ;   in Loop: Header=BB8_566 Depth=1
	s_or_b64 exec, exec, s[26:27]
	s_sub_u32 s20, s20, s22
	s_subb_u32 s21, s21, s23
	s_add_u32 s18, s18, s22
	s_addc_u32 s19, s19, s23
	s_cmp_lg_u64 s[20:21], 0
	s_cbranch_scc0 .LBB8_647
.LBB8_566:                              ; =>This Loop Header: Depth=1
                                        ;     Child Loop BB8_569 Depth 2
                                        ;     Child Loop BB8_576 Depth 2
	;; [unrolled: 1-line block ×11, first 2 shown]
	v_cmp_lt_u64_e64 s[4:5], s[20:21], 56
	v_cmp_gt_u64_e64 s[24:25], s[20:21], 7
	s_and_b64 s[4:5], s[4:5], exec
	s_cselect_b32 s23, s21, 0
	s_cselect_b32 s22, s20, 56
	s_and_b64 vcc, exec, s[24:25]
	s_cbranch_vccnz .LBB8_571
; %bb.567:                              ;   in Loop: Header=BB8_566 Depth=1
	s_waitcnt vmcnt(0)
	v_mov_b32_e32 v8, 0
	s_cmp_eq_u64 s[20:21], 0
	v_mov_b32_e32 v9, 0
	s_mov_b64 s[4:5], 0
	s_cbranch_scc1 .LBB8_570
; %bb.568:                              ;   in Loop: Header=BB8_566 Depth=1
	v_mov_b32_e32 v8, 0
	s_lshl_b64 s[24:25], s[22:23], 3
	s_mov_b64 s[26:27], 0
	v_mov_b32_e32 v9, 0
	s_mov_b64 s[28:29], s[18:19]
.LBB8_569:                              ;   Parent Loop BB8_566 Depth=1
                                        ; =>  This Inner Loop Header: Depth=2
	global_load_ubyte v2, v26, s[28:29]
	s_waitcnt vmcnt(0)
	v_and_b32_e32 v25, 0xffff, v2
	v_lshlrev_b64 v[2:3], s26, v[25:26]
	s_add_u32 s26, s26, 8
	s_addc_u32 s27, s27, 0
	s_add_u32 s28, s28, 1
	s_addc_u32 s29, s29, 0
	v_or_b32_e32 v8, v2, v8
	s_cmp_lg_u32 s24, s26
	v_or_b32_e32 v9, v3, v9
	s_cbranch_scc1 .LBB8_569
.LBB8_570:                              ;   in Loop: Header=BB8_566 Depth=1
	s_mov_b32 s15, 0
	s_andn2_b64 vcc, exec, s[4:5]
	s_mov_b64 s[4:5], s[18:19]
	s_cbranch_vccz .LBB8_572
	s_branch .LBB8_573
.LBB8_571:                              ;   in Loop: Header=BB8_566 Depth=1
                                        ; implicit-def: $sgpr15
	s_mov_b64 s[4:5], s[18:19]
.LBB8_572:                              ;   in Loop: Header=BB8_566 Depth=1
	global_load_dwordx2 v[8:9], v26, s[18:19]
	s_add_i32 s15, s22, -8
	s_add_u32 s4, s18, 8
	s_addc_u32 s5, s19, 0
.LBB8_573:                              ;   in Loop: Header=BB8_566 Depth=1
	s_cmp_gt_u32 s15, 7
	s_cbranch_scc1 .LBB8_577
; %bb.574:                              ;   in Loop: Header=BB8_566 Depth=1
	s_cmp_eq_u32 s15, 0
	s_cbranch_scc1 .LBB8_578
; %bb.575:                              ;   in Loop: Header=BB8_566 Depth=1
	v_mov_b32_e32 v10, 0
	s_mov_b64 s[24:25], 0
	v_mov_b32_e32 v11, 0
	s_mov_b64 s[26:27], 0
.LBB8_576:                              ;   Parent Loop BB8_566 Depth=1
                                        ; =>  This Inner Loop Header: Depth=2
	s_add_u32 s28, s4, s26
	s_addc_u32 s29, s5, s27
	global_load_ubyte v2, v26, s[28:29]
	s_add_u32 s26, s26, 1
	s_addc_u32 s27, s27, 0
	s_waitcnt vmcnt(0)
	v_and_b32_e32 v25, 0xffff, v2
	v_lshlrev_b64 v[2:3], s24, v[25:26]
	s_add_u32 s24, s24, 8
	s_addc_u32 s25, s25, 0
	v_or_b32_e32 v10, v2, v10
	s_cmp_lg_u32 s15, s26
	v_or_b32_e32 v11, v3, v11
	s_cbranch_scc1 .LBB8_576
	s_branch .LBB8_579
.LBB8_577:                              ;   in Loop: Header=BB8_566 Depth=1
                                        ; implicit-def: $vgpr10_vgpr11
                                        ; implicit-def: $sgpr28
	s_branch .LBB8_580
.LBB8_578:                              ;   in Loop: Header=BB8_566 Depth=1
	v_mov_b32_e32 v10, 0
	v_mov_b32_e32 v11, 0
.LBB8_579:                              ;   in Loop: Header=BB8_566 Depth=1
	s_mov_b32 s28, 0
	s_cbranch_execnz .LBB8_581
.LBB8_580:                              ;   in Loop: Header=BB8_566 Depth=1
	global_load_dwordx2 v[10:11], v26, s[4:5]
	s_add_i32 s28, s15, -8
	s_add_u32 s4, s4, 8
	s_addc_u32 s5, s5, 0
.LBB8_581:                              ;   in Loop: Header=BB8_566 Depth=1
	s_cmp_gt_u32 s28, 7
	s_cbranch_scc1 .LBB8_585
; %bb.582:                              ;   in Loop: Header=BB8_566 Depth=1
	s_cmp_eq_u32 s28, 0
	s_cbranch_scc1 .LBB8_586
; %bb.583:                              ;   in Loop: Header=BB8_566 Depth=1
	v_mov_b32_e32 v12, 0
	s_mov_b64 s[24:25], 0
	v_mov_b32_e32 v13, 0
	s_mov_b64 s[26:27], 0
.LBB8_584:                              ;   Parent Loop BB8_566 Depth=1
                                        ; =>  This Inner Loop Header: Depth=2
	s_add_u32 vcc_lo, s4, s26
	s_addc_u32 vcc_hi, s5, s27
	global_load_ubyte v2, v26, vcc
	s_add_u32 s26, s26, 1
	s_addc_u32 s27, s27, 0
	s_waitcnt vmcnt(0)
	v_and_b32_e32 v25, 0xffff, v2
	v_lshlrev_b64 v[2:3], s24, v[25:26]
	s_add_u32 s24, s24, 8
	s_addc_u32 s25, s25, 0
	v_or_b32_e32 v12, v2, v12
	s_cmp_lg_u32 s28, s26
	v_or_b32_e32 v13, v3, v13
	s_cbranch_scc1 .LBB8_584
	s_branch .LBB8_587
.LBB8_585:                              ;   in Loop: Header=BB8_566 Depth=1
                                        ; implicit-def: $sgpr15
	s_branch .LBB8_588
.LBB8_586:                              ;   in Loop: Header=BB8_566 Depth=1
	v_mov_b32_e32 v12, 0
	v_mov_b32_e32 v13, 0
.LBB8_587:                              ;   in Loop: Header=BB8_566 Depth=1
	s_mov_b32 s15, 0
	s_cbranch_execnz .LBB8_589
.LBB8_588:                              ;   in Loop: Header=BB8_566 Depth=1
	global_load_dwordx2 v[12:13], v26, s[4:5]
	s_add_i32 s15, s28, -8
	s_add_u32 s4, s4, 8
	s_addc_u32 s5, s5, 0
.LBB8_589:                              ;   in Loop: Header=BB8_566 Depth=1
	s_cmp_gt_u32 s15, 7
	s_cbranch_scc1 .LBB8_593
; %bb.590:                              ;   in Loop: Header=BB8_566 Depth=1
	s_cmp_eq_u32 s15, 0
	s_cbranch_scc1 .LBB8_594
; %bb.591:                              ;   in Loop: Header=BB8_566 Depth=1
	v_mov_b32_e32 v14, 0
	s_mov_b64 s[24:25], 0
	v_mov_b32_e32 v15, 0
	s_mov_b64 s[26:27], 0
.LBB8_592:                              ;   Parent Loop BB8_566 Depth=1
                                        ; =>  This Inner Loop Header: Depth=2
	s_add_u32 s28, s4, s26
	s_addc_u32 s29, s5, s27
	global_load_ubyte v2, v26, s[28:29]
	s_add_u32 s26, s26, 1
	s_addc_u32 s27, s27, 0
	s_waitcnt vmcnt(0)
	v_and_b32_e32 v25, 0xffff, v2
	v_lshlrev_b64 v[2:3], s24, v[25:26]
	s_add_u32 s24, s24, 8
	s_addc_u32 s25, s25, 0
	v_or_b32_e32 v14, v2, v14
	s_cmp_lg_u32 s15, s26
	v_or_b32_e32 v15, v3, v15
	s_cbranch_scc1 .LBB8_592
	s_branch .LBB8_595
.LBB8_593:                              ;   in Loop: Header=BB8_566 Depth=1
                                        ; implicit-def: $vgpr14_vgpr15
                                        ; implicit-def: $sgpr28
	s_branch .LBB8_596
.LBB8_594:                              ;   in Loop: Header=BB8_566 Depth=1
	v_mov_b32_e32 v14, 0
	v_mov_b32_e32 v15, 0
.LBB8_595:                              ;   in Loop: Header=BB8_566 Depth=1
	s_mov_b32 s28, 0
	s_cbranch_execnz .LBB8_597
.LBB8_596:                              ;   in Loop: Header=BB8_566 Depth=1
	global_load_dwordx2 v[14:15], v26, s[4:5]
	s_add_i32 s28, s15, -8
	s_add_u32 s4, s4, 8
	s_addc_u32 s5, s5, 0
.LBB8_597:                              ;   in Loop: Header=BB8_566 Depth=1
	s_cmp_gt_u32 s28, 7
	s_cbranch_scc1 .LBB8_601
; %bb.598:                              ;   in Loop: Header=BB8_566 Depth=1
	s_cmp_eq_u32 s28, 0
	s_cbranch_scc1 .LBB8_602
; %bb.599:                              ;   in Loop: Header=BB8_566 Depth=1
	v_mov_b32_e32 v16, 0
	s_mov_b64 s[24:25], 0
	v_mov_b32_e32 v17, 0
	s_mov_b64 s[26:27], 0
.LBB8_600:                              ;   Parent Loop BB8_566 Depth=1
                                        ; =>  This Inner Loop Header: Depth=2
	s_add_u32 vcc_lo, s4, s26
	s_addc_u32 vcc_hi, s5, s27
	global_load_ubyte v2, v26, vcc
	s_add_u32 s26, s26, 1
	s_addc_u32 s27, s27, 0
	s_waitcnt vmcnt(0)
	v_and_b32_e32 v25, 0xffff, v2
	v_lshlrev_b64 v[2:3], s24, v[25:26]
	s_add_u32 s24, s24, 8
	s_addc_u32 s25, s25, 0
	v_or_b32_e32 v16, v2, v16
	s_cmp_lg_u32 s28, s26
	v_or_b32_e32 v17, v3, v17
	s_cbranch_scc1 .LBB8_600
	s_branch .LBB8_603
.LBB8_601:                              ;   in Loop: Header=BB8_566 Depth=1
                                        ; implicit-def: $sgpr15
	s_branch .LBB8_604
.LBB8_602:                              ;   in Loop: Header=BB8_566 Depth=1
	v_mov_b32_e32 v16, 0
	v_mov_b32_e32 v17, 0
.LBB8_603:                              ;   in Loop: Header=BB8_566 Depth=1
	s_mov_b32 s15, 0
	s_cbranch_execnz .LBB8_605
.LBB8_604:                              ;   in Loop: Header=BB8_566 Depth=1
	global_load_dwordx2 v[16:17], v26, s[4:5]
	s_add_i32 s15, s28, -8
	s_add_u32 s4, s4, 8
	s_addc_u32 s5, s5, 0
.LBB8_605:                              ;   in Loop: Header=BB8_566 Depth=1
	s_cmp_gt_u32 s15, 7
	s_cbranch_scc1 .LBB8_609
; %bb.606:                              ;   in Loop: Header=BB8_566 Depth=1
	s_cmp_eq_u32 s15, 0
	s_cbranch_scc1 .LBB8_610
; %bb.607:                              ;   in Loop: Header=BB8_566 Depth=1
	v_mov_b32_e32 v18, 0
	s_mov_b64 s[24:25], 0
	v_mov_b32_e32 v19, 0
	s_mov_b64 s[26:27], 0
.LBB8_608:                              ;   Parent Loop BB8_566 Depth=1
                                        ; =>  This Inner Loop Header: Depth=2
	s_add_u32 s28, s4, s26
	s_addc_u32 s29, s5, s27
	global_load_ubyte v2, v26, s[28:29]
	s_add_u32 s26, s26, 1
	s_addc_u32 s27, s27, 0
	s_waitcnt vmcnt(0)
	v_and_b32_e32 v25, 0xffff, v2
	v_lshlrev_b64 v[2:3], s24, v[25:26]
	s_add_u32 s24, s24, 8
	s_addc_u32 s25, s25, 0
	v_or_b32_e32 v18, v2, v18
	s_cmp_lg_u32 s15, s26
	v_or_b32_e32 v19, v3, v19
	s_cbranch_scc1 .LBB8_608
	s_branch .LBB8_611
.LBB8_609:                              ;   in Loop: Header=BB8_566 Depth=1
                                        ; implicit-def: $vgpr18_vgpr19
                                        ; implicit-def: $sgpr28
	s_branch .LBB8_612
.LBB8_610:                              ;   in Loop: Header=BB8_566 Depth=1
	v_mov_b32_e32 v18, 0
	v_mov_b32_e32 v19, 0
.LBB8_611:                              ;   in Loop: Header=BB8_566 Depth=1
	s_mov_b32 s28, 0
	s_cbranch_execnz .LBB8_613
.LBB8_612:                              ;   in Loop: Header=BB8_566 Depth=1
	global_load_dwordx2 v[18:19], v26, s[4:5]
	s_add_i32 s28, s15, -8
	s_add_u32 s4, s4, 8
	s_addc_u32 s5, s5, 0
.LBB8_613:                              ;   in Loop: Header=BB8_566 Depth=1
	s_cmp_gt_u32 s28, 7
	s_cbranch_scc1 .LBB8_617
; %bb.614:                              ;   in Loop: Header=BB8_566 Depth=1
	s_cmp_eq_u32 s28, 0
	s_cbranch_scc1 .LBB8_618
; %bb.615:                              ;   in Loop: Header=BB8_566 Depth=1
	v_mov_b32_e32 v20, 0
	s_mov_b64 s[24:25], 0
	v_mov_b32_e32 v21, 0
	s_mov_b64 s[26:27], s[4:5]
.LBB8_616:                              ;   Parent Loop BB8_566 Depth=1
                                        ; =>  This Inner Loop Header: Depth=2
	global_load_ubyte v2, v26, s[26:27]
	s_add_i32 s28, s28, -1
	s_waitcnt vmcnt(0)
	v_and_b32_e32 v25, 0xffff, v2
	v_lshlrev_b64 v[2:3], s24, v[25:26]
	s_add_u32 s24, s24, 8
	s_addc_u32 s25, s25, 0
	s_add_u32 s26, s26, 1
	s_addc_u32 s27, s27, 0
	v_or_b32_e32 v20, v2, v20
	s_cmp_lg_u32 s28, 0
	v_or_b32_e32 v21, v3, v21
	s_cbranch_scc1 .LBB8_616
	s_branch .LBB8_619
.LBB8_617:                              ;   in Loop: Header=BB8_566 Depth=1
	s_branch .LBB8_620
.LBB8_618:                              ;   in Loop: Header=BB8_566 Depth=1
	v_mov_b32_e32 v20, 0
	v_mov_b32_e32 v21, 0
.LBB8_619:                              ;   in Loop: Header=BB8_566 Depth=1
	s_cbranch_execnz .LBB8_621
.LBB8_620:                              ;   in Loop: Header=BB8_566 Depth=1
	global_load_dwordx2 v[20:21], v26, s[4:5]
.LBB8_621:                              ;   in Loop: Header=BB8_566 Depth=1
	v_readfirstlane_b32 s4, v32
	v_mov_b32_e32 v2, 0
	v_mov_b32_e32 v3, 0
	v_cmp_eq_u32_e64 s[4:5], s4, v32
	s_and_saveexec_b64 s[24:25], s[4:5]
	s_cbranch_execz .LBB8_627
; %bb.622:                              ;   in Loop: Header=BB8_566 Depth=1
	global_load_dwordx2 v[24:25], v26, s[6:7] offset:24 glc
	s_waitcnt vmcnt(0)
	buffer_wbinvl1_vol
	global_load_dwordx2 v[2:3], v26, s[6:7] offset:40
	global_load_dwordx2 v[22:23], v26, s[6:7]
	s_waitcnt vmcnt(1)
	v_and_b32_e32 v2, v2, v24
	v_and_b32_e32 v3, v3, v25
	v_mul_lo_u32 v3, v3, 24
	v_mul_hi_u32 v27, v2, 24
	v_mul_lo_u32 v2, v2, 24
	v_add_u32_e32 v3, v27, v3
	s_waitcnt vmcnt(0)
	v_add_co_u32_e32 v2, vcc, v22, v2
	v_addc_co_u32_e32 v3, vcc, v23, v3, vcc
	global_load_dwordx2 v[22:23], v[2:3], off glc
	s_waitcnt vmcnt(0)
	global_atomic_cmpswap_x2 v[2:3], v26, v[22:25], s[6:7] offset:24 glc
	s_waitcnt vmcnt(0)
	buffer_wbinvl1_vol
	v_cmp_ne_u64_e32 vcc, v[2:3], v[24:25]
	s_and_saveexec_b64 s[26:27], vcc
	s_cbranch_execz .LBB8_626
; %bb.623:                              ;   in Loop: Header=BB8_566 Depth=1
	s_mov_b64 s[28:29], 0
.LBB8_624:                              ;   Parent Loop BB8_566 Depth=1
                                        ; =>  This Inner Loop Header: Depth=2
	s_sleep 1
	global_load_dwordx2 v[22:23], v26, s[6:7] offset:40
	global_load_dwordx2 v[27:28], v26, s[6:7]
	v_mov_b32_e32 v25, v3
	v_mov_b32_e32 v24, v2
	s_waitcnt vmcnt(1)
	v_and_b32_e32 v2, v22, v24
	s_waitcnt vmcnt(0)
	v_mad_u64_u32 v[2:3], vcc, v2, 24, v[27:28]
	v_and_b32_e32 v22, v23, v25
	v_mad_u64_u32 v[22:23], vcc, v22, 24, v[3:4]
	v_mov_b32_e32 v3, v22
	global_load_dwordx2 v[22:23], v[2:3], off glc
	s_waitcnt vmcnt(0)
	global_atomic_cmpswap_x2 v[2:3], v26, v[22:25], s[6:7] offset:24 glc
	s_waitcnt vmcnt(0)
	buffer_wbinvl1_vol
	v_cmp_eq_u64_e32 vcc, v[2:3], v[24:25]
	s_or_b64 s[28:29], vcc, s[28:29]
	s_andn2_b64 exec, exec, s[28:29]
	s_cbranch_execnz .LBB8_624
; %bb.625:                              ;   in Loop: Header=BB8_566 Depth=1
	s_or_b64 exec, exec, s[28:29]
.LBB8_626:                              ;   in Loop: Header=BB8_566 Depth=1
	s_or_b64 exec, exec, s[26:27]
.LBB8_627:                              ;   in Loop: Header=BB8_566 Depth=1
	s_or_b64 exec, exec, s[24:25]
	global_load_dwordx2 v[27:28], v26, s[6:7] offset:40
	global_load_dwordx4 v[22:25], v26, s[6:7]
	v_readfirstlane_b32 s24, v2
	v_readfirstlane_b32 s25, v3
	s_mov_b64 s[26:27], exec
	s_waitcnt vmcnt(1)
	v_readfirstlane_b32 s28, v27
	v_readfirstlane_b32 s29, v28
	s_and_b64 s[28:29], s[24:25], s[28:29]
	s_mul_i32 s15, s29, 24
	s_mul_hi_u32 vcc_lo, s28, 24
	s_mul_i32 vcc_hi, s28, 24
	s_add_i32 s15, vcc_lo, s15
	v_mov_b32_e32 v2, s15
	s_waitcnt vmcnt(0)
	v_add_co_u32_e32 v27, vcc, vcc_hi, v22
	v_addc_co_u32_e32 v28, vcc, v23, v2, vcc
	s_and_saveexec_b64 vcc, s[4:5]
	s_cbranch_execz .LBB8_629
; %bb.628:                              ;   in Loop: Header=BB8_566 Depth=1
	v_mov_b32_e32 v2, s26
	v_mov_b32_e32 v3, s27
	global_store_dwordx4 v[27:28], v[2:5], off offset:8
.LBB8_629:                              ;   in Loop: Header=BB8_566 Depth=1
	s_or_b64 exec, exec, vcc
	s_lshl_b64 s[26:27], s[28:29], 12
	v_mov_b32_e32 v2, s27
	v_add_co_u32_e32 v24, vcc, s26, v24
	v_addc_co_u32_e32 v29, vcc, v25, v2, vcc
	v_cmp_gt_u64_e64 vcc, s[20:21], 56
	v_or_b32_e32 v2, 2, v6
	s_lshl_b32 s15, s22, 2
	v_cndmask_b32_e32 v2, v2, v6, vcc
	s_add_i32 s15, s15, 28
	s_and_b32 s15, s15, 0x1e0
	v_and_b32_e32 v2, 0xffffff1f, v2
	v_or_b32_e32 v6, s15, v2
	v_readfirstlane_b32 s26, v24
	v_readfirstlane_b32 s27, v29
	s_nop 4
	global_store_dwordx4 v31, v[6:9], s[26:27]
	global_store_dwordx4 v31, v[10:13], s[26:27] offset:16
	global_store_dwordx4 v31, v[14:17], s[26:27] offset:32
	;; [unrolled: 1-line block ×3, first 2 shown]
	s_and_saveexec_b64 s[26:27], s[4:5]
	s_cbranch_execz .LBB8_637
; %bb.630:                              ;   in Loop: Header=BB8_566 Depth=1
	global_load_dwordx2 v[10:11], v26, s[6:7] offset:32 glc
	global_load_dwordx2 v[2:3], v26, s[6:7] offset:40
	v_mov_b32_e32 v8, s24
	v_mov_b32_e32 v9, s25
	s_waitcnt vmcnt(0)
	v_readfirstlane_b32 s28, v2
	v_readfirstlane_b32 s29, v3
	s_and_b64 s[28:29], s[28:29], s[24:25]
	s_mul_i32 s15, s29, 24
	s_mul_hi_u32 s29, s28, 24
	s_mul_i32 s28, s28, 24
	s_add_i32 s15, s29, s15
	v_mov_b32_e32 v3, s15
	v_add_co_u32_e32 v2, vcc, s28, v22
	v_addc_co_u32_e32 v3, vcc, v23, v3, vcc
	global_store_dwordx2 v[2:3], v[10:11], off
	s_waitcnt vmcnt(0)
	global_atomic_cmpswap_x2 v[8:9], v26, v[8:11], s[6:7] offset:32 glc
	s_waitcnt vmcnt(0)
	v_cmp_ne_u64_e32 vcc, v[8:9], v[10:11]
	s_and_saveexec_b64 s[28:29], vcc
	s_cbranch_execz .LBB8_633
; %bb.631:                              ;   in Loop: Header=BB8_566 Depth=1
	s_mov_b64 s[30:31], 0
.LBB8_632:                              ;   Parent Loop BB8_566 Depth=1
                                        ; =>  This Inner Loop Header: Depth=2
	s_sleep 1
	global_store_dwordx2 v[2:3], v[8:9], off
	v_mov_b32_e32 v6, s24
	v_mov_b32_e32 v7, s25
	s_waitcnt vmcnt(0)
	global_atomic_cmpswap_x2 v[6:7], v26, v[6:9], s[6:7] offset:32 glc
	s_waitcnt vmcnt(0)
	v_cmp_eq_u64_e32 vcc, v[6:7], v[8:9]
	v_mov_b32_e32 v9, v7
	s_or_b64 s[30:31], vcc, s[30:31]
	v_mov_b32_e32 v8, v6
	s_andn2_b64 exec, exec, s[30:31]
	s_cbranch_execnz .LBB8_632
.LBB8_633:                              ;   in Loop: Header=BB8_566 Depth=1
	s_or_b64 exec, exec, s[28:29]
	global_load_dwordx2 v[2:3], v26, s[6:7] offset:16
	s_mov_b64 s[30:31], exec
	v_mbcnt_lo_u32_b32 v6, s30, 0
	v_mbcnt_hi_u32_b32 v6, s31, v6
	v_cmp_eq_u32_e32 vcc, 0, v6
	s_and_saveexec_b64 s[28:29], vcc
	s_cbranch_execz .LBB8_635
; %bb.634:                              ;   in Loop: Header=BB8_566 Depth=1
	s_bcnt1_i32_b64 s15, s[30:31]
	v_mov_b32_e32 v25, s15
	s_waitcnt vmcnt(0)
	global_atomic_add_x2 v[2:3], v[25:26], off offset:8
.LBB8_635:                              ;   in Loop: Header=BB8_566 Depth=1
	s_or_b64 exec, exec, s[28:29]
	s_waitcnt vmcnt(0)
	global_load_dwordx2 v[6:7], v[2:3], off offset:16
	s_waitcnt vmcnt(0)
	v_cmp_eq_u64_e32 vcc, 0, v[6:7]
	s_cbranch_vccnz .LBB8_637
; %bb.636:                              ;   in Loop: Header=BB8_566 Depth=1
	global_load_dword v25, v[2:3], off offset:24
	s_waitcnt vmcnt(0)
	v_and_b32_e32 v2, 0xffffff, v25
	v_readfirstlane_b32 m0, v2
	global_store_dwordx2 v[6:7], v[25:26], off
	s_sendmsg sendmsg(MSG_INTERRUPT)
.LBB8_637:                              ;   in Loop: Header=BB8_566 Depth=1
	s_or_b64 exec, exec, s[26:27]
	v_add_co_u32_e32 v2, vcc, v24, v31
	v_addc_co_u32_e32 v3, vcc, 0, v29, vcc
	s_branch .LBB8_641
.LBB8_638:                              ;   in Loop: Header=BB8_641 Depth=2
	s_or_b64 exec, exec, s[26:27]
	v_readfirstlane_b32 s15, v6
	s_cmp_eq_u32 s15, 0
	s_cbranch_scc1 .LBB8_640
; %bb.639:                              ;   in Loop: Header=BB8_641 Depth=2
	s_sleep 1
	s_cbranch_execnz .LBB8_641
	s_branch .LBB8_643
.LBB8_640:                              ;   in Loop: Header=BB8_566 Depth=1
	s_branch .LBB8_643
.LBB8_641:                              ;   Parent Loop BB8_566 Depth=1
                                        ; =>  This Inner Loop Header: Depth=2
	v_mov_b32_e32 v6, 1
	s_and_saveexec_b64 s[26:27], s[4:5]
	s_cbranch_execz .LBB8_638
; %bb.642:                              ;   in Loop: Header=BB8_641 Depth=2
	global_load_dword v6, v[27:28], off offset:20 glc
	s_waitcnt vmcnt(0)
	buffer_wbinvl1_vol
	v_and_b32_e32 v6, 1, v6
	s_branch .LBB8_638
.LBB8_643:                              ;   in Loop: Header=BB8_566 Depth=1
	global_load_dwordx4 v[6:9], v[2:3], off
	s_and_saveexec_b64 s[26:27], s[4:5]
	s_cbranch_execz .LBB8_565
; %bb.644:                              ;   in Loop: Header=BB8_566 Depth=1
	global_load_dwordx2 v[2:3], v26, s[6:7] offset:40
	global_load_dwordx2 v[12:13], v26, s[6:7] offset:24 glc
	global_load_dwordx2 v[14:15], v26, s[6:7]
	s_waitcnt vmcnt(3)
	v_mov_b32_e32 v9, s25
	s_waitcnt vmcnt(2)
	v_add_co_u32_e32 v10, vcc, 1, v2
	v_addc_co_u32_e32 v11, vcc, 0, v3, vcc
	v_add_co_u32_e32 v8, vcc, s24, v10
	v_addc_co_u32_e32 v9, vcc, v11, v9, vcc
	v_cmp_eq_u64_e32 vcc, 0, v[8:9]
	v_cndmask_b32_e32 v9, v9, v11, vcc
	v_cndmask_b32_e32 v8, v8, v10, vcc
	v_and_b32_e32 v3, v9, v3
	v_and_b32_e32 v2, v8, v2
	v_mul_lo_u32 v3, v3, 24
	v_mul_hi_u32 v11, v2, 24
	v_mul_lo_u32 v2, v2, 24
	s_waitcnt vmcnt(1)
	v_mov_b32_e32 v10, v12
	v_add_u32_e32 v3, v11, v3
	s_waitcnt vmcnt(0)
	v_add_co_u32_e32 v2, vcc, v14, v2
	v_addc_co_u32_e32 v3, vcc, v15, v3, vcc
	global_store_dwordx2 v[2:3], v[12:13], off
	v_mov_b32_e32 v11, v13
	s_waitcnt vmcnt(0)
	global_atomic_cmpswap_x2 v[10:11], v26, v[8:11], s[6:7] offset:24 glc
	s_waitcnt vmcnt(0)
	v_cmp_ne_u64_e32 vcc, v[10:11], v[12:13]
	s_and_b64 exec, exec, vcc
	s_cbranch_execz .LBB8_565
; %bb.645:                              ;   in Loop: Header=BB8_566 Depth=1
	s_mov_b64 s[4:5], 0
.LBB8_646:                              ;   Parent Loop BB8_566 Depth=1
                                        ; =>  This Inner Loop Header: Depth=2
	s_sleep 1
	global_store_dwordx2 v[2:3], v[10:11], off
	s_waitcnt vmcnt(0)
	global_atomic_cmpswap_x2 v[12:13], v26, v[8:11], s[6:7] offset:24 glc
	s_waitcnt vmcnt(0)
	v_cmp_eq_u64_e32 vcc, v[12:13], v[10:11]
	v_mov_b32_e32 v10, v12
	s_or_b64 s[4:5], vcc, s[4:5]
	v_mov_b32_e32 v11, v13
	s_andn2_b64 exec, exec, s[4:5]
	s_cbranch_execnz .LBB8_646
	s_branch .LBB8_565
.LBB8_647:
	s_branch .LBB8_675
.LBB8_648:
	s_cbranch_execz .LBB8_675
; %bb.649:
	v_readfirstlane_b32 s4, v32
	s_waitcnt vmcnt(0)
	v_mov_b32_e32 v8, 0
	v_mov_b32_e32 v9, 0
	v_cmp_eq_u32_e64 s[4:5], s4, v32
	s_and_saveexec_b64 s[18:19], s[4:5]
	s_cbranch_execz .LBB8_655
; %bb.650:
	v_mov_b32_e32 v2, 0
	global_load_dwordx2 v[5:6], v2, s[6:7] offset:24 glc
	s_waitcnt vmcnt(0)
	buffer_wbinvl1_vol
	global_load_dwordx2 v[3:4], v2, s[6:7] offset:40
	global_load_dwordx2 v[7:8], v2, s[6:7]
	s_waitcnt vmcnt(1)
	v_and_b32_e32 v3, v3, v5
	v_and_b32_e32 v4, v4, v6
	v_mul_lo_u32 v4, v4, 24
	v_mul_hi_u32 v9, v3, 24
	v_mul_lo_u32 v3, v3, 24
	v_add_u32_e32 v4, v9, v4
	s_waitcnt vmcnt(0)
	v_add_co_u32_e32 v3, vcc, v7, v3
	v_addc_co_u32_e32 v4, vcc, v8, v4, vcc
	global_load_dwordx2 v[3:4], v[3:4], off glc
	s_waitcnt vmcnt(0)
	global_atomic_cmpswap_x2 v[8:9], v2, v[3:6], s[6:7] offset:24 glc
	s_waitcnt vmcnt(0)
	buffer_wbinvl1_vol
	v_cmp_ne_u64_e32 vcc, v[8:9], v[5:6]
	s_and_saveexec_b64 s[20:21], vcc
	s_cbranch_execz .LBB8_654
; %bb.651:
	s_mov_b64 s[22:23], 0
.LBB8_652:                              ; =>This Inner Loop Header: Depth=1
	s_sleep 1
	global_load_dwordx2 v[3:4], v2, s[6:7] offset:40
	global_load_dwordx2 v[10:11], v2, s[6:7]
	v_mov_b32_e32 v5, v8
	v_mov_b32_e32 v6, v9
	s_waitcnt vmcnt(1)
	v_and_b32_e32 v3, v3, v5
	s_waitcnt vmcnt(0)
	v_mad_u64_u32 v[7:8], s[24:25], v3, 24, v[10:11]
	v_and_b32_e32 v4, v4, v6
	v_mov_b32_e32 v3, v8
	v_mad_u64_u32 v[3:4], s[24:25], v4, 24, v[3:4]
	v_mov_b32_e32 v8, v3
	global_load_dwordx2 v[3:4], v[7:8], off glc
	s_waitcnt vmcnt(0)
	global_atomic_cmpswap_x2 v[8:9], v2, v[3:6], s[6:7] offset:24 glc
	s_waitcnt vmcnt(0)
	buffer_wbinvl1_vol
	v_cmp_eq_u64_e32 vcc, v[8:9], v[5:6]
	s_or_b64 s[22:23], vcc, s[22:23]
	s_andn2_b64 exec, exec, s[22:23]
	s_cbranch_execnz .LBB8_652
; %bb.653:
	s_or_b64 exec, exec, s[22:23]
.LBB8_654:
	s_or_b64 exec, exec, s[20:21]
.LBB8_655:
	s_or_b64 exec, exec, s[18:19]
	v_mov_b32_e32 v2, 0
	global_load_dwordx2 v[10:11], v2, s[6:7] offset:40
	global_load_dwordx4 v[4:7], v2, s[6:7]
	v_readfirstlane_b32 s18, v8
	v_readfirstlane_b32 s19, v9
	s_mov_b64 s[20:21], exec
	s_waitcnt vmcnt(1)
	v_readfirstlane_b32 s22, v10
	v_readfirstlane_b32 s23, v11
	s_and_b64 s[22:23], s[18:19], s[22:23]
	s_mul_i32 s15, s23, 24
	s_mul_hi_u32 s24, s22, 24
	s_mul_i32 s25, s22, 24
	s_add_i32 s15, s24, s15
	v_mov_b32_e32 v3, s15
	s_waitcnt vmcnt(0)
	v_add_co_u32_e32 v8, vcc, s25, v4
	v_addc_co_u32_e32 v9, vcc, v5, v3, vcc
	s_and_saveexec_b64 s[24:25], s[4:5]
	s_cbranch_execz .LBB8_657
; %bb.656:
	v_mov_b32_e32 v10, s20
	v_mov_b32_e32 v11, s21
	;; [unrolled: 1-line block ×4, first 2 shown]
	global_store_dwordx4 v[8:9], v[10:13], off offset:8
.LBB8_657:
	s_or_b64 exec, exec, s[24:25]
	s_lshl_b64 s[20:21], s[22:23], 12
	v_mov_b32_e32 v3, s21
	v_add_co_u32_e32 v6, vcc, s20, v6
	v_addc_co_u32_e32 v7, vcc, v7, v3, vcc
	s_movk_i32 s15, 0xff1d
	v_and_or_b32 v0, v0, s15, 34
	s_mov_b32 s20, 0
	v_mov_b32_e32 v3, v2
	v_readfirstlane_b32 s24, v6
	v_readfirstlane_b32 s25, v7
	s_mov_b32 s21, s20
	s_mov_b32 s22, s20
	;; [unrolled: 1-line block ×3, first 2 shown]
	s_nop 1
	global_store_dwordx4 v31, v[0:3], s[24:25]
	s_nop 0
	v_mov_b32_e32 v0, s20
	v_mov_b32_e32 v1, s21
	;; [unrolled: 1-line block ×4, first 2 shown]
	global_store_dwordx4 v31, v[0:3], s[24:25] offset:16
	global_store_dwordx4 v31, v[0:3], s[24:25] offset:32
	;; [unrolled: 1-line block ×3, first 2 shown]
	s_and_saveexec_b64 s[20:21], s[4:5]
	s_cbranch_execz .LBB8_665
; %bb.658:
	v_mov_b32_e32 v6, 0
	global_load_dwordx2 v[12:13], v6, s[6:7] offset:32 glc
	global_load_dwordx2 v[0:1], v6, s[6:7] offset:40
	v_mov_b32_e32 v10, s18
	v_mov_b32_e32 v11, s19
	s_waitcnt vmcnt(0)
	v_readfirstlane_b32 s22, v0
	v_readfirstlane_b32 s23, v1
	s_and_b64 s[22:23], s[22:23], s[18:19]
	s_mul_i32 s15, s23, 24
	s_mul_hi_u32 s23, s22, 24
	s_mul_i32 s22, s22, 24
	s_add_i32 s15, s23, s15
	v_mov_b32_e32 v0, s15
	v_add_co_u32_e32 v4, vcc, s22, v4
	v_addc_co_u32_e32 v5, vcc, v5, v0, vcc
	global_store_dwordx2 v[4:5], v[12:13], off
	s_waitcnt vmcnt(0)
	global_atomic_cmpswap_x2 v[2:3], v6, v[10:13], s[6:7] offset:32 glc
	s_waitcnt vmcnt(0)
	v_cmp_ne_u64_e32 vcc, v[2:3], v[12:13]
	s_and_saveexec_b64 s[22:23], vcc
	s_cbranch_execz .LBB8_661
; %bb.659:
	s_mov_b64 s[24:25], 0
.LBB8_660:                              ; =>This Inner Loop Header: Depth=1
	s_sleep 1
	global_store_dwordx2 v[4:5], v[2:3], off
	v_mov_b32_e32 v0, s18
	v_mov_b32_e32 v1, s19
	s_waitcnt vmcnt(0)
	global_atomic_cmpswap_x2 v[0:1], v6, v[0:3], s[6:7] offset:32 glc
	s_waitcnt vmcnt(0)
	v_cmp_eq_u64_e32 vcc, v[0:1], v[2:3]
	v_mov_b32_e32 v3, v1
	s_or_b64 s[24:25], vcc, s[24:25]
	v_mov_b32_e32 v2, v0
	s_andn2_b64 exec, exec, s[24:25]
	s_cbranch_execnz .LBB8_660
.LBB8_661:
	s_or_b64 exec, exec, s[22:23]
	v_mov_b32_e32 v3, 0
	global_load_dwordx2 v[0:1], v3, s[6:7] offset:16
	s_mov_b64 s[22:23], exec
	v_mbcnt_lo_u32_b32 v2, s22, 0
	v_mbcnt_hi_u32_b32 v2, s23, v2
	v_cmp_eq_u32_e32 vcc, 0, v2
	s_and_saveexec_b64 s[24:25], vcc
	s_cbranch_execz .LBB8_663
; %bb.662:
	s_bcnt1_i32_b64 s15, s[22:23]
	v_mov_b32_e32 v2, s15
	s_waitcnt vmcnt(0)
	global_atomic_add_x2 v[0:1], v[2:3], off offset:8
.LBB8_663:
	s_or_b64 exec, exec, s[24:25]
	s_waitcnt vmcnt(0)
	global_load_dwordx2 v[2:3], v[0:1], off offset:16
	s_waitcnt vmcnt(0)
	v_cmp_eq_u64_e32 vcc, 0, v[2:3]
	s_cbranch_vccnz .LBB8_665
; %bb.664:
	global_load_dword v0, v[0:1], off offset:24
	v_mov_b32_e32 v1, 0
	s_waitcnt vmcnt(0)
	global_store_dwordx2 v[2:3], v[0:1], off
	v_and_b32_e32 v0, 0xffffff, v0
	v_readfirstlane_b32 m0, v0
	s_sendmsg sendmsg(MSG_INTERRUPT)
.LBB8_665:
	s_or_b64 exec, exec, s[20:21]
	s_branch .LBB8_669
.LBB8_666:                              ;   in Loop: Header=BB8_669 Depth=1
	s_or_b64 exec, exec, s[20:21]
	v_readfirstlane_b32 s15, v0
	s_cmp_eq_u32 s15, 0
	s_cbranch_scc1 .LBB8_668
; %bb.667:                              ;   in Loop: Header=BB8_669 Depth=1
	s_sleep 1
	s_cbranch_execnz .LBB8_669
	s_branch .LBB8_671
.LBB8_668:
	s_branch .LBB8_671
.LBB8_669:                              ; =>This Inner Loop Header: Depth=1
	v_mov_b32_e32 v0, 1
	s_and_saveexec_b64 s[20:21], s[4:5]
	s_cbranch_execz .LBB8_666
; %bb.670:                              ;   in Loop: Header=BB8_669 Depth=1
	global_load_dword v0, v[8:9], off offset:20 glc
	s_waitcnt vmcnt(0)
	buffer_wbinvl1_vol
	v_and_b32_e32 v0, 1, v0
	s_branch .LBB8_666
.LBB8_671:
	s_and_saveexec_b64 s[20:21], s[4:5]
	s_cbranch_execz .LBB8_674
; %bb.672:
	v_mov_b32_e32 v6, 0
	global_load_dwordx2 v[2:3], v6, s[6:7] offset:40
	global_load_dwordx2 v[7:8], v6, s[6:7] offset:24 glc
	global_load_dwordx2 v[4:5], v6, s[6:7]
	v_mov_b32_e32 v1, s19
	s_mov_b64 s[4:5], 0
	s_waitcnt vmcnt(2)
	v_add_co_u32_e32 v9, vcc, 1, v2
	v_addc_co_u32_e32 v10, vcc, 0, v3, vcc
	v_add_co_u32_e32 v0, vcc, s18, v9
	v_addc_co_u32_e32 v1, vcc, v10, v1, vcc
	v_cmp_eq_u64_e32 vcc, 0, v[0:1]
	v_cndmask_b32_e32 v1, v1, v10, vcc
	v_cndmask_b32_e32 v0, v0, v9, vcc
	v_and_b32_e32 v3, v1, v3
	v_and_b32_e32 v2, v0, v2
	v_mul_lo_u32 v3, v3, 24
	v_mul_hi_u32 v9, v2, 24
	v_mul_lo_u32 v10, v2, 24
	s_waitcnt vmcnt(1)
	v_mov_b32_e32 v2, v7
	v_add_u32_e32 v3, v9, v3
	s_waitcnt vmcnt(0)
	v_add_co_u32_e32 v4, vcc, v4, v10
	v_addc_co_u32_e32 v5, vcc, v5, v3, vcc
	global_store_dwordx2 v[4:5], v[7:8], off
	v_mov_b32_e32 v3, v8
	s_waitcnt vmcnt(0)
	global_atomic_cmpswap_x2 v[2:3], v6, v[0:3], s[6:7] offset:24 glc
	s_waitcnt vmcnt(0)
	v_cmp_ne_u64_e32 vcc, v[2:3], v[7:8]
	s_and_b64 exec, exec, vcc
	s_cbranch_execz .LBB8_674
.LBB8_673:                              ; =>This Inner Loop Header: Depth=1
	s_sleep 1
	global_store_dwordx2 v[4:5], v[2:3], off
	s_waitcnt vmcnt(0)
	global_atomic_cmpswap_x2 v[7:8], v6, v[0:3], s[6:7] offset:24 glc
	s_waitcnt vmcnt(0)
	v_cmp_eq_u64_e32 vcc, v[7:8], v[2:3]
	v_mov_b32_e32 v2, v7
	s_or_b64 s[4:5], vcc, s[4:5]
	v_mov_b32_e32 v3, v8
	s_andn2_b64 exec, exec, s[4:5]
	s_cbranch_execnz .LBB8_673
.LBB8_674:
	s_or_b64 exec, exec, s[20:21]
.LBB8_675:
	v_readfirstlane_b32 s4, v32
	s_waitcnt vmcnt(0)
	v_mov_b32_e32 v5, 0
	v_mov_b32_e32 v6, 0
	v_cmp_eq_u32_e64 s[4:5], s4, v32
	s_and_saveexec_b64 s[18:19], s[4:5]
	s_cbranch_execz .LBB8_681
; %bb.676:
	v_mov_b32_e32 v0, 0
	global_load_dwordx2 v[3:4], v0, s[6:7] offset:24 glc
	s_waitcnt vmcnt(0)
	buffer_wbinvl1_vol
	global_load_dwordx2 v[1:2], v0, s[6:7] offset:40
	global_load_dwordx2 v[5:6], v0, s[6:7]
	s_waitcnt vmcnt(1)
	v_and_b32_e32 v1, v1, v3
	v_and_b32_e32 v2, v2, v4
	v_mul_lo_u32 v2, v2, 24
	v_mul_hi_u32 v7, v1, 24
	v_mul_lo_u32 v1, v1, 24
	v_add_u32_e32 v2, v7, v2
	s_waitcnt vmcnt(0)
	v_add_co_u32_e32 v1, vcc, v5, v1
	v_addc_co_u32_e32 v2, vcc, v6, v2, vcc
	global_load_dwordx2 v[1:2], v[1:2], off glc
	s_waitcnt vmcnt(0)
	global_atomic_cmpswap_x2 v[5:6], v0, v[1:4], s[6:7] offset:24 glc
	s_waitcnt vmcnt(0)
	buffer_wbinvl1_vol
	v_cmp_ne_u64_e32 vcc, v[5:6], v[3:4]
	s_and_saveexec_b64 s[20:21], vcc
	s_cbranch_execz .LBB8_680
; %bb.677:
	s_mov_b64 s[22:23], 0
.LBB8_678:                              ; =>This Inner Loop Header: Depth=1
	s_sleep 1
	global_load_dwordx2 v[1:2], v0, s[6:7] offset:40
	global_load_dwordx2 v[7:8], v0, s[6:7]
	v_mov_b32_e32 v3, v5
	v_mov_b32_e32 v4, v6
	s_waitcnt vmcnt(1)
	v_and_b32_e32 v1, v1, v3
	s_waitcnt vmcnt(0)
	v_mad_u64_u32 v[5:6], s[24:25], v1, 24, v[7:8]
	v_and_b32_e32 v2, v2, v4
	v_mov_b32_e32 v1, v6
	v_mad_u64_u32 v[1:2], s[24:25], v2, 24, v[1:2]
	v_mov_b32_e32 v6, v1
	global_load_dwordx2 v[1:2], v[5:6], off glc
	s_waitcnt vmcnt(0)
	global_atomic_cmpswap_x2 v[5:6], v0, v[1:4], s[6:7] offset:24 glc
	s_waitcnt vmcnt(0)
	buffer_wbinvl1_vol
	v_cmp_eq_u64_e32 vcc, v[5:6], v[3:4]
	s_or_b64 s[22:23], vcc, s[22:23]
	s_andn2_b64 exec, exec, s[22:23]
	s_cbranch_execnz .LBB8_678
; %bb.679:
	s_or_b64 exec, exec, s[22:23]
.LBB8_680:
	s_or_b64 exec, exec, s[20:21]
.LBB8_681:
	s_or_b64 exec, exec, s[18:19]
	v_mov_b32_e32 v4, 0
	global_load_dwordx2 v[7:8], v4, s[6:7] offset:40
	global_load_dwordx4 v[0:3], v4, s[6:7]
	v_readfirstlane_b32 s18, v5
	v_readfirstlane_b32 s19, v6
	s_mov_b64 s[20:21], exec
	s_waitcnt vmcnt(1)
	v_readfirstlane_b32 s22, v7
	v_readfirstlane_b32 s23, v8
	s_and_b64 s[22:23], s[18:19], s[22:23]
	s_mul_i32 s15, s23, 24
	s_mul_hi_u32 s24, s22, 24
	s_mul_i32 s25, s22, 24
	s_add_i32 s15, s24, s15
	v_mov_b32_e32 v5, s15
	s_waitcnt vmcnt(0)
	v_add_co_u32_e32 v7, vcc, s25, v0
	v_addc_co_u32_e32 v8, vcc, v1, v5, vcc
	s_and_saveexec_b64 s[24:25], s[4:5]
	s_cbranch_execz .LBB8_683
; %bb.682:
	v_mov_b32_e32 v9, s20
	v_mov_b32_e32 v10, s21
	;; [unrolled: 1-line block ×4, first 2 shown]
	global_store_dwordx4 v[7:8], v[9:12], off offset:8
.LBB8_683:
	s_or_b64 exec, exec, s[24:25]
	s_lshl_b64 s[20:21], s[22:23], 12
	v_mov_b32_e32 v5, s21
	v_add_co_u32_e32 v2, vcc, s20, v2
	v_addc_co_u32_e32 v11, vcc, v3, v5, vcc
	s_mov_b32 s20, 0
	v_mov_b32_e32 v3, 33
	v_mov_b32_e32 v5, v4
	;; [unrolled: 1-line block ×3, first 2 shown]
	v_readfirstlane_b32 s24, v2
	v_readfirstlane_b32 s25, v11
	v_add_co_u32_e32 v9, vcc, v2, v31
	s_mov_b32 s21, s20
	s_mov_b32 s22, s20
	;; [unrolled: 1-line block ×3, first 2 shown]
	s_nop 0
	global_store_dwordx4 v31, v[3:6], s[24:25]
	v_mov_b32_e32 v2, s20
	v_addc_co_u32_e32 v10, vcc, 0, v11, vcc
	v_mov_b32_e32 v3, s21
	v_mov_b32_e32 v4, s22
	;; [unrolled: 1-line block ×3, first 2 shown]
	global_store_dwordx4 v31, v[2:5], s[24:25] offset:16
	global_store_dwordx4 v31, v[2:5], s[24:25] offset:32
	;; [unrolled: 1-line block ×3, first 2 shown]
	s_and_saveexec_b64 s[20:21], s[4:5]
	s_cbranch_execz .LBB8_691
; %bb.684:
	v_mov_b32_e32 v6, 0
	global_load_dwordx2 v[13:14], v6, s[6:7] offset:32 glc
	global_load_dwordx2 v[2:3], v6, s[6:7] offset:40
	v_mov_b32_e32 v11, s18
	v_mov_b32_e32 v12, s19
	s_waitcnt vmcnt(0)
	v_readfirstlane_b32 s22, v2
	v_readfirstlane_b32 s23, v3
	s_and_b64 s[22:23], s[22:23], s[18:19]
	s_mul_i32 s15, s23, 24
	s_mul_hi_u32 s23, s22, 24
	s_mul_i32 s22, s22, 24
	s_add_i32 s15, s23, s15
	v_mov_b32_e32 v2, s15
	v_add_co_u32_e32 v4, vcc, s22, v0
	v_addc_co_u32_e32 v5, vcc, v1, v2, vcc
	global_store_dwordx2 v[4:5], v[13:14], off
	s_waitcnt vmcnt(0)
	global_atomic_cmpswap_x2 v[2:3], v6, v[11:14], s[6:7] offset:32 glc
	s_waitcnt vmcnt(0)
	v_cmp_ne_u64_e32 vcc, v[2:3], v[13:14]
	s_and_saveexec_b64 s[22:23], vcc
	s_cbranch_execz .LBB8_687
; %bb.685:
	s_mov_b64 s[24:25], 0
.LBB8_686:                              ; =>This Inner Loop Header: Depth=1
	s_sleep 1
	global_store_dwordx2 v[4:5], v[2:3], off
	v_mov_b32_e32 v0, s18
	v_mov_b32_e32 v1, s19
	s_waitcnt vmcnt(0)
	global_atomic_cmpswap_x2 v[0:1], v6, v[0:3], s[6:7] offset:32 glc
	s_waitcnt vmcnt(0)
	v_cmp_eq_u64_e32 vcc, v[0:1], v[2:3]
	v_mov_b32_e32 v3, v1
	s_or_b64 s[24:25], vcc, s[24:25]
	v_mov_b32_e32 v2, v0
	s_andn2_b64 exec, exec, s[24:25]
	s_cbranch_execnz .LBB8_686
.LBB8_687:
	s_or_b64 exec, exec, s[22:23]
	v_mov_b32_e32 v3, 0
	global_load_dwordx2 v[0:1], v3, s[6:7] offset:16
	s_mov_b64 s[22:23], exec
	v_mbcnt_lo_u32_b32 v2, s22, 0
	v_mbcnt_hi_u32_b32 v2, s23, v2
	v_cmp_eq_u32_e32 vcc, 0, v2
	s_and_saveexec_b64 s[24:25], vcc
	s_cbranch_execz .LBB8_689
; %bb.688:
	s_bcnt1_i32_b64 s15, s[22:23]
	v_mov_b32_e32 v2, s15
	s_waitcnt vmcnt(0)
	global_atomic_add_x2 v[0:1], v[2:3], off offset:8
.LBB8_689:
	s_or_b64 exec, exec, s[24:25]
	s_waitcnt vmcnt(0)
	global_load_dwordx2 v[2:3], v[0:1], off offset:16
	s_waitcnt vmcnt(0)
	v_cmp_eq_u64_e32 vcc, 0, v[2:3]
	s_cbranch_vccnz .LBB8_691
; %bb.690:
	global_load_dword v0, v[0:1], off offset:24
	v_mov_b32_e32 v1, 0
	s_waitcnt vmcnt(0)
	global_store_dwordx2 v[2:3], v[0:1], off
	v_and_b32_e32 v0, 0xffffff, v0
	v_readfirstlane_b32 m0, v0
	s_sendmsg sendmsg(MSG_INTERRUPT)
.LBB8_691:
	s_or_b64 exec, exec, s[20:21]
	s_branch .LBB8_695
.LBB8_692:                              ;   in Loop: Header=BB8_695 Depth=1
	s_or_b64 exec, exec, s[20:21]
	v_readfirstlane_b32 s15, v0
	s_cmp_eq_u32 s15, 0
	s_cbranch_scc1 .LBB8_694
; %bb.693:                              ;   in Loop: Header=BB8_695 Depth=1
	s_sleep 1
	s_cbranch_execnz .LBB8_695
	s_branch .LBB8_697
.LBB8_694:
	s_branch .LBB8_697
.LBB8_695:                              ; =>This Inner Loop Header: Depth=1
	v_mov_b32_e32 v0, 1
	s_and_saveexec_b64 s[20:21], s[4:5]
	s_cbranch_execz .LBB8_692
; %bb.696:                              ;   in Loop: Header=BB8_695 Depth=1
	global_load_dword v0, v[7:8], off offset:20 glc
	s_waitcnt vmcnt(0)
	buffer_wbinvl1_vol
	v_and_b32_e32 v0, 1, v0
	s_branch .LBB8_692
.LBB8_697:
	global_load_dwordx2 v[0:1], v[9:10], off
	s_and_saveexec_b64 s[20:21], s[4:5]
	s_cbranch_execz .LBB8_700
; %bb.698:
	v_mov_b32_e32 v8, 0
	global_load_dwordx2 v[4:5], v8, s[6:7] offset:40
	global_load_dwordx2 v[9:10], v8, s[6:7] offset:24 glc
	global_load_dwordx2 v[6:7], v8, s[6:7]
	v_mov_b32_e32 v3, s19
	s_mov_b64 s[4:5], 0
	s_waitcnt vmcnt(2)
	v_add_co_u32_e32 v11, vcc, 1, v4
	v_addc_co_u32_e32 v12, vcc, 0, v5, vcc
	v_add_co_u32_e32 v2, vcc, s18, v11
	v_addc_co_u32_e32 v3, vcc, v12, v3, vcc
	v_cmp_eq_u64_e32 vcc, 0, v[2:3]
	v_cndmask_b32_e32 v3, v3, v12, vcc
	v_cndmask_b32_e32 v2, v2, v11, vcc
	v_and_b32_e32 v5, v3, v5
	v_and_b32_e32 v4, v2, v4
	v_mul_lo_u32 v5, v5, 24
	v_mul_hi_u32 v11, v4, 24
	v_mul_lo_u32 v12, v4, 24
	s_waitcnt vmcnt(1)
	v_mov_b32_e32 v4, v9
	v_add_u32_e32 v5, v11, v5
	s_waitcnt vmcnt(0)
	v_add_co_u32_e32 v6, vcc, v6, v12
	v_addc_co_u32_e32 v7, vcc, v7, v5, vcc
	global_store_dwordx2 v[6:7], v[9:10], off
	v_mov_b32_e32 v5, v10
	s_waitcnt vmcnt(0)
	global_atomic_cmpswap_x2 v[4:5], v8, v[2:5], s[6:7] offset:24 glc
	s_waitcnt vmcnt(0)
	v_cmp_ne_u64_e32 vcc, v[4:5], v[9:10]
	s_and_b64 exec, exec, vcc
	s_cbranch_execz .LBB8_700
.LBB8_699:                              ; =>This Inner Loop Header: Depth=1
	s_sleep 1
	global_store_dwordx2 v[6:7], v[4:5], off
	s_waitcnt vmcnt(0)
	global_atomic_cmpswap_x2 v[9:10], v8, v[2:5], s[6:7] offset:24 glc
	s_waitcnt vmcnt(0)
	v_cmp_eq_u64_e32 vcc, v[9:10], v[4:5]
	v_mov_b32_e32 v4, v9
	s_or_b64 s[4:5], vcc, s[4:5]
	v_mov_b32_e32 v5, v10
	s_andn2_b64 exec, exec, s[4:5]
	s_cbranch_execnz .LBB8_699
.LBB8_700:
	s_or_b64 exec, exec, s[20:21]
	s_and_b64 vcc, exec, s[16:17]
	s_cbranch_vccz .LBB8_785
; %bb.701:
	s_waitcnt vmcnt(0)
	v_and_b32_e32 v33, 2, v0
	v_mov_b32_e32 v28, 0
	v_and_b32_e32 v2, -3, v0
	v_mov_b32_e32 v3, v1
	s_mov_b64 s[20:21], 3
	v_mov_b32_e32 v6, 2
	v_mov_b32_e32 v7, 1
	s_getpc_b64 s[18:19]
	s_add_u32 s18, s18, .str.6@rel32@lo+4
	s_addc_u32 s19, s19, .str.6@rel32@hi+12
	s_branch .LBB8_703
.LBB8_702:                              ;   in Loop: Header=BB8_703 Depth=1
	s_or_b64 exec, exec, s[26:27]
	s_sub_u32 s20, s20, s22
	s_subb_u32 s21, s21, s23
	s_add_u32 s18, s18, s22
	s_addc_u32 s19, s19, s23
	s_cmp_lg_u64 s[20:21], 0
	s_cbranch_scc0 .LBB8_784
.LBB8_703:                              ; =>This Loop Header: Depth=1
                                        ;     Child Loop BB8_706 Depth 2
                                        ;     Child Loop BB8_713 Depth 2
	;; [unrolled: 1-line block ×11, first 2 shown]
	v_cmp_lt_u64_e64 s[4:5], s[20:21], 56
	v_cmp_gt_u64_e64 s[24:25], s[20:21], 7
	s_and_b64 s[4:5], s[4:5], exec
	s_cselect_b32 s23, s21, 0
	s_cselect_b32 s22, s20, 56
	s_and_b64 vcc, exec, s[24:25]
	s_cbranch_vccnz .LBB8_708
; %bb.704:                              ;   in Loop: Header=BB8_703 Depth=1
	v_mov_b32_e32 v10, 0
	s_cmp_eq_u64 s[20:21], 0
	v_mov_b32_e32 v11, 0
	s_mov_b64 s[4:5], 0
	s_cbranch_scc1 .LBB8_707
; %bb.705:                              ;   in Loop: Header=BB8_703 Depth=1
	v_mov_b32_e32 v10, 0
	s_lshl_b64 s[24:25], s[22:23], 3
	s_mov_b64 s[26:27], 0
	v_mov_b32_e32 v11, 0
	s_mov_b64 s[28:29], s[18:19]
.LBB8_706:                              ;   Parent Loop BB8_703 Depth=1
                                        ; =>  This Inner Loop Header: Depth=2
	global_load_ubyte v4, v28, s[28:29]
	s_waitcnt vmcnt(0)
	v_and_b32_e32 v27, 0xffff, v4
	v_lshlrev_b64 v[4:5], s26, v[27:28]
	s_add_u32 s26, s26, 8
	s_addc_u32 s27, s27, 0
	s_add_u32 s28, s28, 1
	s_addc_u32 s29, s29, 0
	v_or_b32_e32 v10, v4, v10
	s_cmp_lg_u32 s24, s26
	v_or_b32_e32 v11, v5, v11
	s_cbranch_scc1 .LBB8_706
.LBB8_707:                              ;   in Loop: Header=BB8_703 Depth=1
	s_mov_b32 s15, 0
	s_andn2_b64 vcc, exec, s[4:5]
	s_mov_b64 s[4:5], s[18:19]
	s_cbranch_vccz .LBB8_709
	s_branch .LBB8_710
.LBB8_708:                              ;   in Loop: Header=BB8_703 Depth=1
                                        ; implicit-def: $vgpr10_vgpr11
                                        ; implicit-def: $sgpr15
	s_mov_b64 s[4:5], s[18:19]
.LBB8_709:                              ;   in Loop: Header=BB8_703 Depth=1
	global_load_dwordx2 v[10:11], v28, s[18:19]
	s_add_i32 s15, s22, -8
	s_add_u32 s4, s18, 8
	s_addc_u32 s5, s19, 0
.LBB8_710:                              ;   in Loop: Header=BB8_703 Depth=1
	s_cmp_gt_u32 s15, 7
	s_cbranch_scc1 .LBB8_714
; %bb.711:                              ;   in Loop: Header=BB8_703 Depth=1
	s_cmp_eq_u32 s15, 0
	s_cbranch_scc1 .LBB8_715
; %bb.712:                              ;   in Loop: Header=BB8_703 Depth=1
	v_mov_b32_e32 v12, 0
	s_mov_b64 s[24:25], 0
	v_mov_b32_e32 v13, 0
	s_mov_b64 s[26:27], 0
.LBB8_713:                              ;   Parent Loop BB8_703 Depth=1
                                        ; =>  This Inner Loop Header: Depth=2
	s_add_u32 s28, s4, s26
	s_addc_u32 s29, s5, s27
	global_load_ubyte v4, v28, s[28:29]
	s_add_u32 s26, s26, 1
	s_addc_u32 s27, s27, 0
	s_waitcnt vmcnt(0)
	v_and_b32_e32 v27, 0xffff, v4
	v_lshlrev_b64 v[4:5], s24, v[27:28]
	s_add_u32 s24, s24, 8
	s_addc_u32 s25, s25, 0
	v_or_b32_e32 v12, v4, v12
	s_cmp_lg_u32 s15, s26
	v_or_b32_e32 v13, v5, v13
	s_cbranch_scc1 .LBB8_713
	s_branch .LBB8_716
.LBB8_714:                              ;   in Loop: Header=BB8_703 Depth=1
                                        ; implicit-def: $vgpr12_vgpr13
                                        ; implicit-def: $sgpr28
	s_branch .LBB8_717
.LBB8_715:                              ;   in Loop: Header=BB8_703 Depth=1
	v_mov_b32_e32 v12, 0
	v_mov_b32_e32 v13, 0
.LBB8_716:                              ;   in Loop: Header=BB8_703 Depth=1
	s_mov_b32 s28, 0
	s_cbranch_execnz .LBB8_718
.LBB8_717:                              ;   in Loop: Header=BB8_703 Depth=1
	global_load_dwordx2 v[12:13], v28, s[4:5]
	s_add_i32 s28, s15, -8
	s_add_u32 s4, s4, 8
	s_addc_u32 s5, s5, 0
.LBB8_718:                              ;   in Loop: Header=BB8_703 Depth=1
	s_cmp_gt_u32 s28, 7
	s_cbranch_scc1 .LBB8_722
; %bb.719:                              ;   in Loop: Header=BB8_703 Depth=1
	s_cmp_eq_u32 s28, 0
	s_cbranch_scc1 .LBB8_723
; %bb.720:                              ;   in Loop: Header=BB8_703 Depth=1
	v_mov_b32_e32 v14, 0
	s_mov_b64 s[24:25], 0
	v_mov_b32_e32 v15, 0
	s_mov_b64 s[26:27], 0
.LBB8_721:                              ;   Parent Loop BB8_703 Depth=1
                                        ; =>  This Inner Loop Header: Depth=2
	s_add_u32 vcc_lo, s4, s26
	s_addc_u32 vcc_hi, s5, s27
	global_load_ubyte v4, v28, vcc
	s_add_u32 s26, s26, 1
	s_addc_u32 s27, s27, 0
	s_waitcnt vmcnt(0)
	v_and_b32_e32 v27, 0xffff, v4
	v_lshlrev_b64 v[4:5], s24, v[27:28]
	s_add_u32 s24, s24, 8
	s_addc_u32 s25, s25, 0
	v_or_b32_e32 v14, v4, v14
	s_cmp_lg_u32 s28, s26
	v_or_b32_e32 v15, v5, v15
	s_cbranch_scc1 .LBB8_721
	s_branch .LBB8_724
.LBB8_722:                              ;   in Loop: Header=BB8_703 Depth=1
                                        ; implicit-def: $sgpr15
	s_branch .LBB8_725
.LBB8_723:                              ;   in Loop: Header=BB8_703 Depth=1
	v_mov_b32_e32 v14, 0
	v_mov_b32_e32 v15, 0
.LBB8_724:                              ;   in Loop: Header=BB8_703 Depth=1
	s_mov_b32 s15, 0
	s_cbranch_execnz .LBB8_726
.LBB8_725:                              ;   in Loop: Header=BB8_703 Depth=1
	global_load_dwordx2 v[14:15], v28, s[4:5]
	s_add_i32 s15, s28, -8
	s_add_u32 s4, s4, 8
	s_addc_u32 s5, s5, 0
.LBB8_726:                              ;   in Loop: Header=BB8_703 Depth=1
	s_cmp_gt_u32 s15, 7
	s_cbranch_scc1 .LBB8_730
; %bb.727:                              ;   in Loop: Header=BB8_703 Depth=1
	s_cmp_eq_u32 s15, 0
	s_cbranch_scc1 .LBB8_731
; %bb.728:                              ;   in Loop: Header=BB8_703 Depth=1
	v_mov_b32_e32 v16, 0
	s_mov_b64 s[24:25], 0
	v_mov_b32_e32 v17, 0
	s_mov_b64 s[26:27], 0
.LBB8_729:                              ;   Parent Loop BB8_703 Depth=1
                                        ; =>  This Inner Loop Header: Depth=2
	s_add_u32 s28, s4, s26
	s_addc_u32 s29, s5, s27
	global_load_ubyte v4, v28, s[28:29]
	s_add_u32 s26, s26, 1
	s_addc_u32 s27, s27, 0
	s_waitcnt vmcnt(0)
	v_and_b32_e32 v27, 0xffff, v4
	v_lshlrev_b64 v[4:5], s24, v[27:28]
	s_add_u32 s24, s24, 8
	s_addc_u32 s25, s25, 0
	v_or_b32_e32 v16, v4, v16
	s_cmp_lg_u32 s15, s26
	v_or_b32_e32 v17, v5, v17
	s_cbranch_scc1 .LBB8_729
	s_branch .LBB8_732
.LBB8_730:                              ;   in Loop: Header=BB8_703 Depth=1
                                        ; implicit-def: $vgpr16_vgpr17
                                        ; implicit-def: $sgpr28
	s_branch .LBB8_733
.LBB8_731:                              ;   in Loop: Header=BB8_703 Depth=1
	v_mov_b32_e32 v16, 0
	v_mov_b32_e32 v17, 0
.LBB8_732:                              ;   in Loop: Header=BB8_703 Depth=1
	s_mov_b32 s28, 0
	s_cbranch_execnz .LBB8_734
.LBB8_733:                              ;   in Loop: Header=BB8_703 Depth=1
	global_load_dwordx2 v[16:17], v28, s[4:5]
	s_add_i32 s28, s15, -8
	s_add_u32 s4, s4, 8
	s_addc_u32 s5, s5, 0
.LBB8_734:                              ;   in Loop: Header=BB8_703 Depth=1
	s_cmp_gt_u32 s28, 7
	s_cbranch_scc1 .LBB8_738
; %bb.735:                              ;   in Loop: Header=BB8_703 Depth=1
	s_cmp_eq_u32 s28, 0
	s_cbranch_scc1 .LBB8_739
; %bb.736:                              ;   in Loop: Header=BB8_703 Depth=1
	v_mov_b32_e32 v18, 0
	s_mov_b64 s[24:25], 0
	v_mov_b32_e32 v19, 0
	s_mov_b64 s[26:27], 0
.LBB8_737:                              ;   Parent Loop BB8_703 Depth=1
                                        ; =>  This Inner Loop Header: Depth=2
	s_add_u32 vcc_lo, s4, s26
	s_addc_u32 vcc_hi, s5, s27
	global_load_ubyte v4, v28, vcc
	s_add_u32 s26, s26, 1
	s_addc_u32 s27, s27, 0
	s_waitcnt vmcnt(0)
	v_and_b32_e32 v27, 0xffff, v4
	v_lshlrev_b64 v[4:5], s24, v[27:28]
	s_add_u32 s24, s24, 8
	s_addc_u32 s25, s25, 0
	v_or_b32_e32 v18, v4, v18
	s_cmp_lg_u32 s28, s26
	v_or_b32_e32 v19, v5, v19
	s_cbranch_scc1 .LBB8_737
	s_branch .LBB8_740
.LBB8_738:                              ;   in Loop: Header=BB8_703 Depth=1
                                        ; implicit-def: $sgpr15
	s_branch .LBB8_741
.LBB8_739:                              ;   in Loop: Header=BB8_703 Depth=1
	v_mov_b32_e32 v18, 0
	v_mov_b32_e32 v19, 0
.LBB8_740:                              ;   in Loop: Header=BB8_703 Depth=1
	s_mov_b32 s15, 0
	s_cbranch_execnz .LBB8_742
.LBB8_741:                              ;   in Loop: Header=BB8_703 Depth=1
	global_load_dwordx2 v[18:19], v28, s[4:5]
	s_add_i32 s15, s28, -8
	s_add_u32 s4, s4, 8
	s_addc_u32 s5, s5, 0
.LBB8_742:                              ;   in Loop: Header=BB8_703 Depth=1
	s_cmp_gt_u32 s15, 7
	s_cbranch_scc1 .LBB8_746
; %bb.743:                              ;   in Loop: Header=BB8_703 Depth=1
	s_cmp_eq_u32 s15, 0
	s_cbranch_scc1 .LBB8_747
; %bb.744:                              ;   in Loop: Header=BB8_703 Depth=1
	v_mov_b32_e32 v20, 0
	s_mov_b64 s[24:25], 0
	v_mov_b32_e32 v21, 0
	s_mov_b64 s[26:27], 0
.LBB8_745:                              ;   Parent Loop BB8_703 Depth=1
                                        ; =>  This Inner Loop Header: Depth=2
	s_add_u32 s28, s4, s26
	s_addc_u32 s29, s5, s27
	global_load_ubyte v4, v28, s[28:29]
	s_add_u32 s26, s26, 1
	s_addc_u32 s27, s27, 0
	s_waitcnt vmcnt(0)
	v_and_b32_e32 v27, 0xffff, v4
	v_lshlrev_b64 v[4:5], s24, v[27:28]
	s_add_u32 s24, s24, 8
	s_addc_u32 s25, s25, 0
	v_or_b32_e32 v20, v4, v20
	s_cmp_lg_u32 s15, s26
	v_or_b32_e32 v21, v5, v21
	s_cbranch_scc1 .LBB8_745
	s_branch .LBB8_748
.LBB8_746:                              ;   in Loop: Header=BB8_703 Depth=1
                                        ; implicit-def: $vgpr20_vgpr21
                                        ; implicit-def: $sgpr28
	s_branch .LBB8_749
.LBB8_747:                              ;   in Loop: Header=BB8_703 Depth=1
	v_mov_b32_e32 v20, 0
	v_mov_b32_e32 v21, 0
.LBB8_748:                              ;   in Loop: Header=BB8_703 Depth=1
	s_mov_b32 s28, 0
	s_cbranch_execnz .LBB8_750
.LBB8_749:                              ;   in Loop: Header=BB8_703 Depth=1
	global_load_dwordx2 v[20:21], v28, s[4:5]
	s_add_i32 s28, s15, -8
	s_add_u32 s4, s4, 8
	s_addc_u32 s5, s5, 0
.LBB8_750:                              ;   in Loop: Header=BB8_703 Depth=1
	s_cmp_gt_u32 s28, 7
	s_cbranch_scc1 .LBB8_754
; %bb.751:                              ;   in Loop: Header=BB8_703 Depth=1
	s_cmp_eq_u32 s28, 0
	s_cbranch_scc1 .LBB8_755
; %bb.752:                              ;   in Loop: Header=BB8_703 Depth=1
	v_mov_b32_e32 v22, 0
	s_mov_b64 s[24:25], 0
	v_mov_b32_e32 v23, 0
	s_mov_b64 s[26:27], s[4:5]
.LBB8_753:                              ;   Parent Loop BB8_703 Depth=1
                                        ; =>  This Inner Loop Header: Depth=2
	global_load_ubyte v4, v28, s[26:27]
	s_add_i32 s28, s28, -1
	s_waitcnt vmcnt(0)
	v_and_b32_e32 v27, 0xffff, v4
	v_lshlrev_b64 v[4:5], s24, v[27:28]
	s_add_u32 s24, s24, 8
	s_addc_u32 s25, s25, 0
	s_add_u32 s26, s26, 1
	s_addc_u32 s27, s27, 0
	v_or_b32_e32 v22, v4, v22
	s_cmp_lg_u32 s28, 0
	v_or_b32_e32 v23, v5, v23
	s_cbranch_scc1 .LBB8_753
	s_branch .LBB8_756
.LBB8_754:                              ;   in Loop: Header=BB8_703 Depth=1
	s_branch .LBB8_757
.LBB8_755:                              ;   in Loop: Header=BB8_703 Depth=1
	v_mov_b32_e32 v22, 0
	v_mov_b32_e32 v23, 0
.LBB8_756:                              ;   in Loop: Header=BB8_703 Depth=1
	s_cbranch_execnz .LBB8_758
.LBB8_757:                              ;   in Loop: Header=BB8_703 Depth=1
	global_load_dwordx2 v[22:23], v28, s[4:5]
.LBB8_758:                              ;   in Loop: Header=BB8_703 Depth=1
	v_readfirstlane_b32 s4, v32
	s_waitcnt vmcnt(0)
	v_mov_b32_e32 v4, 0
	v_mov_b32_e32 v5, 0
	v_cmp_eq_u32_e64 s[4:5], s4, v32
	s_and_saveexec_b64 s[24:25], s[4:5]
	s_cbranch_execz .LBB8_764
; %bb.759:                              ;   in Loop: Header=BB8_703 Depth=1
	global_load_dwordx2 v[26:27], v28, s[6:7] offset:24 glc
	s_waitcnt vmcnt(0)
	buffer_wbinvl1_vol
	global_load_dwordx2 v[4:5], v28, s[6:7] offset:40
	global_load_dwordx2 v[8:9], v28, s[6:7]
	s_waitcnt vmcnt(1)
	v_and_b32_e32 v4, v4, v26
	v_and_b32_e32 v5, v5, v27
	v_mul_lo_u32 v5, v5, 24
	v_mul_hi_u32 v24, v4, 24
	v_mul_lo_u32 v4, v4, 24
	v_add_u32_e32 v5, v24, v5
	s_waitcnt vmcnt(0)
	v_add_co_u32_e32 v4, vcc, v8, v4
	v_addc_co_u32_e32 v5, vcc, v9, v5, vcc
	global_load_dwordx2 v[24:25], v[4:5], off glc
	s_waitcnt vmcnt(0)
	global_atomic_cmpswap_x2 v[4:5], v28, v[24:27], s[6:7] offset:24 glc
	s_waitcnt vmcnt(0)
	buffer_wbinvl1_vol
	v_cmp_ne_u64_e32 vcc, v[4:5], v[26:27]
	s_and_saveexec_b64 s[26:27], vcc
	s_cbranch_execz .LBB8_763
; %bb.760:                              ;   in Loop: Header=BB8_703 Depth=1
	s_mov_b64 s[28:29], 0
.LBB8_761:                              ;   Parent Loop BB8_703 Depth=1
                                        ; =>  This Inner Loop Header: Depth=2
	s_sleep 1
	global_load_dwordx2 v[8:9], v28, s[6:7] offset:40
	global_load_dwordx2 v[24:25], v28, s[6:7]
	v_mov_b32_e32 v27, v5
	v_mov_b32_e32 v26, v4
	s_waitcnt vmcnt(1)
	v_and_b32_e32 v4, v8, v26
	s_waitcnt vmcnt(0)
	v_mad_u64_u32 v[4:5], vcc, v4, 24, v[24:25]
	v_and_b32_e32 v8, v9, v27
	v_mad_u64_u32 v[8:9], vcc, v8, 24, v[5:6]
	v_mov_b32_e32 v5, v8
	global_load_dwordx2 v[24:25], v[4:5], off glc
	s_waitcnt vmcnt(0)
	global_atomic_cmpswap_x2 v[4:5], v28, v[24:27], s[6:7] offset:24 glc
	s_waitcnt vmcnt(0)
	buffer_wbinvl1_vol
	v_cmp_eq_u64_e32 vcc, v[4:5], v[26:27]
	s_or_b64 s[28:29], vcc, s[28:29]
	s_andn2_b64 exec, exec, s[28:29]
	s_cbranch_execnz .LBB8_761
; %bb.762:                              ;   in Loop: Header=BB8_703 Depth=1
	s_or_b64 exec, exec, s[28:29]
.LBB8_763:                              ;   in Loop: Header=BB8_703 Depth=1
	s_or_b64 exec, exec, s[26:27]
.LBB8_764:                              ;   in Loop: Header=BB8_703 Depth=1
	s_or_b64 exec, exec, s[24:25]
	global_load_dwordx2 v[8:9], v28, s[6:7] offset:40
	global_load_dwordx4 v[24:27], v28, s[6:7]
	v_readfirstlane_b32 s24, v4
	v_readfirstlane_b32 s25, v5
	s_mov_b64 s[26:27], exec
	s_waitcnt vmcnt(1)
	v_readfirstlane_b32 s28, v8
	v_readfirstlane_b32 s29, v9
	s_and_b64 s[28:29], s[24:25], s[28:29]
	s_mul_i32 s15, s29, 24
	s_mul_hi_u32 vcc_lo, s28, 24
	s_mul_i32 vcc_hi, s28, 24
	s_add_i32 s15, vcc_lo, s15
	v_mov_b32_e32 v4, s15
	s_waitcnt vmcnt(0)
	v_add_co_u32_e32 v29, vcc, vcc_hi, v24
	v_addc_co_u32_e32 v30, vcc, v25, v4, vcc
	s_and_saveexec_b64 vcc, s[4:5]
	s_cbranch_execz .LBB8_766
; %bb.765:                              ;   in Loop: Header=BB8_703 Depth=1
	v_mov_b32_e32 v4, s26
	v_mov_b32_e32 v5, s27
	global_store_dwordx4 v[29:30], v[4:7], off offset:8
.LBB8_766:                              ;   in Loop: Header=BB8_703 Depth=1
	s_or_b64 exec, exec, vcc
	s_lshl_b64 s[26:27], s[28:29], 12
	v_mov_b32_e32 v4, s27
	v_add_co_u32_e32 v26, vcc, s26, v26
	v_addc_co_u32_e32 v34, vcc, v27, v4, vcc
	v_cmp_gt_u64_e64 vcc, s[20:21], 56
	v_or_b32_e32 v5, v2, v33
	s_lshl_b32 s15, s22, 2
	v_cndmask_b32_e32 v2, v5, v2, vcc
	s_add_i32 s15, s15, 28
	v_or_b32_e32 v4, 0, v3
	s_and_b32 s15, s15, 0x1e0
	v_and_b32_e32 v2, 0xffffff1f, v2
	v_cndmask_b32_e32 v9, v4, v3, vcc
	v_or_b32_e32 v8, s15, v2
	v_readfirstlane_b32 s26, v26
	v_readfirstlane_b32 s27, v34
	s_nop 4
	global_store_dwordx4 v31, v[8:11], s[26:27]
	global_store_dwordx4 v31, v[12:15], s[26:27] offset:16
	global_store_dwordx4 v31, v[16:19], s[26:27] offset:32
	;; [unrolled: 1-line block ×3, first 2 shown]
	s_and_saveexec_b64 s[26:27], s[4:5]
	s_cbranch_execz .LBB8_774
; %bb.767:                              ;   in Loop: Header=BB8_703 Depth=1
	global_load_dwordx2 v[12:13], v28, s[6:7] offset:32 glc
	global_load_dwordx2 v[2:3], v28, s[6:7] offset:40
	v_mov_b32_e32 v10, s24
	v_mov_b32_e32 v11, s25
	s_waitcnt vmcnt(0)
	v_readfirstlane_b32 s28, v2
	v_readfirstlane_b32 s29, v3
	s_and_b64 s[28:29], s[28:29], s[24:25]
	s_mul_i32 s15, s29, 24
	s_mul_hi_u32 s29, s28, 24
	s_mul_i32 s28, s28, 24
	s_add_i32 s15, s29, s15
	v_mov_b32_e32 v2, s15
	v_add_co_u32_e32 v8, vcc, s28, v24
	v_addc_co_u32_e32 v9, vcc, v25, v2, vcc
	global_store_dwordx2 v[8:9], v[12:13], off
	s_waitcnt vmcnt(0)
	global_atomic_cmpswap_x2 v[4:5], v28, v[10:13], s[6:7] offset:32 glc
	s_waitcnt vmcnt(0)
	v_cmp_ne_u64_e32 vcc, v[4:5], v[12:13]
	s_and_saveexec_b64 s[28:29], vcc
	s_cbranch_execz .LBB8_770
; %bb.768:                              ;   in Loop: Header=BB8_703 Depth=1
	s_mov_b64 s[30:31], 0
.LBB8_769:                              ;   Parent Loop BB8_703 Depth=1
                                        ; =>  This Inner Loop Header: Depth=2
	s_sleep 1
	global_store_dwordx2 v[8:9], v[4:5], off
	v_mov_b32_e32 v2, s24
	v_mov_b32_e32 v3, s25
	s_waitcnt vmcnt(0)
	global_atomic_cmpswap_x2 v[2:3], v28, v[2:5], s[6:7] offset:32 glc
	s_waitcnt vmcnt(0)
	v_cmp_eq_u64_e32 vcc, v[2:3], v[4:5]
	v_mov_b32_e32 v5, v3
	s_or_b64 s[30:31], vcc, s[30:31]
	v_mov_b32_e32 v4, v2
	s_andn2_b64 exec, exec, s[30:31]
	s_cbranch_execnz .LBB8_769
.LBB8_770:                              ;   in Loop: Header=BB8_703 Depth=1
	s_or_b64 exec, exec, s[28:29]
	global_load_dwordx2 v[2:3], v28, s[6:7] offset:16
	s_mov_b64 s[30:31], exec
	v_mbcnt_lo_u32_b32 v4, s30, 0
	v_mbcnt_hi_u32_b32 v4, s31, v4
	v_cmp_eq_u32_e32 vcc, 0, v4
	s_and_saveexec_b64 s[28:29], vcc
	s_cbranch_execz .LBB8_772
; %bb.771:                              ;   in Loop: Header=BB8_703 Depth=1
	s_bcnt1_i32_b64 s15, s[30:31]
	v_mov_b32_e32 v27, s15
	s_waitcnt vmcnt(0)
	global_atomic_add_x2 v[2:3], v[27:28], off offset:8
.LBB8_772:                              ;   in Loop: Header=BB8_703 Depth=1
	s_or_b64 exec, exec, s[28:29]
	s_waitcnt vmcnt(0)
	global_load_dwordx2 v[4:5], v[2:3], off offset:16
	s_waitcnt vmcnt(0)
	v_cmp_eq_u64_e32 vcc, 0, v[4:5]
	s_cbranch_vccnz .LBB8_774
; %bb.773:                              ;   in Loop: Header=BB8_703 Depth=1
	global_load_dword v27, v[2:3], off offset:24
	s_waitcnt vmcnt(0)
	v_and_b32_e32 v2, 0xffffff, v27
	v_readfirstlane_b32 m0, v2
	global_store_dwordx2 v[4:5], v[27:28], off
	s_sendmsg sendmsg(MSG_INTERRUPT)
.LBB8_774:                              ;   in Loop: Header=BB8_703 Depth=1
	s_or_b64 exec, exec, s[26:27]
	v_add_co_u32_e32 v2, vcc, v26, v31
	v_addc_co_u32_e32 v3, vcc, 0, v34, vcc
	s_branch .LBB8_778
.LBB8_775:                              ;   in Loop: Header=BB8_778 Depth=2
	s_or_b64 exec, exec, s[26:27]
	v_readfirstlane_b32 s15, v4
	s_cmp_eq_u32 s15, 0
	s_cbranch_scc1 .LBB8_777
; %bb.776:                              ;   in Loop: Header=BB8_778 Depth=2
	s_sleep 1
	s_cbranch_execnz .LBB8_778
	s_branch .LBB8_780
.LBB8_777:                              ;   in Loop: Header=BB8_703 Depth=1
	s_branch .LBB8_780
.LBB8_778:                              ;   Parent Loop BB8_703 Depth=1
                                        ; =>  This Inner Loop Header: Depth=2
	v_mov_b32_e32 v4, 1
	s_and_saveexec_b64 s[26:27], s[4:5]
	s_cbranch_execz .LBB8_775
; %bb.779:                              ;   in Loop: Header=BB8_778 Depth=2
	global_load_dword v4, v[29:30], off offset:20 glc
	s_waitcnt vmcnt(0)
	buffer_wbinvl1_vol
	v_and_b32_e32 v4, 1, v4
	s_branch .LBB8_775
.LBB8_780:                              ;   in Loop: Header=BB8_703 Depth=1
	global_load_dwordx4 v[2:5], v[2:3], off
	s_and_saveexec_b64 s[26:27], s[4:5]
	s_cbranch_execz .LBB8_702
; %bb.781:                              ;   in Loop: Header=BB8_703 Depth=1
	global_load_dwordx2 v[4:5], v28, s[6:7] offset:40
	global_load_dwordx2 v[12:13], v28, s[6:7] offset:24 glc
	global_load_dwordx2 v[14:15], v28, s[6:7]
	v_mov_b32_e32 v9, s25
	s_waitcnt vmcnt(2)
	v_add_co_u32_e32 v10, vcc, 1, v4
	v_addc_co_u32_e32 v11, vcc, 0, v5, vcc
	v_add_co_u32_e32 v8, vcc, s24, v10
	v_addc_co_u32_e32 v9, vcc, v11, v9, vcc
	v_cmp_eq_u64_e32 vcc, 0, v[8:9]
	v_cndmask_b32_e32 v9, v9, v11, vcc
	v_cndmask_b32_e32 v8, v8, v10, vcc
	v_and_b32_e32 v5, v9, v5
	v_and_b32_e32 v4, v8, v4
	v_mul_lo_u32 v5, v5, 24
	v_mul_hi_u32 v11, v4, 24
	v_mul_lo_u32 v4, v4, 24
	s_waitcnt vmcnt(1)
	v_mov_b32_e32 v10, v12
	v_add_u32_e32 v5, v11, v5
	s_waitcnt vmcnt(0)
	v_add_co_u32_e32 v4, vcc, v14, v4
	v_addc_co_u32_e32 v5, vcc, v15, v5, vcc
	global_store_dwordx2 v[4:5], v[12:13], off
	v_mov_b32_e32 v11, v13
	s_waitcnt vmcnt(0)
	global_atomic_cmpswap_x2 v[10:11], v28, v[8:11], s[6:7] offset:24 glc
	s_waitcnt vmcnt(0)
	v_cmp_ne_u64_e32 vcc, v[10:11], v[12:13]
	s_and_b64 exec, exec, vcc
	s_cbranch_execz .LBB8_702
; %bb.782:                              ;   in Loop: Header=BB8_703 Depth=1
	s_mov_b64 s[4:5], 0
.LBB8_783:                              ;   Parent Loop BB8_703 Depth=1
                                        ; =>  This Inner Loop Header: Depth=2
	s_sleep 1
	global_store_dwordx2 v[4:5], v[10:11], off
	s_waitcnt vmcnt(0)
	global_atomic_cmpswap_x2 v[12:13], v28, v[8:11], s[6:7] offset:24 glc
	s_waitcnt vmcnt(0)
	v_cmp_eq_u64_e32 vcc, v[12:13], v[10:11]
	v_mov_b32_e32 v10, v12
	s_or_b64 s[4:5], vcc, s[4:5]
	v_mov_b32_e32 v11, v13
	s_andn2_b64 exec, exec, s[4:5]
	s_cbranch_execnz .LBB8_783
	s_branch .LBB8_702
.LBB8_784:
	s_branch .LBB8_812
.LBB8_785:
                                        ; implicit-def: $vgpr2_vgpr3
	s_cbranch_execz .LBB8_812
; %bb.786:
	v_readfirstlane_b32 s4, v32
	v_mov_b32_e32 v8, 0
	v_mov_b32_e32 v9, 0
	v_cmp_eq_u32_e64 s[4:5], s4, v32
	s_and_saveexec_b64 s[18:19], s[4:5]
	s_cbranch_execz .LBB8_792
; %bb.787:
	s_waitcnt vmcnt(0)
	v_mov_b32_e32 v2, 0
	global_load_dwordx2 v[5:6], v2, s[6:7] offset:24 glc
	s_waitcnt vmcnt(0)
	buffer_wbinvl1_vol
	global_load_dwordx2 v[3:4], v2, s[6:7] offset:40
	global_load_dwordx2 v[7:8], v2, s[6:7]
	s_waitcnt vmcnt(1)
	v_and_b32_e32 v3, v3, v5
	v_and_b32_e32 v4, v4, v6
	v_mul_lo_u32 v4, v4, 24
	v_mul_hi_u32 v9, v3, 24
	v_mul_lo_u32 v3, v3, 24
	v_add_u32_e32 v4, v9, v4
	s_waitcnt vmcnt(0)
	v_add_co_u32_e32 v3, vcc, v7, v3
	v_addc_co_u32_e32 v4, vcc, v8, v4, vcc
	global_load_dwordx2 v[3:4], v[3:4], off glc
	s_waitcnt vmcnt(0)
	global_atomic_cmpswap_x2 v[8:9], v2, v[3:6], s[6:7] offset:24 glc
	s_waitcnt vmcnt(0)
	buffer_wbinvl1_vol
	v_cmp_ne_u64_e32 vcc, v[8:9], v[5:6]
	s_and_saveexec_b64 s[20:21], vcc
	s_cbranch_execz .LBB8_791
; %bb.788:
	s_mov_b64 s[22:23], 0
.LBB8_789:                              ; =>This Inner Loop Header: Depth=1
	s_sleep 1
	global_load_dwordx2 v[3:4], v2, s[6:7] offset:40
	global_load_dwordx2 v[10:11], v2, s[6:7]
	v_mov_b32_e32 v5, v8
	v_mov_b32_e32 v6, v9
	s_waitcnt vmcnt(1)
	v_and_b32_e32 v3, v3, v5
	s_waitcnt vmcnt(0)
	v_mad_u64_u32 v[7:8], s[24:25], v3, 24, v[10:11]
	v_and_b32_e32 v4, v4, v6
	v_mov_b32_e32 v3, v8
	v_mad_u64_u32 v[3:4], s[24:25], v4, 24, v[3:4]
	v_mov_b32_e32 v8, v3
	global_load_dwordx2 v[3:4], v[7:8], off glc
	s_waitcnt vmcnt(0)
	global_atomic_cmpswap_x2 v[8:9], v2, v[3:6], s[6:7] offset:24 glc
	s_waitcnt vmcnt(0)
	buffer_wbinvl1_vol
	v_cmp_eq_u64_e32 vcc, v[8:9], v[5:6]
	s_or_b64 s[22:23], vcc, s[22:23]
	s_andn2_b64 exec, exec, s[22:23]
	s_cbranch_execnz .LBB8_789
; %bb.790:
	s_or_b64 exec, exec, s[22:23]
.LBB8_791:
	s_or_b64 exec, exec, s[20:21]
.LBB8_792:
	s_or_b64 exec, exec, s[18:19]
	s_waitcnt vmcnt(0)
	v_mov_b32_e32 v2, 0
	global_load_dwordx2 v[10:11], v2, s[6:7] offset:40
	global_load_dwordx4 v[4:7], v2, s[6:7]
	v_readfirstlane_b32 s18, v8
	v_readfirstlane_b32 s19, v9
	s_mov_b64 s[20:21], exec
	s_waitcnt vmcnt(1)
	v_readfirstlane_b32 s22, v10
	v_readfirstlane_b32 s23, v11
	s_and_b64 s[22:23], s[18:19], s[22:23]
	s_mul_i32 s15, s23, 24
	s_mul_hi_u32 s24, s22, 24
	s_mul_i32 s25, s22, 24
	s_add_i32 s15, s24, s15
	v_mov_b32_e32 v3, s15
	s_waitcnt vmcnt(0)
	v_add_co_u32_e32 v8, vcc, s25, v4
	v_addc_co_u32_e32 v9, vcc, v5, v3, vcc
	s_and_saveexec_b64 s[24:25], s[4:5]
	s_cbranch_execz .LBB8_794
; %bb.793:
	v_mov_b32_e32 v10, s20
	v_mov_b32_e32 v11, s21
	;; [unrolled: 1-line block ×4, first 2 shown]
	global_store_dwordx4 v[8:9], v[10:13], off offset:8
.LBB8_794:
	s_or_b64 exec, exec, s[24:25]
	s_lshl_b64 s[20:21], s[22:23], 12
	v_mov_b32_e32 v3, s21
	v_add_co_u32_e32 v10, vcc, s20, v6
	v_addc_co_u32_e32 v11, vcc, v7, v3, vcc
	s_movk_i32 s15, 0xff1f
	v_and_or_b32 v0, v0, s15, 32
	s_mov_b32 s20, 0
	v_mov_b32_e32 v3, v2
	v_readfirstlane_b32 s24, v10
	v_readfirstlane_b32 s25, v11
	v_add_co_u32_e32 v6, vcc, v10, v31
	s_mov_b32 s21, s20
	s_mov_b32 s22, s20
	;; [unrolled: 1-line block ×3, first 2 shown]
	s_nop 0
	global_store_dwordx4 v31, v[0:3], s[24:25]
	v_addc_co_u32_e32 v7, vcc, 0, v11, vcc
	v_mov_b32_e32 v0, s20
	v_mov_b32_e32 v1, s21
	;; [unrolled: 1-line block ×4, first 2 shown]
	global_store_dwordx4 v31, v[0:3], s[24:25] offset:16
	global_store_dwordx4 v31, v[0:3], s[24:25] offset:32
	;; [unrolled: 1-line block ×3, first 2 shown]
	s_and_saveexec_b64 s[20:21], s[4:5]
	s_cbranch_execz .LBB8_802
; %bb.795:
	v_mov_b32_e32 v10, 0
	global_load_dwordx2 v[13:14], v10, s[6:7] offset:32 glc
	global_load_dwordx2 v[0:1], v10, s[6:7] offset:40
	v_mov_b32_e32 v11, s18
	v_mov_b32_e32 v12, s19
	s_waitcnt vmcnt(0)
	v_readfirstlane_b32 s22, v0
	v_readfirstlane_b32 s23, v1
	s_and_b64 s[22:23], s[22:23], s[18:19]
	s_mul_i32 s15, s23, 24
	s_mul_hi_u32 s23, s22, 24
	s_mul_i32 s22, s22, 24
	s_add_i32 s15, s23, s15
	v_mov_b32_e32 v0, s15
	v_add_co_u32_e32 v4, vcc, s22, v4
	v_addc_co_u32_e32 v5, vcc, v5, v0, vcc
	global_store_dwordx2 v[4:5], v[13:14], off
	s_waitcnt vmcnt(0)
	global_atomic_cmpswap_x2 v[2:3], v10, v[11:14], s[6:7] offset:32 glc
	s_waitcnt vmcnt(0)
	v_cmp_ne_u64_e32 vcc, v[2:3], v[13:14]
	s_and_saveexec_b64 s[22:23], vcc
	s_cbranch_execz .LBB8_798
; %bb.796:
	s_mov_b64 s[24:25], 0
.LBB8_797:                              ; =>This Inner Loop Header: Depth=1
	s_sleep 1
	global_store_dwordx2 v[4:5], v[2:3], off
	v_mov_b32_e32 v0, s18
	v_mov_b32_e32 v1, s19
	s_waitcnt vmcnt(0)
	global_atomic_cmpswap_x2 v[0:1], v10, v[0:3], s[6:7] offset:32 glc
	s_waitcnt vmcnt(0)
	v_cmp_eq_u64_e32 vcc, v[0:1], v[2:3]
	v_mov_b32_e32 v3, v1
	s_or_b64 s[24:25], vcc, s[24:25]
	v_mov_b32_e32 v2, v0
	s_andn2_b64 exec, exec, s[24:25]
	s_cbranch_execnz .LBB8_797
.LBB8_798:
	s_or_b64 exec, exec, s[22:23]
	v_mov_b32_e32 v3, 0
	global_load_dwordx2 v[0:1], v3, s[6:7] offset:16
	s_mov_b64 s[22:23], exec
	v_mbcnt_lo_u32_b32 v2, s22, 0
	v_mbcnt_hi_u32_b32 v2, s23, v2
	v_cmp_eq_u32_e32 vcc, 0, v2
	s_and_saveexec_b64 s[24:25], vcc
	s_cbranch_execz .LBB8_800
; %bb.799:
	s_bcnt1_i32_b64 s15, s[22:23]
	v_mov_b32_e32 v2, s15
	s_waitcnt vmcnt(0)
	global_atomic_add_x2 v[0:1], v[2:3], off offset:8
.LBB8_800:
	s_or_b64 exec, exec, s[24:25]
	s_waitcnt vmcnt(0)
	global_load_dwordx2 v[2:3], v[0:1], off offset:16
	s_waitcnt vmcnt(0)
	v_cmp_eq_u64_e32 vcc, 0, v[2:3]
	s_cbranch_vccnz .LBB8_802
; %bb.801:
	global_load_dword v0, v[0:1], off offset:24
	v_mov_b32_e32 v1, 0
	s_waitcnt vmcnt(0)
	global_store_dwordx2 v[2:3], v[0:1], off
	v_and_b32_e32 v0, 0xffffff, v0
	v_readfirstlane_b32 m0, v0
	s_sendmsg sendmsg(MSG_INTERRUPT)
.LBB8_802:
	s_or_b64 exec, exec, s[20:21]
	s_branch .LBB8_806
.LBB8_803:                              ;   in Loop: Header=BB8_806 Depth=1
	s_or_b64 exec, exec, s[20:21]
	v_readfirstlane_b32 s15, v0
	s_cmp_eq_u32 s15, 0
	s_cbranch_scc1 .LBB8_805
; %bb.804:                              ;   in Loop: Header=BB8_806 Depth=1
	s_sleep 1
	s_cbranch_execnz .LBB8_806
	s_branch .LBB8_808
.LBB8_805:
	s_branch .LBB8_808
.LBB8_806:                              ; =>This Inner Loop Header: Depth=1
	v_mov_b32_e32 v0, 1
	s_and_saveexec_b64 s[20:21], s[4:5]
	s_cbranch_execz .LBB8_803
; %bb.807:                              ;   in Loop: Header=BB8_806 Depth=1
	global_load_dword v0, v[8:9], off offset:20 glc
	s_waitcnt vmcnt(0)
	buffer_wbinvl1_vol
	v_and_b32_e32 v0, 1, v0
	s_branch .LBB8_803
.LBB8_808:
	global_load_dwordx2 v[2:3], v[6:7], off
	s_and_saveexec_b64 s[20:21], s[4:5]
	s_cbranch_execz .LBB8_811
; %bb.809:
	v_mov_b32_e32 v8, 0
	global_load_dwordx2 v[0:1], v8, s[6:7] offset:40
	global_load_dwordx2 v[9:10], v8, s[6:7] offset:24 glc
	global_load_dwordx2 v[11:12], v8, s[6:7]
	v_mov_b32_e32 v5, s19
	s_mov_b64 s[4:5], 0
	s_waitcnt vmcnt(2)
	v_add_co_u32_e32 v6, vcc, 1, v0
	v_addc_co_u32_e32 v7, vcc, 0, v1, vcc
	v_add_co_u32_e32 v4, vcc, s18, v6
	v_addc_co_u32_e32 v5, vcc, v7, v5, vcc
	v_cmp_eq_u64_e32 vcc, 0, v[4:5]
	v_cndmask_b32_e32 v5, v5, v7, vcc
	v_cndmask_b32_e32 v4, v4, v6, vcc
	v_and_b32_e32 v1, v5, v1
	v_and_b32_e32 v0, v4, v0
	v_mul_lo_u32 v1, v1, 24
	v_mul_hi_u32 v7, v0, 24
	v_mul_lo_u32 v0, v0, 24
	s_waitcnt vmcnt(1)
	v_mov_b32_e32 v6, v9
	v_add_u32_e32 v1, v7, v1
	s_waitcnt vmcnt(0)
	v_add_co_u32_e32 v0, vcc, v11, v0
	v_addc_co_u32_e32 v1, vcc, v12, v1, vcc
	global_store_dwordx2 v[0:1], v[9:10], off
	v_mov_b32_e32 v7, v10
	s_waitcnt vmcnt(0)
	global_atomic_cmpswap_x2 v[6:7], v8, v[4:7], s[6:7] offset:24 glc
	s_waitcnt vmcnt(0)
	v_cmp_ne_u64_e32 vcc, v[6:7], v[9:10]
	s_and_b64 exec, exec, vcc
	s_cbranch_execz .LBB8_811
.LBB8_810:                              ; =>This Inner Loop Header: Depth=1
	s_sleep 1
	global_store_dwordx2 v[0:1], v[6:7], off
	s_waitcnt vmcnt(0)
	global_atomic_cmpswap_x2 v[9:10], v8, v[4:7], s[6:7] offset:24 glc
	s_waitcnt vmcnt(0)
	v_cmp_eq_u64_e32 vcc, v[9:10], v[6:7]
	v_mov_b32_e32 v6, v9
	s_or_b64 s[4:5], vcc, s[4:5]
	v_mov_b32_e32 v7, v10
	s_andn2_b64 exec, exec, s[4:5]
	s_cbranch_execnz .LBB8_810
.LBB8_811:
	s_or_b64 exec, exec, s[20:21]
.LBB8_812:
	v_readfirstlane_b32 s4, v32
	s_waitcnt vmcnt(0)
	v_mov_b32_e32 v0, 0
	v_mov_b32_e32 v1, 0
	v_cmp_eq_u32_e64 s[4:5], s4, v32
	s_and_saveexec_b64 s[18:19], s[4:5]
	s_cbranch_execz .LBB8_818
; %bb.813:
	v_mov_b32_e32 v4, 0
	global_load_dwordx2 v[7:8], v4, s[6:7] offset:24 glc
	s_waitcnt vmcnt(0)
	buffer_wbinvl1_vol
	global_load_dwordx2 v[0:1], v4, s[6:7] offset:40
	global_load_dwordx2 v[5:6], v4, s[6:7]
	s_waitcnt vmcnt(1)
	v_and_b32_e32 v0, v0, v7
	v_and_b32_e32 v1, v1, v8
	v_mul_lo_u32 v1, v1, 24
	v_mul_hi_u32 v9, v0, 24
	v_mul_lo_u32 v0, v0, 24
	v_add_u32_e32 v1, v9, v1
	s_waitcnt vmcnt(0)
	v_add_co_u32_e32 v0, vcc, v5, v0
	v_addc_co_u32_e32 v1, vcc, v6, v1, vcc
	global_load_dwordx2 v[5:6], v[0:1], off glc
	s_waitcnt vmcnt(0)
	global_atomic_cmpswap_x2 v[0:1], v4, v[5:8], s[6:7] offset:24 glc
	s_waitcnt vmcnt(0)
	buffer_wbinvl1_vol
	v_cmp_ne_u64_e32 vcc, v[0:1], v[7:8]
	s_and_saveexec_b64 s[20:21], vcc
	s_cbranch_execz .LBB8_817
; %bb.814:
	s_mov_b64 s[22:23], 0
.LBB8_815:                              ; =>This Inner Loop Header: Depth=1
	s_sleep 1
	global_load_dwordx2 v[5:6], v4, s[6:7] offset:40
	global_load_dwordx2 v[9:10], v4, s[6:7]
	v_mov_b32_e32 v8, v1
	v_mov_b32_e32 v7, v0
	s_waitcnt vmcnt(1)
	v_and_b32_e32 v0, v5, v7
	s_waitcnt vmcnt(0)
	v_mad_u64_u32 v[0:1], s[24:25], v0, 24, v[9:10]
	v_and_b32_e32 v5, v6, v8
	v_mad_u64_u32 v[5:6], s[24:25], v5, 24, v[1:2]
	v_mov_b32_e32 v1, v5
	global_load_dwordx2 v[5:6], v[0:1], off glc
	s_waitcnt vmcnt(0)
	global_atomic_cmpswap_x2 v[0:1], v4, v[5:8], s[6:7] offset:24 glc
	s_waitcnt vmcnt(0)
	buffer_wbinvl1_vol
	v_cmp_eq_u64_e32 vcc, v[0:1], v[7:8]
	s_or_b64 s[22:23], vcc, s[22:23]
	s_andn2_b64 exec, exec, s[22:23]
	s_cbranch_execnz .LBB8_815
; %bb.816:
	s_or_b64 exec, exec, s[22:23]
.LBB8_817:
	s_or_b64 exec, exec, s[20:21]
.LBB8_818:
	s_or_b64 exec, exec, s[18:19]
	v_mov_b32_e32 v5, 0
	global_load_dwordx2 v[10:11], v5, s[6:7] offset:40
	global_load_dwordx4 v[6:9], v5, s[6:7]
	v_readfirstlane_b32 s18, v0
	v_readfirstlane_b32 s19, v1
	s_mov_b64 s[20:21], exec
	s_waitcnt vmcnt(1)
	v_readfirstlane_b32 s22, v10
	v_readfirstlane_b32 s23, v11
	s_and_b64 s[22:23], s[18:19], s[22:23]
	s_mul_i32 s15, s23, 24
	s_mul_hi_u32 s24, s22, 24
	s_mul_i32 s25, s22, 24
	s_add_i32 s15, s24, s15
	v_mov_b32_e32 v0, s15
	s_waitcnt vmcnt(0)
	v_add_co_u32_e32 v10, vcc, s25, v6
	v_addc_co_u32_e32 v11, vcc, v7, v0, vcc
	s_and_saveexec_b64 s[24:25], s[4:5]
	s_cbranch_execz .LBB8_820
; %bb.819:
	v_mov_b32_e32 v12, s20
	v_mov_b32_e32 v13, s21
	;; [unrolled: 1-line block ×4, first 2 shown]
	global_store_dwordx4 v[10:11], v[12:15], off offset:8
.LBB8_820:
	s_or_b64 exec, exec, s[24:25]
	s_lshl_b64 s[20:21], s[22:23], 12
	v_mov_b32_e32 v0, s21
	v_add_co_u32_e32 v1, vcc, s20, v8
	v_addc_co_u32_e32 v0, vcc, v9, v0, vcc
	s_movk_i32 s15, 0xff1d
	v_and_or_b32 v2, v2, s15, 34
	s_mov_b32 s20, 0
	v_mov_b32_e32 v4, 58
	v_readfirstlane_b32 s24, v1
	v_readfirstlane_b32 s25, v0
	s_mov_b32 s21, s20
	s_mov_b32 s22, s20
	s_mov_b32 s23, s20
	s_nop 1
	global_store_dwordx4 v31, v[2:5], s[24:25]
	v_mov_b32_e32 v0, s20
	v_mov_b32_e32 v1, s21
	;; [unrolled: 1-line block ×4, first 2 shown]
	global_store_dwordx4 v31, v[0:3], s[24:25] offset:16
	global_store_dwordx4 v31, v[0:3], s[24:25] offset:32
	;; [unrolled: 1-line block ×3, first 2 shown]
	s_and_saveexec_b64 s[20:21], s[4:5]
	s_cbranch_execz .LBB8_828
; %bb.821:
	v_mov_b32_e32 v8, 0
	global_load_dwordx2 v[14:15], v8, s[6:7] offset:32 glc
	global_load_dwordx2 v[0:1], v8, s[6:7] offset:40
	v_mov_b32_e32 v12, s18
	v_mov_b32_e32 v13, s19
	s_waitcnt vmcnt(0)
	v_readfirstlane_b32 s22, v0
	v_readfirstlane_b32 s23, v1
	s_and_b64 s[22:23], s[22:23], s[18:19]
	s_mul_i32 s15, s23, 24
	s_mul_hi_u32 s23, s22, 24
	s_mul_i32 s22, s22, 24
	s_add_i32 s15, s23, s15
	v_mov_b32_e32 v0, s15
	v_add_co_u32_e32 v4, vcc, s22, v6
	v_addc_co_u32_e32 v5, vcc, v7, v0, vcc
	global_store_dwordx2 v[4:5], v[14:15], off
	s_waitcnt vmcnt(0)
	global_atomic_cmpswap_x2 v[2:3], v8, v[12:15], s[6:7] offset:32 glc
	s_waitcnt vmcnt(0)
	v_cmp_ne_u64_e32 vcc, v[2:3], v[14:15]
	s_and_saveexec_b64 s[22:23], vcc
	s_cbranch_execz .LBB8_824
; %bb.822:
	s_mov_b64 s[24:25], 0
.LBB8_823:                              ; =>This Inner Loop Header: Depth=1
	s_sleep 1
	global_store_dwordx2 v[4:5], v[2:3], off
	v_mov_b32_e32 v0, s18
	v_mov_b32_e32 v1, s19
	s_waitcnt vmcnt(0)
	global_atomic_cmpswap_x2 v[0:1], v8, v[0:3], s[6:7] offset:32 glc
	s_waitcnt vmcnt(0)
	v_cmp_eq_u64_e32 vcc, v[0:1], v[2:3]
	v_mov_b32_e32 v3, v1
	s_or_b64 s[24:25], vcc, s[24:25]
	v_mov_b32_e32 v2, v0
	s_andn2_b64 exec, exec, s[24:25]
	s_cbranch_execnz .LBB8_823
.LBB8_824:
	s_or_b64 exec, exec, s[22:23]
	v_mov_b32_e32 v3, 0
	global_load_dwordx2 v[0:1], v3, s[6:7] offset:16
	s_mov_b64 s[22:23], exec
	v_mbcnt_lo_u32_b32 v2, s22, 0
	v_mbcnt_hi_u32_b32 v2, s23, v2
	v_cmp_eq_u32_e32 vcc, 0, v2
	s_and_saveexec_b64 s[24:25], vcc
	s_cbranch_execz .LBB8_826
; %bb.825:
	s_bcnt1_i32_b64 s15, s[22:23]
	v_mov_b32_e32 v2, s15
	s_waitcnt vmcnt(0)
	global_atomic_add_x2 v[0:1], v[2:3], off offset:8
.LBB8_826:
	s_or_b64 exec, exec, s[24:25]
	s_waitcnt vmcnt(0)
	global_load_dwordx2 v[2:3], v[0:1], off offset:16
	s_waitcnt vmcnt(0)
	v_cmp_eq_u64_e32 vcc, 0, v[2:3]
	s_cbranch_vccnz .LBB8_828
; %bb.827:
	global_load_dword v0, v[0:1], off offset:24
	v_mov_b32_e32 v1, 0
	s_waitcnt vmcnt(0)
	global_store_dwordx2 v[2:3], v[0:1], off
	v_and_b32_e32 v0, 0xffffff, v0
	v_readfirstlane_b32 m0, v0
	s_sendmsg sendmsg(MSG_INTERRUPT)
.LBB8_828:
	s_or_b64 exec, exec, s[20:21]
	s_branch .LBB8_832
.LBB8_829:                              ;   in Loop: Header=BB8_832 Depth=1
	s_or_b64 exec, exec, s[20:21]
	v_readfirstlane_b32 s15, v0
	s_cmp_eq_u32 s15, 0
	s_cbranch_scc1 .LBB8_831
; %bb.830:                              ;   in Loop: Header=BB8_832 Depth=1
	s_sleep 1
	s_cbranch_execnz .LBB8_832
	s_branch .LBB8_834
.LBB8_831:
	s_branch .LBB8_834
.LBB8_832:                              ; =>This Inner Loop Header: Depth=1
	v_mov_b32_e32 v0, 1
	s_and_saveexec_b64 s[20:21], s[4:5]
	s_cbranch_execz .LBB8_829
; %bb.833:                              ;   in Loop: Header=BB8_832 Depth=1
	global_load_dword v0, v[10:11], off offset:20 glc
	s_waitcnt vmcnt(0)
	buffer_wbinvl1_vol
	v_and_b32_e32 v0, 1, v0
	s_branch .LBB8_829
.LBB8_834:
	s_and_saveexec_b64 s[20:21], s[4:5]
	s_cbranch_execz .LBB8_837
; %bb.835:
	v_mov_b32_e32 v6, 0
	global_load_dwordx2 v[2:3], v6, s[6:7] offset:40
	global_load_dwordx2 v[7:8], v6, s[6:7] offset:24 glc
	global_load_dwordx2 v[4:5], v6, s[6:7]
	v_mov_b32_e32 v1, s19
	s_mov_b64 s[4:5], 0
	s_waitcnt vmcnt(2)
	v_add_co_u32_e32 v9, vcc, 1, v2
	v_addc_co_u32_e32 v10, vcc, 0, v3, vcc
	v_add_co_u32_e32 v0, vcc, s18, v9
	v_addc_co_u32_e32 v1, vcc, v10, v1, vcc
	v_cmp_eq_u64_e32 vcc, 0, v[0:1]
	v_cndmask_b32_e32 v1, v1, v10, vcc
	v_cndmask_b32_e32 v0, v0, v9, vcc
	v_and_b32_e32 v3, v1, v3
	v_and_b32_e32 v2, v0, v2
	v_mul_lo_u32 v3, v3, 24
	v_mul_hi_u32 v9, v2, 24
	v_mul_lo_u32 v10, v2, 24
	s_waitcnt vmcnt(1)
	v_mov_b32_e32 v2, v7
	v_add_u32_e32 v3, v9, v3
	s_waitcnt vmcnt(0)
	v_add_co_u32_e32 v4, vcc, v4, v10
	v_addc_co_u32_e32 v5, vcc, v5, v3, vcc
	global_store_dwordx2 v[4:5], v[7:8], off
	v_mov_b32_e32 v3, v8
	s_waitcnt vmcnt(0)
	global_atomic_cmpswap_x2 v[2:3], v6, v[0:3], s[6:7] offset:24 glc
	s_waitcnt vmcnt(0)
	v_cmp_ne_u64_e32 vcc, v[2:3], v[7:8]
	s_and_b64 exec, exec, vcc
	s_cbranch_execz .LBB8_837
.LBB8_836:                              ; =>This Inner Loop Header: Depth=1
	s_sleep 1
	global_store_dwordx2 v[4:5], v[2:3], off
	s_waitcnt vmcnt(0)
	global_atomic_cmpswap_x2 v[7:8], v6, v[0:3], s[6:7] offset:24 glc
	s_waitcnt vmcnt(0)
	v_cmp_eq_u64_e32 vcc, v[7:8], v[2:3]
	v_mov_b32_e32 v2, v7
	s_or_b64 s[4:5], vcc, s[4:5]
	v_mov_b32_e32 v3, v8
	s_andn2_b64 exec, exec, s[4:5]
	s_cbranch_execnz .LBB8_836
.LBB8_837:
	s_or_b64 exec, exec, s[20:21]
	v_readfirstlane_b32 s4, v32
	v_mov_b32_e32 v5, 0
	v_mov_b32_e32 v6, 0
	v_cmp_eq_u32_e64 s[4:5], s4, v32
	s_and_saveexec_b64 s[18:19], s[4:5]
	s_cbranch_execz .LBB8_843
; %bb.838:
	v_mov_b32_e32 v0, 0
	global_load_dwordx2 v[3:4], v0, s[6:7] offset:24 glc
	s_waitcnt vmcnt(0)
	buffer_wbinvl1_vol
	global_load_dwordx2 v[1:2], v0, s[6:7] offset:40
	global_load_dwordx2 v[5:6], v0, s[6:7]
	s_waitcnt vmcnt(1)
	v_and_b32_e32 v1, v1, v3
	v_and_b32_e32 v2, v2, v4
	v_mul_lo_u32 v2, v2, 24
	v_mul_hi_u32 v7, v1, 24
	v_mul_lo_u32 v1, v1, 24
	v_add_u32_e32 v2, v7, v2
	s_waitcnt vmcnt(0)
	v_add_co_u32_e32 v1, vcc, v5, v1
	v_addc_co_u32_e32 v2, vcc, v6, v2, vcc
	global_load_dwordx2 v[1:2], v[1:2], off glc
	s_waitcnt vmcnt(0)
	global_atomic_cmpswap_x2 v[5:6], v0, v[1:4], s[6:7] offset:24 glc
	s_waitcnt vmcnt(0)
	buffer_wbinvl1_vol
	v_cmp_ne_u64_e32 vcc, v[5:6], v[3:4]
	s_and_saveexec_b64 s[20:21], vcc
	s_cbranch_execz .LBB8_842
; %bb.839:
	s_mov_b64 s[22:23], 0
.LBB8_840:                              ; =>This Inner Loop Header: Depth=1
	s_sleep 1
	global_load_dwordx2 v[1:2], v0, s[6:7] offset:40
	global_load_dwordx2 v[7:8], v0, s[6:7]
	v_mov_b32_e32 v3, v5
	v_mov_b32_e32 v4, v6
	s_waitcnt vmcnt(1)
	v_and_b32_e32 v1, v1, v3
	s_waitcnt vmcnt(0)
	v_mad_u64_u32 v[5:6], s[24:25], v1, 24, v[7:8]
	v_and_b32_e32 v2, v2, v4
	v_mov_b32_e32 v1, v6
	v_mad_u64_u32 v[1:2], s[24:25], v2, 24, v[1:2]
	v_mov_b32_e32 v6, v1
	global_load_dwordx2 v[1:2], v[5:6], off glc
	s_waitcnt vmcnt(0)
	global_atomic_cmpswap_x2 v[5:6], v0, v[1:4], s[6:7] offset:24 glc
	s_waitcnt vmcnt(0)
	buffer_wbinvl1_vol
	v_cmp_eq_u64_e32 vcc, v[5:6], v[3:4]
	s_or_b64 s[22:23], vcc, s[22:23]
	s_andn2_b64 exec, exec, s[22:23]
	s_cbranch_execnz .LBB8_840
; %bb.841:
	s_or_b64 exec, exec, s[22:23]
.LBB8_842:
	s_or_b64 exec, exec, s[20:21]
.LBB8_843:
	s_or_b64 exec, exec, s[18:19]
	v_mov_b32_e32 v4, 0
	global_load_dwordx2 v[7:8], v4, s[6:7] offset:40
	global_load_dwordx4 v[0:3], v4, s[6:7]
	v_readfirstlane_b32 s18, v5
	v_readfirstlane_b32 s19, v6
	s_mov_b64 s[20:21], exec
	s_waitcnt vmcnt(1)
	v_readfirstlane_b32 s22, v7
	v_readfirstlane_b32 s23, v8
	s_and_b64 s[22:23], s[18:19], s[22:23]
	s_mul_i32 s15, s23, 24
	s_mul_hi_u32 s24, s22, 24
	s_mul_i32 s25, s22, 24
	s_add_i32 s15, s24, s15
	v_mov_b32_e32 v5, s15
	s_waitcnt vmcnt(0)
	v_add_co_u32_e32 v7, vcc, s25, v0
	v_addc_co_u32_e32 v8, vcc, v1, v5, vcc
	s_and_saveexec_b64 s[24:25], s[4:5]
	s_cbranch_execz .LBB8_845
; %bb.844:
	v_mov_b32_e32 v9, s20
	v_mov_b32_e32 v10, s21
	;; [unrolled: 1-line block ×4, first 2 shown]
	global_store_dwordx4 v[7:8], v[9:12], off offset:8
.LBB8_845:
	s_or_b64 exec, exec, s[24:25]
	s_lshl_b64 s[20:21], s[22:23], 12
	v_mov_b32_e32 v5, s21
	v_add_co_u32_e32 v2, vcc, s20, v2
	v_addc_co_u32_e32 v11, vcc, v3, v5, vcc
	s_mov_b32 s20, 0
	v_mov_b32_e32 v3, 33
	v_mov_b32_e32 v5, v4
	;; [unrolled: 1-line block ×3, first 2 shown]
	v_readfirstlane_b32 s24, v2
	v_readfirstlane_b32 s25, v11
	v_add_co_u32_e32 v9, vcc, v2, v31
	s_mov_b32 s21, s20
	s_mov_b32 s22, s20
	;; [unrolled: 1-line block ×3, first 2 shown]
	s_nop 0
	global_store_dwordx4 v31, v[3:6], s[24:25]
	v_mov_b32_e32 v2, s20
	v_addc_co_u32_e32 v10, vcc, 0, v11, vcc
	v_mov_b32_e32 v3, s21
	v_mov_b32_e32 v4, s22
	;; [unrolled: 1-line block ×3, first 2 shown]
	global_store_dwordx4 v31, v[2:5], s[24:25] offset:16
	global_store_dwordx4 v31, v[2:5], s[24:25] offset:32
	;; [unrolled: 1-line block ×3, first 2 shown]
	s_and_saveexec_b64 s[20:21], s[4:5]
	s_cbranch_execz .LBB8_853
; %bb.846:
	v_mov_b32_e32 v6, 0
	global_load_dwordx2 v[13:14], v6, s[6:7] offset:32 glc
	global_load_dwordx2 v[2:3], v6, s[6:7] offset:40
	v_mov_b32_e32 v11, s18
	v_mov_b32_e32 v12, s19
	s_waitcnt vmcnt(0)
	v_readfirstlane_b32 s22, v2
	v_readfirstlane_b32 s23, v3
	s_and_b64 s[22:23], s[22:23], s[18:19]
	s_mul_i32 s15, s23, 24
	s_mul_hi_u32 s23, s22, 24
	s_mul_i32 s22, s22, 24
	s_add_i32 s15, s23, s15
	v_mov_b32_e32 v2, s15
	v_add_co_u32_e32 v4, vcc, s22, v0
	v_addc_co_u32_e32 v5, vcc, v1, v2, vcc
	global_store_dwordx2 v[4:5], v[13:14], off
	s_waitcnt vmcnt(0)
	global_atomic_cmpswap_x2 v[2:3], v6, v[11:14], s[6:7] offset:32 glc
	s_waitcnt vmcnt(0)
	v_cmp_ne_u64_e32 vcc, v[2:3], v[13:14]
	s_and_saveexec_b64 s[22:23], vcc
	s_cbranch_execz .LBB8_849
; %bb.847:
	s_mov_b64 s[24:25], 0
.LBB8_848:                              ; =>This Inner Loop Header: Depth=1
	s_sleep 1
	global_store_dwordx2 v[4:5], v[2:3], off
	v_mov_b32_e32 v0, s18
	v_mov_b32_e32 v1, s19
	s_waitcnt vmcnt(0)
	global_atomic_cmpswap_x2 v[0:1], v6, v[0:3], s[6:7] offset:32 glc
	s_waitcnt vmcnt(0)
	v_cmp_eq_u64_e32 vcc, v[0:1], v[2:3]
	v_mov_b32_e32 v3, v1
	s_or_b64 s[24:25], vcc, s[24:25]
	v_mov_b32_e32 v2, v0
	s_andn2_b64 exec, exec, s[24:25]
	s_cbranch_execnz .LBB8_848
.LBB8_849:
	s_or_b64 exec, exec, s[22:23]
	v_mov_b32_e32 v3, 0
	global_load_dwordx2 v[0:1], v3, s[6:7] offset:16
	s_mov_b64 s[22:23], exec
	v_mbcnt_lo_u32_b32 v2, s22, 0
	v_mbcnt_hi_u32_b32 v2, s23, v2
	v_cmp_eq_u32_e32 vcc, 0, v2
	s_and_saveexec_b64 s[24:25], vcc
	s_cbranch_execz .LBB8_851
; %bb.850:
	s_bcnt1_i32_b64 s15, s[22:23]
	v_mov_b32_e32 v2, s15
	s_waitcnt vmcnt(0)
	global_atomic_add_x2 v[0:1], v[2:3], off offset:8
.LBB8_851:
	s_or_b64 exec, exec, s[24:25]
	s_waitcnt vmcnt(0)
	global_load_dwordx2 v[2:3], v[0:1], off offset:16
	s_waitcnt vmcnt(0)
	v_cmp_eq_u64_e32 vcc, 0, v[2:3]
	s_cbranch_vccnz .LBB8_853
; %bb.852:
	global_load_dword v0, v[0:1], off offset:24
	v_mov_b32_e32 v1, 0
	s_waitcnt vmcnt(0)
	global_store_dwordx2 v[2:3], v[0:1], off
	v_and_b32_e32 v0, 0xffffff, v0
	v_readfirstlane_b32 m0, v0
	s_sendmsg sendmsg(MSG_INTERRUPT)
.LBB8_853:
	s_or_b64 exec, exec, s[20:21]
	s_branch .LBB8_857
.LBB8_854:                              ;   in Loop: Header=BB8_857 Depth=1
	s_or_b64 exec, exec, s[20:21]
	v_readfirstlane_b32 s15, v0
	s_cmp_eq_u32 s15, 0
	s_cbranch_scc1 .LBB8_856
; %bb.855:                              ;   in Loop: Header=BB8_857 Depth=1
	s_sleep 1
	s_cbranch_execnz .LBB8_857
	s_branch .LBB8_859
.LBB8_856:
	s_branch .LBB8_859
.LBB8_857:                              ; =>This Inner Loop Header: Depth=1
	v_mov_b32_e32 v0, 1
	s_and_saveexec_b64 s[20:21], s[4:5]
	s_cbranch_execz .LBB8_854
; %bb.858:                              ;   in Loop: Header=BB8_857 Depth=1
	global_load_dword v0, v[7:8], off offset:20 glc
	s_waitcnt vmcnt(0)
	buffer_wbinvl1_vol
	v_and_b32_e32 v0, 1, v0
	s_branch .LBB8_854
.LBB8_859:
	global_load_dwordx2 v[0:1], v[9:10], off
	s_and_saveexec_b64 s[20:21], s[4:5]
	s_cbranch_execz .LBB8_862
; %bb.860:
	v_mov_b32_e32 v8, 0
	global_load_dwordx2 v[4:5], v8, s[6:7] offset:40
	global_load_dwordx2 v[9:10], v8, s[6:7] offset:24 glc
	global_load_dwordx2 v[6:7], v8, s[6:7]
	v_mov_b32_e32 v3, s19
	s_mov_b64 s[4:5], 0
	s_waitcnt vmcnt(2)
	v_add_co_u32_e32 v11, vcc, 1, v4
	v_addc_co_u32_e32 v12, vcc, 0, v5, vcc
	v_add_co_u32_e32 v2, vcc, s18, v11
	v_addc_co_u32_e32 v3, vcc, v12, v3, vcc
	v_cmp_eq_u64_e32 vcc, 0, v[2:3]
	v_cndmask_b32_e32 v3, v3, v12, vcc
	v_cndmask_b32_e32 v2, v2, v11, vcc
	v_and_b32_e32 v5, v3, v5
	v_and_b32_e32 v4, v2, v4
	v_mul_lo_u32 v5, v5, 24
	v_mul_hi_u32 v11, v4, 24
	v_mul_lo_u32 v12, v4, 24
	s_waitcnt vmcnt(1)
	v_mov_b32_e32 v4, v9
	v_add_u32_e32 v5, v11, v5
	s_waitcnt vmcnt(0)
	v_add_co_u32_e32 v6, vcc, v6, v12
	v_addc_co_u32_e32 v7, vcc, v7, v5, vcc
	global_store_dwordx2 v[6:7], v[9:10], off
	v_mov_b32_e32 v5, v10
	s_waitcnt vmcnt(0)
	global_atomic_cmpswap_x2 v[4:5], v8, v[2:5], s[6:7] offset:24 glc
	s_waitcnt vmcnt(0)
	v_cmp_ne_u64_e32 vcc, v[4:5], v[9:10]
	s_and_b64 exec, exec, vcc
	s_cbranch_execz .LBB8_862
.LBB8_861:                              ; =>This Inner Loop Header: Depth=1
	s_sleep 1
	global_store_dwordx2 v[6:7], v[4:5], off
	s_waitcnt vmcnt(0)
	global_atomic_cmpswap_x2 v[9:10], v8, v[2:5], s[6:7] offset:24 glc
	s_waitcnt vmcnt(0)
	v_cmp_eq_u64_e32 vcc, v[9:10], v[4:5]
	v_mov_b32_e32 v4, v9
	s_or_b64 s[4:5], vcc, s[4:5]
	v_mov_b32_e32 v5, v10
	s_andn2_b64 exec, exec, s[4:5]
	s_cbranch_execnz .LBB8_861
.LBB8_862:
	s_or_b64 exec, exec, s[20:21]
	s_getpc_b64 s[18:19]
	s_add_u32 s18, s18, .str.7@rel32@lo+4
	s_addc_u32 s19, s19, .str.7@rel32@hi+12
	s_cmp_lg_u64 s[18:19], 0
	s_cbranch_scc0 .LBB8_947
; %bb.863:
	s_waitcnt vmcnt(0)
	v_and_b32_e32 v33, 2, v0
	v_mov_b32_e32 v28, 0
	v_and_b32_e32 v2, -3, v0
	v_mov_b32_e32 v3, v1
	s_mov_b64 s[20:21], 4
	v_mov_b32_e32 v6, 2
	v_mov_b32_e32 v7, 1
	s_branch .LBB8_865
.LBB8_864:                              ;   in Loop: Header=BB8_865 Depth=1
	s_or_b64 exec, exec, s[26:27]
	s_sub_u32 s20, s20, s22
	s_subb_u32 s21, s21, s23
	s_add_u32 s18, s18, s22
	s_addc_u32 s19, s19, s23
	s_cmp_lg_u64 s[20:21], 0
	s_cbranch_scc0 .LBB8_946
.LBB8_865:                              ; =>This Loop Header: Depth=1
                                        ;     Child Loop BB8_868 Depth 2
                                        ;     Child Loop BB8_875 Depth 2
	;; [unrolled: 1-line block ×11, first 2 shown]
	v_cmp_lt_u64_e64 s[4:5], s[20:21], 56
	v_cmp_gt_u64_e64 s[24:25], s[20:21], 7
	s_and_b64 s[4:5], s[4:5], exec
	s_cselect_b32 s23, s21, 0
	s_cselect_b32 s22, s20, 56
	s_and_b64 vcc, exec, s[24:25]
	s_cbranch_vccnz .LBB8_870
; %bb.866:                              ;   in Loop: Header=BB8_865 Depth=1
	v_mov_b32_e32 v10, 0
	s_cmp_eq_u64 s[20:21], 0
	v_mov_b32_e32 v11, 0
	s_mov_b64 s[4:5], 0
	s_cbranch_scc1 .LBB8_869
; %bb.867:                              ;   in Loop: Header=BB8_865 Depth=1
	v_mov_b32_e32 v10, 0
	s_lshl_b64 s[24:25], s[22:23], 3
	s_mov_b64 s[26:27], 0
	v_mov_b32_e32 v11, 0
	s_mov_b64 s[28:29], s[18:19]
.LBB8_868:                              ;   Parent Loop BB8_865 Depth=1
                                        ; =>  This Inner Loop Header: Depth=2
	global_load_ubyte v4, v28, s[28:29]
	s_waitcnt vmcnt(0)
	v_and_b32_e32 v27, 0xffff, v4
	v_lshlrev_b64 v[4:5], s26, v[27:28]
	s_add_u32 s26, s26, 8
	s_addc_u32 s27, s27, 0
	s_add_u32 s28, s28, 1
	s_addc_u32 s29, s29, 0
	v_or_b32_e32 v10, v4, v10
	s_cmp_lg_u32 s24, s26
	v_or_b32_e32 v11, v5, v11
	s_cbranch_scc1 .LBB8_868
.LBB8_869:                              ;   in Loop: Header=BB8_865 Depth=1
	s_mov_b32 s15, 0
	s_andn2_b64 vcc, exec, s[4:5]
	s_mov_b64 s[4:5], s[18:19]
	s_cbranch_vccz .LBB8_871
	s_branch .LBB8_872
.LBB8_870:                              ;   in Loop: Header=BB8_865 Depth=1
                                        ; implicit-def: $vgpr10_vgpr11
                                        ; implicit-def: $sgpr15
	s_mov_b64 s[4:5], s[18:19]
.LBB8_871:                              ;   in Loop: Header=BB8_865 Depth=1
	global_load_dwordx2 v[10:11], v28, s[18:19]
	s_add_i32 s15, s22, -8
	s_add_u32 s4, s18, 8
	s_addc_u32 s5, s19, 0
.LBB8_872:                              ;   in Loop: Header=BB8_865 Depth=1
	s_cmp_gt_u32 s15, 7
	s_cbranch_scc1 .LBB8_876
; %bb.873:                              ;   in Loop: Header=BB8_865 Depth=1
	s_cmp_eq_u32 s15, 0
	s_cbranch_scc1 .LBB8_877
; %bb.874:                              ;   in Loop: Header=BB8_865 Depth=1
	v_mov_b32_e32 v12, 0
	s_mov_b64 s[24:25], 0
	v_mov_b32_e32 v13, 0
	s_mov_b64 s[26:27], 0
.LBB8_875:                              ;   Parent Loop BB8_865 Depth=1
                                        ; =>  This Inner Loop Header: Depth=2
	s_add_u32 s28, s4, s26
	s_addc_u32 s29, s5, s27
	global_load_ubyte v4, v28, s[28:29]
	s_add_u32 s26, s26, 1
	s_addc_u32 s27, s27, 0
	s_waitcnt vmcnt(0)
	v_and_b32_e32 v27, 0xffff, v4
	v_lshlrev_b64 v[4:5], s24, v[27:28]
	s_add_u32 s24, s24, 8
	s_addc_u32 s25, s25, 0
	v_or_b32_e32 v12, v4, v12
	s_cmp_lg_u32 s15, s26
	v_or_b32_e32 v13, v5, v13
	s_cbranch_scc1 .LBB8_875
	s_branch .LBB8_878
.LBB8_876:                              ;   in Loop: Header=BB8_865 Depth=1
                                        ; implicit-def: $vgpr12_vgpr13
                                        ; implicit-def: $sgpr28
	s_branch .LBB8_879
.LBB8_877:                              ;   in Loop: Header=BB8_865 Depth=1
	v_mov_b32_e32 v12, 0
	v_mov_b32_e32 v13, 0
.LBB8_878:                              ;   in Loop: Header=BB8_865 Depth=1
	s_mov_b32 s28, 0
	s_cbranch_execnz .LBB8_880
.LBB8_879:                              ;   in Loop: Header=BB8_865 Depth=1
	global_load_dwordx2 v[12:13], v28, s[4:5]
	s_add_i32 s28, s15, -8
	s_add_u32 s4, s4, 8
	s_addc_u32 s5, s5, 0
.LBB8_880:                              ;   in Loop: Header=BB8_865 Depth=1
	s_cmp_gt_u32 s28, 7
	s_cbranch_scc1 .LBB8_884
; %bb.881:                              ;   in Loop: Header=BB8_865 Depth=1
	s_cmp_eq_u32 s28, 0
	s_cbranch_scc1 .LBB8_885
; %bb.882:                              ;   in Loop: Header=BB8_865 Depth=1
	v_mov_b32_e32 v14, 0
	s_mov_b64 s[24:25], 0
	v_mov_b32_e32 v15, 0
	s_mov_b64 s[26:27], 0
.LBB8_883:                              ;   Parent Loop BB8_865 Depth=1
                                        ; =>  This Inner Loop Header: Depth=2
	s_add_u32 vcc_lo, s4, s26
	s_addc_u32 vcc_hi, s5, s27
	global_load_ubyte v4, v28, vcc
	s_add_u32 s26, s26, 1
	s_addc_u32 s27, s27, 0
	s_waitcnt vmcnt(0)
	v_and_b32_e32 v27, 0xffff, v4
	v_lshlrev_b64 v[4:5], s24, v[27:28]
	s_add_u32 s24, s24, 8
	s_addc_u32 s25, s25, 0
	v_or_b32_e32 v14, v4, v14
	s_cmp_lg_u32 s28, s26
	v_or_b32_e32 v15, v5, v15
	s_cbranch_scc1 .LBB8_883
	s_branch .LBB8_886
.LBB8_884:                              ;   in Loop: Header=BB8_865 Depth=1
                                        ; implicit-def: $sgpr15
	s_branch .LBB8_887
.LBB8_885:                              ;   in Loop: Header=BB8_865 Depth=1
	v_mov_b32_e32 v14, 0
	v_mov_b32_e32 v15, 0
.LBB8_886:                              ;   in Loop: Header=BB8_865 Depth=1
	s_mov_b32 s15, 0
	s_cbranch_execnz .LBB8_888
.LBB8_887:                              ;   in Loop: Header=BB8_865 Depth=1
	global_load_dwordx2 v[14:15], v28, s[4:5]
	s_add_i32 s15, s28, -8
	s_add_u32 s4, s4, 8
	s_addc_u32 s5, s5, 0
.LBB8_888:                              ;   in Loop: Header=BB8_865 Depth=1
	s_cmp_gt_u32 s15, 7
	s_cbranch_scc1 .LBB8_892
; %bb.889:                              ;   in Loop: Header=BB8_865 Depth=1
	s_cmp_eq_u32 s15, 0
	s_cbranch_scc1 .LBB8_893
; %bb.890:                              ;   in Loop: Header=BB8_865 Depth=1
	v_mov_b32_e32 v16, 0
	s_mov_b64 s[24:25], 0
	v_mov_b32_e32 v17, 0
	s_mov_b64 s[26:27], 0
.LBB8_891:                              ;   Parent Loop BB8_865 Depth=1
                                        ; =>  This Inner Loop Header: Depth=2
	s_add_u32 s28, s4, s26
	s_addc_u32 s29, s5, s27
	global_load_ubyte v4, v28, s[28:29]
	s_add_u32 s26, s26, 1
	s_addc_u32 s27, s27, 0
	s_waitcnt vmcnt(0)
	v_and_b32_e32 v27, 0xffff, v4
	v_lshlrev_b64 v[4:5], s24, v[27:28]
	s_add_u32 s24, s24, 8
	s_addc_u32 s25, s25, 0
	v_or_b32_e32 v16, v4, v16
	s_cmp_lg_u32 s15, s26
	v_or_b32_e32 v17, v5, v17
	s_cbranch_scc1 .LBB8_891
	s_branch .LBB8_894
.LBB8_892:                              ;   in Loop: Header=BB8_865 Depth=1
                                        ; implicit-def: $vgpr16_vgpr17
                                        ; implicit-def: $sgpr28
	s_branch .LBB8_895
.LBB8_893:                              ;   in Loop: Header=BB8_865 Depth=1
	v_mov_b32_e32 v16, 0
	v_mov_b32_e32 v17, 0
.LBB8_894:                              ;   in Loop: Header=BB8_865 Depth=1
	s_mov_b32 s28, 0
	s_cbranch_execnz .LBB8_896
.LBB8_895:                              ;   in Loop: Header=BB8_865 Depth=1
	global_load_dwordx2 v[16:17], v28, s[4:5]
	s_add_i32 s28, s15, -8
	s_add_u32 s4, s4, 8
	s_addc_u32 s5, s5, 0
.LBB8_896:                              ;   in Loop: Header=BB8_865 Depth=1
	s_cmp_gt_u32 s28, 7
	s_cbranch_scc1 .LBB8_900
; %bb.897:                              ;   in Loop: Header=BB8_865 Depth=1
	s_cmp_eq_u32 s28, 0
	s_cbranch_scc1 .LBB8_901
; %bb.898:                              ;   in Loop: Header=BB8_865 Depth=1
	v_mov_b32_e32 v18, 0
	s_mov_b64 s[24:25], 0
	v_mov_b32_e32 v19, 0
	s_mov_b64 s[26:27], 0
.LBB8_899:                              ;   Parent Loop BB8_865 Depth=1
                                        ; =>  This Inner Loop Header: Depth=2
	s_add_u32 vcc_lo, s4, s26
	s_addc_u32 vcc_hi, s5, s27
	global_load_ubyte v4, v28, vcc
	s_add_u32 s26, s26, 1
	s_addc_u32 s27, s27, 0
	s_waitcnt vmcnt(0)
	v_and_b32_e32 v27, 0xffff, v4
	v_lshlrev_b64 v[4:5], s24, v[27:28]
	s_add_u32 s24, s24, 8
	s_addc_u32 s25, s25, 0
	v_or_b32_e32 v18, v4, v18
	s_cmp_lg_u32 s28, s26
	v_or_b32_e32 v19, v5, v19
	s_cbranch_scc1 .LBB8_899
	s_branch .LBB8_902
.LBB8_900:                              ;   in Loop: Header=BB8_865 Depth=1
                                        ; implicit-def: $sgpr15
	s_branch .LBB8_903
.LBB8_901:                              ;   in Loop: Header=BB8_865 Depth=1
	v_mov_b32_e32 v18, 0
	v_mov_b32_e32 v19, 0
.LBB8_902:                              ;   in Loop: Header=BB8_865 Depth=1
	s_mov_b32 s15, 0
	s_cbranch_execnz .LBB8_904
.LBB8_903:                              ;   in Loop: Header=BB8_865 Depth=1
	global_load_dwordx2 v[18:19], v28, s[4:5]
	s_add_i32 s15, s28, -8
	s_add_u32 s4, s4, 8
	s_addc_u32 s5, s5, 0
.LBB8_904:                              ;   in Loop: Header=BB8_865 Depth=1
	s_cmp_gt_u32 s15, 7
	s_cbranch_scc1 .LBB8_908
; %bb.905:                              ;   in Loop: Header=BB8_865 Depth=1
	s_cmp_eq_u32 s15, 0
	s_cbranch_scc1 .LBB8_909
; %bb.906:                              ;   in Loop: Header=BB8_865 Depth=1
	v_mov_b32_e32 v20, 0
	s_mov_b64 s[24:25], 0
	v_mov_b32_e32 v21, 0
	s_mov_b64 s[26:27], 0
.LBB8_907:                              ;   Parent Loop BB8_865 Depth=1
                                        ; =>  This Inner Loop Header: Depth=2
	s_add_u32 s28, s4, s26
	s_addc_u32 s29, s5, s27
	global_load_ubyte v4, v28, s[28:29]
	s_add_u32 s26, s26, 1
	s_addc_u32 s27, s27, 0
	s_waitcnt vmcnt(0)
	v_and_b32_e32 v27, 0xffff, v4
	v_lshlrev_b64 v[4:5], s24, v[27:28]
	s_add_u32 s24, s24, 8
	s_addc_u32 s25, s25, 0
	v_or_b32_e32 v20, v4, v20
	s_cmp_lg_u32 s15, s26
	v_or_b32_e32 v21, v5, v21
	s_cbranch_scc1 .LBB8_907
	s_branch .LBB8_910
.LBB8_908:                              ;   in Loop: Header=BB8_865 Depth=1
                                        ; implicit-def: $vgpr20_vgpr21
                                        ; implicit-def: $sgpr28
	s_branch .LBB8_911
.LBB8_909:                              ;   in Loop: Header=BB8_865 Depth=1
	v_mov_b32_e32 v20, 0
	v_mov_b32_e32 v21, 0
.LBB8_910:                              ;   in Loop: Header=BB8_865 Depth=1
	s_mov_b32 s28, 0
	s_cbranch_execnz .LBB8_912
.LBB8_911:                              ;   in Loop: Header=BB8_865 Depth=1
	global_load_dwordx2 v[20:21], v28, s[4:5]
	s_add_i32 s28, s15, -8
	s_add_u32 s4, s4, 8
	s_addc_u32 s5, s5, 0
.LBB8_912:                              ;   in Loop: Header=BB8_865 Depth=1
	s_cmp_gt_u32 s28, 7
	s_cbranch_scc1 .LBB8_916
; %bb.913:                              ;   in Loop: Header=BB8_865 Depth=1
	s_cmp_eq_u32 s28, 0
	s_cbranch_scc1 .LBB8_917
; %bb.914:                              ;   in Loop: Header=BB8_865 Depth=1
	v_mov_b32_e32 v22, 0
	s_mov_b64 s[24:25], 0
	v_mov_b32_e32 v23, 0
	s_mov_b64 s[26:27], s[4:5]
.LBB8_915:                              ;   Parent Loop BB8_865 Depth=1
                                        ; =>  This Inner Loop Header: Depth=2
	global_load_ubyte v4, v28, s[26:27]
	s_add_i32 s28, s28, -1
	s_waitcnt vmcnt(0)
	v_and_b32_e32 v27, 0xffff, v4
	v_lshlrev_b64 v[4:5], s24, v[27:28]
	s_add_u32 s24, s24, 8
	s_addc_u32 s25, s25, 0
	s_add_u32 s26, s26, 1
	s_addc_u32 s27, s27, 0
	v_or_b32_e32 v22, v4, v22
	s_cmp_lg_u32 s28, 0
	v_or_b32_e32 v23, v5, v23
	s_cbranch_scc1 .LBB8_915
	s_branch .LBB8_918
.LBB8_916:                              ;   in Loop: Header=BB8_865 Depth=1
	s_branch .LBB8_919
.LBB8_917:                              ;   in Loop: Header=BB8_865 Depth=1
	v_mov_b32_e32 v22, 0
	v_mov_b32_e32 v23, 0
.LBB8_918:                              ;   in Loop: Header=BB8_865 Depth=1
	s_cbranch_execnz .LBB8_920
.LBB8_919:                              ;   in Loop: Header=BB8_865 Depth=1
	global_load_dwordx2 v[22:23], v28, s[4:5]
.LBB8_920:                              ;   in Loop: Header=BB8_865 Depth=1
	v_readfirstlane_b32 s4, v32
	s_waitcnt vmcnt(0)
	v_mov_b32_e32 v4, 0
	v_mov_b32_e32 v5, 0
	v_cmp_eq_u32_e64 s[4:5], s4, v32
	s_and_saveexec_b64 s[24:25], s[4:5]
	s_cbranch_execz .LBB8_926
; %bb.921:                              ;   in Loop: Header=BB8_865 Depth=1
	global_load_dwordx2 v[26:27], v28, s[6:7] offset:24 glc
	s_waitcnt vmcnt(0)
	buffer_wbinvl1_vol
	global_load_dwordx2 v[4:5], v28, s[6:7] offset:40
	global_load_dwordx2 v[8:9], v28, s[6:7]
	s_waitcnt vmcnt(1)
	v_and_b32_e32 v4, v4, v26
	v_and_b32_e32 v5, v5, v27
	v_mul_lo_u32 v5, v5, 24
	v_mul_hi_u32 v24, v4, 24
	v_mul_lo_u32 v4, v4, 24
	v_add_u32_e32 v5, v24, v5
	s_waitcnt vmcnt(0)
	v_add_co_u32_e32 v4, vcc, v8, v4
	v_addc_co_u32_e32 v5, vcc, v9, v5, vcc
	global_load_dwordx2 v[24:25], v[4:5], off glc
	s_waitcnt vmcnt(0)
	global_atomic_cmpswap_x2 v[4:5], v28, v[24:27], s[6:7] offset:24 glc
	s_waitcnt vmcnt(0)
	buffer_wbinvl1_vol
	v_cmp_ne_u64_e32 vcc, v[4:5], v[26:27]
	s_and_saveexec_b64 s[26:27], vcc
	s_cbranch_execz .LBB8_925
; %bb.922:                              ;   in Loop: Header=BB8_865 Depth=1
	s_mov_b64 s[28:29], 0
.LBB8_923:                              ;   Parent Loop BB8_865 Depth=1
                                        ; =>  This Inner Loop Header: Depth=2
	s_sleep 1
	global_load_dwordx2 v[8:9], v28, s[6:7] offset:40
	global_load_dwordx2 v[24:25], v28, s[6:7]
	v_mov_b32_e32 v27, v5
	v_mov_b32_e32 v26, v4
	s_waitcnt vmcnt(1)
	v_and_b32_e32 v4, v8, v26
	s_waitcnt vmcnt(0)
	v_mad_u64_u32 v[4:5], vcc, v4, 24, v[24:25]
	v_and_b32_e32 v8, v9, v27
	v_mad_u64_u32 v[8:9], vcc, v8, 24, v[5:6]
	v_mov_b32_e32 v5, v8
	global_load_dwordx2 v[24:25], v[4:5], off glc
	s_waitcnt vmcnt(0)
	global_atomic_cmpswap_x2 v[4:5], v28, v[24:27], s[6:7] offset:24 glc
	s_waitcnt vmcnt(0)
	buffer_wbinvl1_vol
	v_cmp_eq_u64_e32 vcc, v[4:5], v[26:27]
	s_or_b64 s[28:29], vcc, s[28:29]
	s_andn2_b64 exec, exec, s[28:29]
	s_cbranch_execnz .LBB8_923
; %bb.924:                              ;   in Loop: Header=BB8_865 Depth=1
	s_or_b64 exec, exec, s[28:29]
.LBB8_925:                              ;   in Loop: Header=BB8_865 Depth=1
	s_or_b64 exec, exec, s[26:27]
.LBB8_926:                              ;   in Loop: Header=BB8_865 Depth=1
	s_or_b64 exec, exec, s[24:25]
	global_load_dwordx2 v[8:9], v28, s[6:7] offset:40
	global_load_dwordx4 v[24:27], v28, s[6:7]
	v_readfirstlane_b32 s24, v4
	v_readfirstlane_b32 s25, v5
	s_mov_b64 s[26:27], exec
	s_waitcnt vmcnt(1)
	v_readfirstlane_b32 s28, v8
	v_readfirstlane_b32 s29, v9
	s_and_b64 s[28:29], s[24:25], s[28:29]
	s_mul_i32 s15, s29, 24
	s_mul_hi_u32 vcc_lo, s28, 24
	s_mul_i32 vcc_hi, s28, 24
	s_add_i32 s15, vcc_lo, s15
	v_mov_b32_e32 v4, s15
	s_waitcnt vmcnt(0)
	v_add_co_u32_e32 v29, vcc, vcc_hi, v24
	v_addc_co_u32_e32 v30, vcc, v25, v4, vcc
	s_and_saveexec_b64 vcc, s[4:5]
	s_cbranch_execz .LBB8_928
; %bb.927:                              ;   in Loop: Header=BB8_865 Depth=1
	v_mov_b32_e32 v4, s26
	v_mov_b32_e32 v5, s27
	global_store_dwordx4 v[29:30], v[4:7], off offset:8
.LBB8_928:                              ;   in Loop: Header=BB8_865 Depth=1
	s_or_b64 exec, exec, vcc
	s_lshl_b64 s[26:27], s[28:29], 12
	v_mov_b32_e32 v4, s27
	v_add_co_u32_e32 v26, vcc, s26, v26
	v_addc_co_u32_e32 v34, vcc, v27, v4, vcc
	v_cmp_gt_u64_e64 vcc, s[20:21], 56
	v_or_b32_e32 v5, v2, v33
	s_lshl_b32 s15, s22, 2
	v_cndmask_b32_e32 v2, v5, v2, vcc
	s_add_i32 s15, s15, 28
	v_or_b32_e32 v4, 0, v3
	s_and_b32 s15, s15, 0x1e0
	v_and_b32_e32 v2, 0xffffff1f, v2
	v_cndmask_b32_e32 v9, v4, v3, vcc
	v_or_b32_e32 v8, s15, v2
	v_readfirstlane_b32 s26, v26
	v_readfirstlane_b32 s27, v34
	s_nop 4
	global_store_dwordx4 v31, v[8:11], s[26:27]
	global_store_dwordx4 v31, v[12:15], s[26:27] offset:16
	global_store_dwordx4 v31, v[16:19], s[26:27] offset:32
	;; [unrolled: 1-line block ×3, first 2 shown]
	s_and_saveexec_b64 s[26:27], s[4:5]
	s_cbranch_execz .LBB8_936
; %bb.929:                              ;   in Loop: Header=BB8_865 Depth=1
	global_load_dwordx2 v[12:13], v28, s[6:7] offset:32 glc
	global_load_dwordx2 v[2:3], v28, s[6:7] offset:40
	v_mov_b32_e32 v10, s24
	v_mov_b32_e32 v11, s25
	s_waitcnt vmcnt(0)
	v_readfirstlane_b32 s28, v2
	v_readfirstlane_b32 s29, v3
	s_and_b64 s[28:29], s[28:29], s[24:25]
	s_mul_i32 s15, s29, 24
	s_mul_hi_u32 s29, s28, 24
	s_mul_i32 s28, s28, 24
	s_add_i32 s15, s29, s15
	v_mov_b32_e32 v2, s15
	v_add_co_u32_e32 v8, vcc, s28, v24
	v_addc_co_u32_e32 v9, vcc, v25, v2, vcc
	global_store_dwordx2 v[8:9], v[12:13], off
	s_waitcnt vmcnt(0)
	global_atomic_cmpswap_x2 v[4:5], v28, v[10:13], s[6:7] offset:32 glc
	s_waitcnt vmcnt(0)
	v_cmp_ne_u64_e32 vcc, v[4:5], v[12:13]
	s_and_saveexec_b64 s[28:29], vcc
	s_cbranch_execz .LBB8_932
; %bb.930:                              ;   in Loop: Header=BB8_865 Depth=1
	s_mov_b64 s[30:31], 0
.LBB8_931:                              ;   Parent Loop BB8_865 Depth=1
                                        ; =>  This Inner Loop Header: Depth=2
	s_sleep 1
	global_store_dwordx2 v[8:9], v[4:5], off
	v_mov_b32_e32 v2, s24
	v_mov_b32_e32 v3, s25
	s_waitcnt vmcnt(0)
	global_atomic_cmpswap_x2 v[2:3], v28, v[2:5], s[6:7] offset:32 glc
	s_waitcnt vmcnt(0)
	v_cmp_eq_u64_e32 vcc, v[2:3], v[4:5]
	v_mov_b32_e32 v5, v3
	s_or_b64 s[30:31], vcc, s[30:31]
	v_mov_b32_e32 v4, v2
	s_andn2_b64 exec, exec, s[30:31]
	s_cbranch_execnz .LBB8_931
.LBB8_932:                              ;   in Loop: Header=BB8_865 Depth=1
	s_or_b64 exec, exec, s[28:29]
	global_load_dwordx2 v[2:3], v28, s[6:7] offset:16
	s_mov_b64 s[30:31], exec
	v_mbcnt_lo_u32_b32 v4, s30, 0
	v_mbcnt_hi_u32_b32 v4, s31, v4
	v_cmp_eq_u32_e32 vcc, 0, v4
	s_and_saveexec_b64 s[28:29], vcc
	s_cbranch_execz .LBB8_934
; %bb.933:                              ;   in Loop: Header=BB8_865 Depth=1
	s_bcnt1_i32_b64 s15, s[30:31]
	v_mov_b32_e32 v27, s15
	s_waitcnt vmcnt(0)
	global_atomic_add_x2 v[2:3], v[27:28], off offset:8
.LBB8_934:                              ;   in Loop: Header=BB8_865 Depth=1
	s_or_b64 exec, exec, s[28:29]
	s_waitcnt vmcnt(0)
	global_load_dwordx2 v[4:5], v[2:3], off offset:16
	s_waitcnt vmcnt(0)
	v_cmp_eq_u64_e32 vcc, 0, v[4:5]
	s_cbranch_vccnz .LBB8_936
; %bb.935:                              ;   in Loop: Header=BB8_865 Depth=1
	global_load_dword v27, v[2:3], off offset:24
	s_waitcnt vmcnt(0)
	v_and_b32_e32 v2, 0xffffff, v27
	v_readfirstlane_b32 m0, v2
	global_store_dwordx2 v[4:5], v[27:28], off
	s_sendmsg sendmsg(MSG_INTERRUPT)
.LBB8_936:                              ;   in Loop: Header=BB8_865 Depth=1
	s_or_b64 exec, exec, s[26:27]
	v_add_co_u32_e32 v2, vcc, v26, v31
	v_addc_co_u32_e32 v3, vcc, 0, v34, vcc
	s_branch .LBB8_940
.LBB8_937:                              ;   in Loop: Header=BB8_940 Depth=2
	s_or_b64 exec, exec, s[26:27]
	v_readfirstlane_b32 s15, v4
	s_cmp_eq_u32 s15, 0
	s_cbranch_scc1 .LBB8_939
; %bb.938:                              ;   in Loop: Header=BB8_940 Depth=2
	s_sleep 1
	s_cbranch_execnz .LBB8_940
	s_branch .LBB8_942
.LBB8_939:                              ;   in Loop: Header=BB8_865 Depth=1
	s_branch .LBB8_942
.LBB8_940:                              ;   Parent Loop BB8_865 Depth=1
                                        ; =>  This Inner Loop Header: Depth=2
	v_mov_b32_e32 v4, 1
	s_and_saveexec_b64 s[26:27], s[4:5]
	s_cbranch_execz .LBB8_937
; %bb.941:                              ;   in Loop: Header=BB8_940 Depth=2
	global_load_dword v4, v[29:30], off offset:20 glc
	s_waitcnt vmcnt(0)
	buffer_wbinvl1_vol
	v_and_b32_e32 v4, 1, v4
	s_branch .LBB8_937
.LBB8_942:                              ;   in Loop: Header=BB8_865 Depth=1
	global_load_dwordx4 v[2:5], v[2:3], off
	s_and_saveexec_b64 s[26:27], s[4:5]
	s_cbranch_execz .LBB8_864
; %bb.943:                              ;   in Loop: Header=BB8_865 Depth=1
	global_load_dwordx2 v[4:5], v28, s[6:7] offset:40
	global_load_dwordx2 v[12:13], v28, s[6:7] offset:24 glc
	global_load_dwordx2 v[14:15], v28, s[6:7]
	v_mov_b32_e32 v9, s25
	s_waitcnt vmcnt(2)
	v_add_co_u32_e32 v10, vcc, 1, v4
	v_addc_co_u32_e32 v11, vcc, 0, v5, vcc
	v_add_co_u32_e32 v8, vcc, s24, v10
	v_addc_co_u32_e32 v9, vcc, v11, v9, vcc
	v_cmp_eq_u64_e32 vcc, 0, v[8:9]
	v_cndmask_b32_e32 v9, v9, v11, vcc
	v_cndmask_b32_e32 v8, v8, v10, vcc
	v_and_b32_e32 v5, v9, v5
	v_and_b32_e32 v4, v8, v4
	v_mul_lo_u32 v5, v5, 24
	v_mul_hi_u32 v11, v4, 24
	v_mul_lo_u32 v4, v4, 24
	s_waitcnt vmcnt(1)
	v_mov_b32_e32 v10, v12
	v_add_u32_e32 v5, v11, v5
	s_waitcnt vmcnt(0)
	v_add_co_u32_e32 v4, vcc, v14, v4
	v_addc_co_u32_e32 v5, vcc, v15, v5, vcc
	global_store_dwordx2 v[4:5], v[12:13], off
	v_mov_b32_e32 v11, v13
	s_waitcnt vmcnt(0)
	global_atomic_cmpswap_x2 v[10:11], v28, v[8:11], s[6:7] offset:24 glc
	s_waitcnt vmcnt(0)
	v_cmp_ne_u64_e32 vcc, v[10:11], v[12:13]
	s_and_b64 exec, exec, vcc
	s_cbranch_execz .LBB8_864
; %bb.944:                              ;   in Loop: Header=BB8_865 Depth=1
	s_mov_b64 s[4:5], 0
.LBB8_945:                              ;   Parent Loop BB8_865 Depth=1
                                        ; =>  This Inner Loop Header: Depth=2
	s_sleep 1
	global_store_dwordx2 v[4:5], v[10:11], off
	s_waitcnt vmcnt(0)
	global_atomic_cmpswap_x2 v[12:13], v28, v[8:11], s[6:7] offset:24 glc
	s_waitcnt vmcnt(0)
	v_cmp_eq_u64_e32 vcc, v[12:13], v[10:11]
	v_mov_b32_e32 v10, v12
	s_or_b64 s[4:5], vcc, s[4:5]
	v_mov_b32_e32 v11, v13
	s_andn2_b64 exec, exec, s[4:5]
	s_cbranch_execnz .LBB8_945
	s_branch .LBB8_864
.LBB8_946:
	s_branch .LBB8_974
.LBB8_947:
                                        ; implicit-def: $vgpr2_vgpr3
	s_cbranch_execz .LBB8_974
; %bb.948:
	v_readfirstlane_b32 s4, v32
	v_mov_b32_e32 v8, 0
	v_mov_b32_e32 v9, 0
	v_cmp_eq_u32_e64 s[4:5], s4, v32
	s_and_saveexec_b64 s[18:19], s[4:5]
	s_cbranch_execz .LBB8_954
; %bb.949:
	s_waitcnt vmcnt(0)
	v_mov_b32_e32 v2, 0
	global_load_dwordx2 v[5:6], v2, s[6:7] offset:24 glc
	s_waitcnt vmcnt(0)
	buffer_wbinvl1_vol
	global_load_dwordx2 v[3:4], v2, s[6:7] offset:40
	global_load_dwordx2 v[7:8], v2, s[6:7]
	s_waitcnt vmcnt(1)
	v_and_b32_e32 v3, v3, v5
	v_and_b32_e32 v4, v4, v6
	v_mul_lo_u32 v4, v4, 24
	v_mul_hi_u32 v9, v3, 24
	v_mul_lo_u32 v3, v3, 24
	v_add_u32_e32 v4, v9, v4
	s_waitcnt vmcnt(0)
	v_add_co_u32_e32 v3, vcc, v7, v3
	v_addc_co_u32_e32 v4, vcc, v8, v4, vcc
	global_load_dwordx2 v[3:4], v[3:4], off glc
	s_waitcnt vmcnt(0)
	global_atomic_cmpswap_x2 v[8:9], v2, v[3:6], s[6:7] offset:24 glc
	s_waitcnt vmcnt(0)
	buffer_wbinvl1_vol
	v_cmp_ne_u64_e32 vcc, v[8:9], v[5:6]
	s_and_saveexec_b64 s[20:21], vcc
	s_cbranch_execz .LBB8_953
; %bb.950:
	s_mov_b64 s[22:23], 0
.LBB8_951:                              ; =>This Inner Loop Header: Depth=1
	s_sleep 1
	global_load_dwordx2 v[3:4], v2, s[6:7] offset:40
	global_load_dwordx2 v[10:11], v2, s[6:7]
	v_mov_b32_e32 v5, v8
	v_mov_b32_e32 v6, v9
	s_waitcnt vmcnt(1)
	v_and_b32_e32 v3, v3, v5
	s_waitcnt vmcnt(0)
	v_mad_u64_u32 v[7:8], s[24:25], v3, 24, v[10:11]
	v_and_b32_e32 v4, v4, v6
	v_mov_b32_e32 v3, v8
	v_mad_u64_u32 v[3:4], s[24:25], v4, 24, v[3:4]
	v_mov_b32_e32 v8, v3
	global_load_dwordx2 v[3:4], v[7:8], off glc
	s_waitcnt vmcnt(0)
	global_atomic_cmpswap_x2 v[8:9], v2, v[3:6], s[6:7] offset:24 glc
	s_waitcnt vmcnt(0)
	buffer_wbinvl1_vol
	v_cmp_eq_u64_e32 vcc, v[8:9], v[5:6]
	s_or_b64 s[22:23], vcc, s[22:23]
	s_andn2_b64 exec, exec, s[22:23]
	s_cbranch_execnz .LBB8_951
; %bb.952:
	s_or_b64 exec, exec, s[22:23]
.LBB8_953:
	s_or_b64 exec, exec, s[20:21]
.LBB8_954:
	s_or_b64 exec, exec, s[18:19]
	s_waitcnt vmcnt(0)
	v_mov_b32_e32 v2, 0
	global_load_dwordx2 v[10:11], v2, s[6:7] offset:40
	global_load_dwordx4 v[4:7], v2, s[6:7]
	v_readfirstlane_b32 s18, v8
	v_readfirstlane_b32 s19, v9
	s_mov_b64 s[20:21], exec
	s_waitcnt vmcnt(1)
	v_readfirstlane_b32 s22, v10
	v_readfirstlane_b32 s23, v11
	s_and_b64 s[22:23], s[18:19], s[22:23]
	s_mul_i32 s15, s23, 24
	s_mul_hi_u32 s24, s22, 24
	s_mul_i32 s25, s22, 24
	s_add_i32 s15, s24, s15
	v_mov_b32_e32 v3, s15
	s_waitcnt vmcnt(0)
	v_add_co_u32_e32 v8, vcc, s25, v4
	v_addc_co_u32_e32 v9, vcc, v5, v3, vcc
	s_and_saveexec_b64 s[24:25], s[4:5]
	s_cbranch_execz .LBB8_956
; %bb.955:
	v_mov_b32_e32 v10, s20
	v_mov_b32_e32 v11, s21
	;; [unrolled: 1-line block ×4, first 2 shown]
	global_store_dwordx4 v[8:9], v[10:13], off offset:8
.LBB8_956:
	s_or_b64 exec, exec, s[24:25]
	s_lshl_b64 s[20:21], s[22:23], 12
	v_mov_b32_e32 v3, s21
	v_add_co_u32_e32 v10, vcc, s20, v6
	v_addc_co_u32_e32 v11, vcc, v7, v3, vcc
	s_movk_i32 s15, 0xff1f
	v_and_or_b32 v0, v0, s15, 32
	s_mov_b32 s20, 0
	v_mov_b32_e32 v3, v2
	v_readfirstlane_b32 s24, v10
	v_readfirstlane_b32 s25, v11
	v_add_co_u32_e32 v6, vcc, v10, v31
	s_mov_b32 s21, s20
	s_mov_b32 s22, s20
	;; [unrolled: 1-line block ×3, first 2 shown]
	s_nop 0
	global_store_dwordx4 v31, v[0:3], s[24:25]
	v_addc_co_u32_e32 v7, vcc, 0, v11, vcc
	v_mov_b32_e32 v0, s20
	v_mov_b32_e32 v1, s21
	;; [unrolled: 1-line block ×4, first 2 shown]
	global_store_dwordx4 v31, v[0:3], s[24:25] offset:16
	global_store_dwordx4 v31, v[0:3], s[24:25] offset:32
	;; [unrolled: 1-line block ×3, first 2 shown]
	s_and_saveexec_b64 s[20:21], s[4:5]
	s_cbranch_execz .LBB8_964
; %bb.957:
	v_mov_b32_e32 v10, 0
	global_load_dwordx2 v[13:14], v10, s[6:7] offset:32 glc
	global_load_dwordx2 v[0:1], v10, s[6:7] offset:40
	v_mov_b32_e32 v11, s18
	v_mov_b32_e32 v12, s19
	s_waitcnt vmcnt(0)
	v_readfirstlane_b32 s22, v0
	v_readfirstlane_b32 s23, v1
	s_and_b64 s[22:23], s[22:23], s[18:19]
	s_mul_i32 s15, s23, 24
	s_mul_hi_u32 s23, s22, 24
	s_mul_i32 s22, s22, 24
	s_add_i32 s15, s23, s15
	v_mov_b32_e32 v0, s15
	v_add_co_u32_e32 v4, vcc, s22, v4
	v_addc_co_u32_e32 v5, vcc, v5, v0, vcc
	global_store_dwordx2 v[4:5], v[13:14], off
	s_waitcnt vmcnt(0)
	global_atomic_cmpswap_x2 v[2:3], v10, v[11:14], s[6:7] offset:32 glc
	s_waitcnt vmcnt(0)
	v_cmp_ne_u64_e32 vcc, v[2:3], v[13:14]
	s_and_saveexec_b64 s[22:23], vcc
	s_cbranch_execz .LBB8_960
; %bb.958:
	s_mov_b64 s[24:25], 0
.LBB8_959:                              ; =>This Inner Loop Header: Depth=1
	s_sleep 1
	global_store_dwordx2 v[4:5], v[2:3], off
	v_mov_b32_e32 v0, s18
	v_mov_b32_e32 v1, s19
	s_waitcnt vmcnt(0)
	global_atomic_cmpswap_x2 v[0:1], v10, v[0:3], s[6:7] offset:32 glc
	s_waitcnt vmcnt(0)
	v_cmp_eq_u64_e32 vcc, v[0:1], v[2:3]
	v_mov_b32_e32 v3, v1
	s_or_b64 s[24:25], vcc, s[24:25]
	v_mov_b32_e32 v2, v0
	s_andn2_b64 exec, exec, s[24:25]
	s_cbranch_execnz .LBB8_959
.LBB8_960:
	s_or_b64 exec, exec, s[22:23]
	v_mov_b32_e32 v3, 0
	global_load_dwordx2 v[0:1], v3, s[6:7] offset:16
	s_mov_b64 s[22:23], exec
	v_mbcnt_lo_u32_b32 v2, s22, 0
	v_mbcnt_hi_u32_b32 v2, s23, v2
	v_cmp_eq_u32_e32 vcc, 0, v2
	s_and_saveexec_b64 s[24:25], vcc
	s_cbranch_execz .LBB8_962
; %bb.961:
	s_bcnt1_i32_b64 s15, s[22:23]
	v_mov_b32_e32 v2, s15
	s_waitcnt vmcnt(0)
	global_atomic_add_x2 v[0:1], v[2:3], off offset:8
.LBB8_962:
	s_or_b64 exec, exec, s[24:25]
	s_waitcnt vmcnt(0)
	global_load_dwordx2 v[2:3], v[0:1], off offset:16
	s_waitcnt vmcnt(0)
	v_cmp_eq_u64_e32 vcc, 0, v[2:3]
	s_cbranch_vccnz .LBB8_964
; %bb.963:
	global_load_dword v0, v[0:1], off offset:24
	v_mov_b32_e32 v1, 0
	s_waitcnt vmcnt(0)
	global_store_dwordx2 v[2:3], v[0:1], off
	v_and_b32_e32 v0, 0xffffff, v0
	v_readfirstlane_b32 m0, v0
	s_sendmsg sendmsg(MSG_INTERRUPT)
.LBB8_964:
	s_or_b64 exec, exec, s[20:21]
	s_branch .LBB8_968
.LBB8_965:                              ;   in Loop: Header=BB8_968 Depth=1
	s_or_b64 exec, exec, s[20:21]
	v_readfirstlane_b32 s15, v0
	s_cmp_eq_u32 s15, 0
	s_cbranch_scc1 .LBB8_967
; %bb.966:                              ;   in Loop: Header=BB8_968 Depth=1
	s_sleep 1
	s_cbranch_execnz .LBB8_968
	s_branch .LBB8_970
.LBB8_967:
	s_branch .LBB8_970
.LBB8_968:                              ; =>This Inner Loop Header: Depth=1
	v_mov_b32_e32 v0, 1
	s_and_saveexec_b64 s[20:21], s[4:5]
	s_cbranch_execz .LBB8_965
; %bb.969:                              ;   in Loop: Header=BB8_968 Depth=1
	global_load_dword v0, v[8:9], off offset:20 glc
	s_waitcnt vmcnt(0)
	buffer_wbinvl1_vol
	v_and_b32_e32 v0, 1, v0
	s_branch .LBB8_965
.LBB8_970:
	global_load_dwordx2 v[2:3], v[6:7], off
	s_and_saveexec_b64 s[20:21], s[4:5]
	s_cbranch_execz .LBB8_973
; %bb.971:
	v_mov_b32_e32 v8, 0
	global_load_dwordx2 v[0:1], v8, s[6:7] offset:40
	global_load_dwordx2 v[9:10], v8, s[6:7] offset:24 glc
	global_load_dwordx2 v[11:12], v8, s[6:7]
	v_mov_b32_e32 v5, s19
	s_mov_b64 s[4:5], 0
	s_waitcnt vmcnt(2)
	v_add_co_u32_e32 v6, vcc, 1, v0
	v_addc_co_u32_e32 v7, vcc, 0, v1, vcc
	v_add_co_u32_e32 v4, vcc, s18, v6
	v_addc_co_u32_e32 v5, vcc, v7, v5, vcc
	v_cmp_eq_u64_e32 vcc, 0, v[4:5]
	v_cndmask_b32_e32 v5, v5, v7, vcc
	v_cndmask_b32_e32 v4, v4, v6, vcc
	v_and_b32_e32 v1, v5, v1
	v_and_b32_e32 v0, v4, v0
	v_mul_lo_u32 v1, v1, 24
	v_mul_hi_u32 v7, v0, 24
	v_mul_lo_u32 v0, v0, 24
	s_waitcnt vmcnt(1)
	v_mov_b32_e32 v6, v9
	v_add_u32_e32 v1, v7, v1
	s_waitcnt vmcnt(0)
	v_add_co_u32_e32 v0, vcc, v11, v0
	v_addc_co_u32_e32 v1, vcc, v12, v1, vcc
	global_store_dwordx2 v[0:1], v[9:10], off
	v_mov_b32_e32 v7, v10
	s_waitcnt vmcnt(0)
	global_atomic_cmpswap_x2 v[6:7], v8, v[4:7], s[6:7] offset:24 glc
	s_waitcnt vmcnt(0)
	v_cmp_ne_u64_e32 vcc, v[6:7], v[9:10]
	s_and_b64 exec, exec, vcc
	s_cbranch_execz .LBB8_973
.LBB8_972:                              ; =>This Inner Loop Header: Depth=1
	s_sleep 1
	global_store_dwordx2 v[0:1], v[6:7], off
	s_waitcnt vmcnt(0)
	global_atomic_cmpswap_x2 v[9:10], v8, v[4:7], s[6:7] offset:24 glc
	s_waitcnt vmcnt(0)
	v_cmp_eq_u64_e32 vcc, v[9:10], v[6:7]
	v_mov_b32_e32 v6, v9
	s_or_b64 s[4:5], vcc, s[4:5]
	v_mov_b32_e32 v7, v10
	s_andn2_b64 exec, exec, s[4:5]
	s_cbranch_execnz .LBB8_972
.LBB8_973:
	s_or_b64 exec, exec, s[20:21]
.LBB8_974:
	v_readfirstlane_b32 s4, v32
	s_waitcnt vmcnt(0)
	v_mov_b32_e32 v0, 0
	v_mov_b32_e32 v1, 0
	v_cmp_eq_u32_e64 s[4:5], s4, v32
	s_and_saveexec_b64 s[18:19], s[4:5]
	s_cbranch_execz .LBB8_980
; %bb.975:
	v_mov_b32_e32 v4, 0
	global_load_dwordx2 v[7:8], v4, s[6:7] offset:24 glc
	s_waitcnt vmcnt(0)
	buffer_wbinvl1_vol
	global_load_dwordx2 v[0:1], v4, s[6:7] offset:40
	global_load_dwordx2 v[5:6], v4, s[6:7]
	s_waitcnt vmcnt(1)
	v_and_b32_e32 v0, v0, v7
	v_and_b32_e32 v1, v1, v8
	v_mul_lo_u32 v1, v1, 24
	v_mul_hi_u32 v9, v0, 24
	v_mul_lo_u32 v0, v0, 24
	v_add_u32_e32 v1, v9, v1
	s_waitcnt vmcnt(0)
	v_add_co_u32_e32 v0, vcc, v5, v0
	v_addc_co_u32_e32 v1, vcc, v6, v1, vcc
	global_load_dwordx2 v[5:6], v[0:1], off glc
	s_waitcnt vmcnt(0)
	global_atomic_cmpswap_x2 v[0:1], v4, v[5:8], s[6:7] offset:24 glc
	s_waitcnt vmcnt(0)
	buffer_wbinvl1_vol
	v_cmp_ne_u64_e32 vcc, v[0:1], v[7:8]
	s_and_saveexec_b64 s[20:21], vcc
	s_cbranch_execz .LBB8_979
; %bb.976:
	s_mov_b64 s[22:23], 0
.LBB8_977:                              ; =>This Inner Loop Header: Depth=1
	s_sleep 1
	global_load_dwordx2 v[5:6], v4, s[6:7] offset:40
	global_load_dwordx2 v[9:10], v4, s[6:7]
	v_mov_b32_e32 v8, v1
	v_mov_b32_e32 v7, v0
	s_waitcnt vmcnt(1)
	v_and_b32_e32 v0, v5, v7
	s_waitcnt vmcnt(0)
	v_mad_u64_u32 v[0:1], s[24:25], v0, 24, v[9:10]
	v_and_b32_e32 v5, v6, v8
	v_mad_u64_u32 v[5:6], s[24:25], v5, 24, v[1:2]
	v_mov_b32_e32 v1, v5
	global_load_dwordx2 v[5:6], v[0:1], off glc
	s_waitcnt vmcnt(0)
	global_atomic_cmpswap_x2 v[0:1], v4, v[5:8], s[6:7] offset:24 glc
	s_waitcnt vmcnt(0)
	buffer_wbinvl1_vol
	v_cmp_eq_u64_e32 vcc, v[0:1], v[7:8]
	s_or_b64 s[22:23], vcc, s[22:23]
	s_andn2_b64 exec, exec, s[22:23]
	s_cbranch_execnz .LBB8_977
; %bb.978:
	s_or_b64 exec, exec, s[22:23]
.LBB8_979:
	s_or_b64 exec, exec, s[20:21]
.LBB8_980:
	s_or_b64 exec, exec, s[18:19]
	v_mov_b32_e32 v5, 0
	global_load_dwordx2 v[10:11], v5, s[6:7] offset:40
	global_load_dwordx4 v[6:9], v5, s[6:7]
	v_readfirstlane_b32 s18, v0
	v_readfirstlane_b32 s19, v1
	s_mov_b64 s[20:21], exec
	s_waitcnt vmcnt(1)
	v_readfirstlane_b32 s22, v10
	v_readfirstlane_b32 s23, v11
	s_and_b64 s[22:23], s[18:19], s[22:23]
	s_mul_i32 s15, s23, 24
	s_mul_hi_u32 s24, s22, 24
	s_mul_i32 s25, s22, 24
	s_add_i32 s15, s24, s15
	v_mov_b32_e32 v0, s15
	s_waitcnt vmcnt(0)
	v_add_co_u32_e32 v10, vcc, s25, v6
	v_addc_co_u32_e32 v11, vcc, v7, v0, vcc
	s_and_saveexec_b64 s[24:25], s[4:5]
	s_cbranch_execz .LBB8_982
; %bb.981:
	v_mov_b32_e32 v12, s20
	v_mov_b32_e32 v13, s21
	;; [unrolled: 1-line block ×4, first 2 shown]
	global_store_dwordx4 v[10:11], v[12:15], off offset:8
.LBB8_982:
	s_or_b64 exec, exec, s[24:25]
	s_lshl_b64 s[20:21], s[22:23], 12
	v_mov_b32_e32 v0, s21
	v_add_co_u32_e32 v1, vcc, s20, v8
	v_addc_co_u32_e32 v0, vcc, v9, v0, vcc
	s_movk_i32 s15, 0xff1d
	v_and_or_b32 v2, v2, s15, 34
	s_mov_b32 s20, 0
	v_mov_b32_e32 v4, 0x472
	v_readfirstlane_b32 s24, v1
	v_readfirstlane_b32 s25, v0
	s_mov_b32 s21, s20
	s_mov_b32 s22, s20
	;; [unrolled: 1-line block ×3, first 2 shown]
	s_nop 1
	global_store_dwordx4 v31, v[2:5], s[24:25]
	v_mov_b32_e32 v0, s20
	v_mov_b32_e32 v1, s21
	;; [unrolled: 1-line block ×4, first 2 shown]
	global_store_dwordx4 v31, v[0:3], s[24:25] offset:16
	global_store_dwordx4 v31, v[0:3], s[24:25] offset:32
	;; [unrolled: 1-line block ×3, first 2 shown]
	s_and_saveexec_b64 s[20:21], s[4:5]
	s_cbranch_execz .LBB8_990
; %bb.983:
	v_mov_b32_e32 v8, 0
	global_load_dwordx2 v[14:15], v8, s[6:7] offset:32 glc
	global_load_dwordx2 v[0:1], v8, s[6:7] offset:40
	v_mov_b32_e32 v12, s18
	v_mov_b32_e32 v13, s19
	s_waitcnt vmcnt(0)
	v_readfirstlane_b32 s22, v0
	v_readfirstlane_b32 s23, v1
	s_and_b64 s[22:23], s[22:23], s[18:19]
	s_mul_i32 s15, s23, 24
	s_mul_hi_u32 s23, s22, 24
	s_mul_i32 s22, s22, 24
	s_add_i32 s15, s23, s15
	v_mov_b32_e32 v0, s15
	v_add_co_u32_e32 v4, vcc, s22, v6
	v_addc_co_u32_e32 v5, vcc, v7, v0, vcc
	global_store_dwordx2 v[4:5], v[14:15], off
	s_waitcnt vmcnt(0)
	global_atomic_cmpswap_x2 v[2:3], v8, v[12:15], s[6:7] offset:32 glc
	s_waitcnt vmcnt(0)
	v_cmp_ne_u64_e32 vcc, v[2:3], v[14:15]
	s_and_saveexec_b64 s[22:23], vcc
	s_cbranch_execz .LBB8_986
; %bb.984:
	s_mov_b64 s[24:25], 0
.LBB8_985:                              ; =>This Inner Loop Header: Depth=1
	s_sleep 1
	global_store_dwordx2 v[4:5], v[2:3], off
	v_mov_b32_e32 v0, s18
	v_mov_b32_e32 v1, s19
	s_waitcnt vmcnt(0)
	global_atomic_cmpswap_x2 v[0:1], v8, v[0:3], s[6:7] offset:32 glc
	s_waitcnt vmcnt(0)
	v_cmp_eq_u64_e32 vcc, v[0:1], v[2:3]
	v_mov_b32_e32 v3, v1
	s_or_b64 s[24:25], vcc, s[24:25]
	v_mov_b32_e32 v2, v0
	s_andn2_b64 exec, exec, s[24:25]
	s_cbranch_execnz .LBB8_985
.LBB8_986:
	s_or_b64 exec, exec, s[22:23]
	v_mov_b32_e32 v3, 0
	global_load_dwordx2 v[0:1], v3, s[6:7] offset:16
	s_mov_b64 s[22:23], exec
	v_mbcnt_lo_u32_b32 v2, s22, 0
	v_mbcnt_hi_u32_b32 v2, s23, v2
	v_cmp_eq_u32_e32 vcc, 0, v2
	s_and_saveexec_b64 s[24:25], vcc
	s_cbranch_execz .LBB8_988
; %bb.987:
	s_bcnt1_i32_b64 s15, s[22:23]
	v_mov_b32_e32 v2, s15
	s_waitcnt vmcnt(0)
	global_atomic_add_x2 v[0:1], v[2:3], off offset:8
.LBB8_988:
	s_or_b64 exec, exec, s[24:25]
	s_waitcnt vmcnt(0)
	global_load_dwordx2 v[2:3], v[0:1], off offset:16
	s_waitcnt vmcnt(0)
	v_cmp_eq_u64_e32 vcc, 0, v[2:3]
	s_cbranch_vccnz .LBB8_990
; %bb.989:
	global_load_dword v0, v[0:1], off offset:24
	v_mov_b32_e32 v1, 0
	s_waitcnt vmcnt(0)
	global_store_dwordx2 v[2:3], v[0:1], off
	v_and_b32_e32 v0, 0xffffff, v0
	v_readfirstlane_b32 m0, v0
	s_sendmsg sendmsg(MSG_INTERRUPT)
.LBB8_990:
	s_or_b64 exec, exec, s[20:21]
	s_branch .LBB8_994
.LBB8_991:                              ;   in Loop: Header=BB8_994 Depth=1
	s_or_b64 exec, exec, s[20:21]
	v_readfirstlane_b32 s15, v0
	s_cmp_eq_u32 s15, 0
	s_cbranch_scc1 .LBB8_993
; %bb.992:                              ;   in Loop: Header=BB8_994 Depth=1
	s_sleep 1
	s_cbranch_execnz .LBB8_994
	s_branch .LBB8_996
.LBB8_993:
	s_branch .LBB8_996
.LBB8_994:                              ; =>This Inner Loop Header: Depth=1
	v_mov_b32_e32 v0, 1
	s_and_saveexec_b64 s[20:21], s[4:5]
	s_cbranch_execz .LBB8_991
; %bb.995:                              ;   in Loop: Header=BB8_994 Depth=1
	global_load_dword v0, v[10:11], off offset:20 glc
	s_waitcnt vmcnt(0)
	buffer_wbinvl1_vol
	v_and_b32_e32 v0, 1, v0
	s_branch .LBB8_991
.LBB8_996:
	s_and_saveexec_b64 s[20:21], s[4:5]
	s_cbranch_execz .LBB8_999
; %bb.997:
	v_mov_b32_e32 v6, 0
	global_load_dwordx2 v[2:3], v6, s[6:7] offset:40
	global_load_dwordx2 v[7:8], v6, s[6:7] offset:24 glc
	global_load_dwordx2 v[4:5], v6, s[6:7]
	v_mov_b32_e32 v1, s19
	s_mov_b64 s[4:5], 0
	s_waitcnt vmcnt(2)
	v_add_co_u32_e32 v9, vcc, 1, v2
	v_addc_co_u32_e32 v10, vcc, 0, v3, vcc
	v_add_co_u32_e32 v0, vcc, s18, v9
	v_addc_co_u32_e32 v1, vcc, v10, v1, vcc
	v_cmp_eq_u64_e32 vcc, 0, v[0:1]
	v_cndmask_b32_e32 v1, v1, v10, vcc
	v_cndmask_b32_e32 v0, v0, v9, vcc
	v_and_b32_e32 v3, v1, v3
	v_and_b32_e32 v2, v0, v2
	v_mul_lo_u32 v3, v3, 24
	v_mul_hi_u32 v9, v2, 24
	v_mul_lo_u32 v10, v2, 24
	s_waitcnt vmcnt(1)
	v_mov_b32_e32 v2, v7
	v_add_u32_e32 v3, v9, v3
	s_waitcnt vmcnt(0)
	v_add_co_u32_e32 v4, vcc, v4, v10
	v_addc_co_u32_e32 v5, vcc, v5, v3, vcc
	global_store_dwordx2 v[4:5], v[7:8], off
	v_mov_b32_e32 v3, v8
	s_waitcnt vmcnt(0)
	global_atomic_cmpswap_x2 v[2:3], v6, v[0:3], s[6:7] offset:24 glc
	s_waitcnt vmcnt(0)
	v_cmp_ne_u64_e32 vcc, v[2:3], v[7:8]
	s_and_b64 exec, exec, vcc
	s_cbranch_execz .LBB8_999
.LBB8_998:                              ; =>This Inner Loop Header: Depth=1
	s_sleep 1
	global_store_dwordx2 v[4:5], v[2:3], off
	s_waitcnt vmcnt(0)
	global_atomic_cmpswap_x2 v[7:8], v6, v[0:3], s[6:7] offset:24 glc
	s_waitcnt vmcnt(0)
	v_cmp_eq_u64_e32 vcc, v[7:8], v[2:3]
	v_mov_b32_e32 v2, v7
	s_or_b64 s[4:5], vcc, s[4:5]
	v_mov_b32_e32 v3, v8
	s_andn2_b64 exec, exec, s[4:5]
	s_cbranch_execnz .LBB8_998
.LBB8_999:
	s_or_b64 exec, exec, s[20:21]
	v_readfirstlane_b32 s4, v32
	v_mov_b32_e32 v5, 0
	v_mov_b32_e32 v6, 0
	v_cmp_eq_u32_e64 s[4:5], s4, v32
	s_and_saveexec_b64 s[18:19], s[4:5]
	s_cbranch_execz .LBB8_1005
; %bb.1000:
	v_mov_b32_e32 v0, 0
	global_load_dwordx2 v[3:4], v0, s[6:7] offset:24 glc
	s_waitcnt vmcnt(0)
	buffer_wbinvl1_vol
	global_load_dwordx2 v[1:2], v0, s[6:7] offset:40
	global_load_dwordx2 v[5:6], v0, s[6:7]
	s_waitcnt vmcnt(1)
	v_and_b32_e32 v1, v1, v3
	v_and_b32_e32 v2, v2, v4
	v_mul_lo_u32 v2, v2, 24
	v_mul_hi_u32 v7, v1, 24
	v_mul_lo_u32 v1, v1, 24
	v_add_u32_e32 v2, v7, v2
	s_waitcnt vmcnt(0)
	v_add_co_u32_e32 v1, vcc, v5, v1
	v_addc_co_u32_e32 v2, vcc, v6, v2, vcc
	global_load_dwordx2 v[1:2], v[1:2], off glc
	s_waitcnt vmcnt(0)
	global_atomic_cmpswap_x2 v[5:6], v0, v[1:4], s[6:7] offset:24 glc
	s_waitcnt vmcnt(0)
	buffer_wbinvl1_vol
	v_cmp_ne_u64_e32 vcc, v[5:6], v[3:4]
	s_and_saveexec_b64 s[20:21], vcc
	s_cbranch_execz .LBB8_1004
; %bb.1001:
	s_mov_b64 s[22:23], 0
.LBB8_1002:                             ; =>This Inner Loop Header: Depth=1
	s_sleep 1
	global_load_dwordx2 v[1:2], v0, s[6:7] offset:40
	global_load_dwordx2 v[7:8], v0, s[6:7]
	v_mov_b32_e32 v3, v5
	v_mov_b32_e32 v4, v6
	s_waitcnt vmcnt(1)
	v_and_b32_e32 v1, v1, v3
	s_waitcnt vmcnt(0)
	v_mad_u64_u32 v[5:6], s[24:25], v1, 24, v[7:8]
	v_and_b32_e32 v2, v2, v4
	v_mov_b32_e32 v1, v6
	v_mad_u64_u32 v[1:2], s[24:25], v2, 24, v[1:2]
	v_mov_b32_e32 v6, v1
	global_load_dwordx2 v[1:2], v[5:6], off glc
	s_waitcnt vmcnt(0)
	global_atomic_cmpswap_x2 v[5:6], v0, v[1:4], s[6:7] offset:24 glc
	s_waitcnt vmcnt(0)
	buffer_wbinvl1_vol
	v_cmp_eq_u64_e32 vcc, v[5:6], v[3:4]
	s_or_b64 s[22:23], vcc, s[22:23]
	s_andn2_b64 exec, exec, s[22:23]
	s_cbranch_execnz .LBB8_1002
; %bb.1003:
	s_or_b64 exec, exec, s[22:23]
.LBB8_1004:
	s_or_b64 exec, exec, s[20:21]
.LBB8_1005:
	s_or_b64 exec, exec, s[18:19]
	v_mov_b32_e32 v4, 0
	global_load_dwordx2 v[7:8], v4, s[6:7] offset:40
	global_load_dwordx4 v[0:3], v4, s[6:7]
	v_readfirstlane_b32 s18, v5
	v_readfirstlane_b32 s19, v6
	s_mov_b64 s[20:21], exec
	s_waitcnt vmcnt(1)
	v_readfirstlane_b32 s22, v7
	v_readfirstlane_b32 s23, v8
	s_and_b64 s[22:23], s[18:19], s[22:23]
	s_mul_i32 s15, s23, 24
	s_mul_hi_u32 s24, s22, 24
	s_mul_i32 s25, s22, 24
	s_add_i32 s15, s24, s15
	v_mov_b32_e32 v5, s15
	s_waitcnt vmcnt(0)
	v_add_co_u32_e32 v7, vcc, s25, v0
	v_addc_co_u32_e32 v8, vcc, v1, v5, vcc
	s_and_saveexec_b64 s[24:25], s[4:5]
	s_cbranch_execz .LBB8_1007
; %bb.1006:
	v_mov_b32_e32 v9, s20
	v_mov_b32_e32 v10, s21
	;; [unrolled: 1-line block ×4, first 2 shown]
	global_store_dwordx4 v[7:8], v[9:12], off offset:8
.LBB8_1007:
	s_or_b64 exec, exec, s[24:25]
	s_lshl_b64 s[20:21], s[22:23], 12
	v_mov_b32_e32 v5, s21
	v_add_co_u32_e32 v2, vcc, s20, v2
	v_addc_co_u32_e32 v11, vcc, v3, v5, vcc
	s_mov_b32 s20, 0
	v_mov_b32_e32 v3, 33
	v_mov_b32_e32 v5, v4
	;; [unrolled: 1-line block ×3, first 2 shown]
	v_readfirstlane_b32 s24, v2
	v_readfirstlane_b32 s25, v11
	v_add_co_u32_e32 v9, vcc, v2, v31
	s_mov_b32 s21, s20
	s_mov_b32 s22, s20
	;; [unrolled: 1-line block ×3, first 2 shown]
	s_nop 0
	global_store_dwordx4 v31, v[3:6], s[24:25]
	v_mov_b32_e32 v2, s20
	v_addc_co_u32_e32 v10, vcc, 0, v11, vcc
	v_mov_b32_e32 v3, s21
	v_mov_b32_e32 v4, s22
	;; [unrolled: 1-line block ×3, first 2 shown]
	global_store_dwordx4 v31, v[2:5], s[24:25] offset:16
	global_store_dwordx4 v31, v[2:5], s[24:25] offset:32
	;; [unrolled: 1-line block ×3, first 2 shown]
	s_and_saveexec_b64 s[20:21], s[4:5]
	s_cbranch_execz .LBB8_1015
; %bb.1008:
	v_mov_b32_e32 v6, 0
	global_load_dwordx2 v[13:14], v6, s[6:7] offset:32 glc
	global_load_dwordx2 v[2:3], v6, s[6:7] offset:40
	v_mov_b32_e32 v11, s18
	v_mov_b32_e32 v12, s19
	s_waitcnt vmcnt(0)
	v_readfirstlane_b32 s22, v2
	v_readfirstlane_b32 s23, v3
	s_and_b64 s[22:23], s[22:23], s[18:19]
	s_mul_i32 s15, s23, 24
	s_mul_hi_u32 s23, s22, 24
	s_mul_i32 s22, s22, 24
	s_add_i32 s15, s23, s15
	v_mov_b32_e32 v2, s15
	v_add_co_u32_e32 v4, vcc, s22, v0
	v_addc_co_u32_e32 v5, vcc, v1, v2, vcc
	global_store_dwordx2 v[4:5], v[13:14], off
	s_waitcnt vmcnt(0)
	global_atomic_cmpswap_x2 v[2:3], v6, v[11:14], s[6:7] offset:32 glc
	s_waitcnt vmcnt(0)
	v_cmp_ne_u64_e32 vcc, v[2:3], v[13:14]
	s_and_saveexec_b64 s[22:23], vcc
	s_cbranch_execz .LBB8_1011
; %bb.1009:
	s_mov_b64 s[24:25], 0
.LBB8_1010:                             ; =>This Inner Loop Header: Depth=1
	s_sleep 1
	global_store_dwordx2 v[4:5], v[2:3], off
	v_mov_b32_e32 v0, s18
	v_mov_b32_e32 v1, s19
	s_waitcnt vmcnt(0)
	global_atomic_cmpswap_x2 v[0:1], v6, v[0:3], s[6:7] offset:32 glc
	s_waitcnt vmcnt(0)
	v_cmp_eq_u64_e32 vcc, v[0:1], v[2:3]
	v_mov_b32_e32 v3, v1
	s_or_b64 s[24:25], vcc, s[24:25]
	v_mov_b32_e32 v2, v0
	s_andn2_b64 exec, exec, s[24:25]
	s_cbranch_execnz .LBB8_1010
.LBB8_1011:
	s_or_b64 exec, exec, s[22:23]
	v_mov_b32_e32 v3, 0
	global_load_dwordx2 v[0:1], v3, s[6:7] offset:16
	s_mov_b64 s[22:23], exec
	v_mbcnt_lo_u32_b32 v2, s22, 0
	v_mbcnt_hi_u32_b32 v2, s23, v2
	v_cmp_eq_u32_e32 vcc, 0, v2
	s_and_saveexec_b64 s[24:25], vcc
	s_cbranch_execz .LBB8_1013
; %bb.1012:
	s_bcnt1_i32_b64 s15, s[22:23]
	v_mov_b32_e32 v2, s15
	s_waitcnt vmcnt(0)
	global_atomic_add_x2 v[0:1], v[2:3], off offset:8
.LBB8_1013:
	s_or_b64 exec, exec, s[24:25]
	s_waitcnt vmcnt(0)
	global_load_dwordx2 v[2:3], v[0:1], off offset:16
	s_waitcnt vmcnt(0)
	v_cmp_eq_u64_e32 vcc, 0, v[2:3]
	s_cbranch_vccnz .LBB8_1015
; %bb.1014:
	global_load_dword v0, v[0:1], off offset:24
	v_mov_b32_e32 v1, 0
	s_waitcnt vmcnt(0)
	global_store_dwordx2 v[2:3], v[0:1], off
	v_and_b32_e32 v0, 0xffffff, v0
	v_readfirstlane_b32 m0, v0
	s_sendmsg sendmsg(MSG_INTERRUPT)
.LBB8_1015:
	s_or_b64 exec, exec, s[20:21]
	s_branch .LBB8_1019
.LBB8_1016:                             ;   in Loop: Header=BB8_1019 Depth=1
	s_or_b64 exec, exec, s[20:21]
	v_readfirstlane_b32 s15, v0
	s_cmp_eq_u32 s15, 0
	s_cbranch_scc1 .LBB8_1018
; %bb.1017:                             ;   in Loop: Header=BB8_1019 Depth=1
	s_sleep 1
	s_cbranch_execnz .LBB8_1019
	s_branch .LBB8_1021
.LBB8_1018:
	s_branch .LBB8_1021
.LBB8_1019:                             ; =>This Inner Loop Header: Depth=1
	v_mov_b32_e32 v0, 1
	s_and_saveexec_b64 s[20:21], s[4:5]
	s_cbranch_execz .LBB8_1016
; %bb.1020:                             ;   in Loop: Header=BB8_1019 Depth=1
	global_load_dword v0, v[7:8], off offset:20 glc
	s_waitcnt vmcnt(0)
	buffer_wbinvl1_vol
	v_and_b32_e32 v0, 1, v0
	s_branch .LBB8_1016
.LBB8_1021:
	global_load_dwordx2 v[0:1], v[9:10], off
	s_and_saveexec_b64 s[20:21], s[4:5]
	s_cbranch_execz .LBB8_1024
; %bb.1022:
	v_mov_b32_e32 v8, 0
	global_load_dwordx2 v[4:5], v8, s[6:7] offset:40
	global_load_dwordx2 v[9:10], v8, s[6:7] offset:24 glc
	global_load_dwordx2 v[6:7], v8, s[6:7]
	v_mov_b32_e32 v3, s19
	s_mov_b64 s[4:5], 0
	s_waitcnt vmcnt(2)
	v_add_co_u32_e32 v11, vcc, 1, v4
	v_addc_co_u32_e32 v12, vcc, 0, v5, vcc
	v_add_co_u32_e32 v2, vcc, s18, v11
	v_addc_co_u32_e32 v3, vcc, v12, v3, vcc
	v_cmp_eq_u64_e32 vcc, 0, v[2:3]
	v_cndmask_b32_e32 v3, v3, v12, vcc
	v_cndmask_b32_e32 v2, v2, v11, vcc
	v_and_b32_e32 v5, v3, v5
	v_and_b32_e32 v4, v2, v4
	v_mul_lo_u32 v5, v5, 24
	v_mul_hi_u32 v11, v4, 24
	v_mul_lo_u32 v12, v4, 24
	s_waitcnt vmcnt(1)
	v_mov_b32_e32 v4, v9
	v_add_u32_e32 v5, v11, v5
	s_waitcnt vmcnt(0)
	v_add_co_u32_e32 v6, vcc, v6, v12
	v_addc_co_u32_e32 v7, vcc, v7, v5, vcc
	global_store_dwordx2 v[6:7], v[9:10], off
	v_mov_b32_e32 v5, v10
	s_waitcnt vmcnt(0)
	global_atomic_cmpswap_x2 v[4:5], v8, v[2:5], s[6:7] offset:24 glc
	s_waitcnt vmcnt(0)
	v_cmp_ne_u64_e32 vcc, v[4:5], v[9:10]
	s_and_b64 exec, exec, vcc
	s_cbranch_execz .LBB8_1024
.LBB8_1023:                             ; =>This Inner Loop Header: Depth=1
	s_sleep 1
	global_store_dwordx2 v[6:7], v[4:5], off
	s_waitcnt vmcnt(0)
	global_atomic_cmpswap_x2 v[9:10], v8, v[2:5], s[6:7] offset:24 glc
	s_waitcnt vmcnt(0)
	v_cmp_eq_u64_e32 vcc, v[9:10], v[4:5]
	v_mov_b32_e32 v4, v9
	s_or_b64 s[4:5], vcc, s[4:5]
	v_mov_b32_e32 v5, v10
	s_andn2_b64 exec, exec, s[4:5]
	s_cbranch_execnz .LBB8_1023
.LBB8_1024:
	s_or_b64 exec, exec, s[20:21]
	s_and_b64 vcc, exec, s[16:17]
	s_cbranch_vccz .LBB8_1109
; %bb.1025:
	s_waitcnt vmcnt(0)
	v_and_b32_e32 v33, 2, v0
	v_mov_b32_e32 v28, 0
	v_and_b32_e32 v2, -3, v0
	v_mov_b32_e32 v3, v1
	s_mov_b64 s[20:21], 3
	v_mov_b32_e32 v6, 2
	v_mov_b32_e32 v7, 1
	s_getpc_b64 s[18:19]
	s_add_u32 s18, s18, .str.6@rel32@lo+4
	s_addc_u32 s19, s19, .str.6@rel32@hi+12
	s_branch .LBB8_1027
.LBB8_1026:                             ;   in Loop: Header=BB8_1027 Depth=1
	s_or_b64 exec, exec, s[26:27]
	s_sub_u32 s20, s20, s22
	s_subb_u32 s21, s21, s23
	s_add_u32 s18, s18, s22
	s_addc_u32 s19, s19, s23
	s_cmp_lg_u64 s[20:21], 0
	s_cbranch_scc0 .LBB8_1108
.LBB8_1027:                             ; =>This Loop Header: Depth=1
                                        ;     Child Loop BB8_1030 Depth 2
                                        ;     Child Loop BB8_1037 Depth 2
	;; [unrolled: 1-line block ×11, first 2 shown]
	v_cmp_lt_u64_e64 s[4:5], s[20:21], 56
	v_cmp_gt_u64_e64 s[24:25], s[20:21], 7
	s_and_b64 s[4:5], s[4:5], exec
	s_cselect_b32 s23, s21, 0
	s_cselect_b32 s22, s20, 56
	s_and_b64 vcc, exec, s[24:25]
	s_cbranch_vccnz .LBB8_1032
; %bb.1028:                             ;   in Loop: Header=BB8_1027 Depth=1
	v_mov_b32_e32 v10, 0
	s_cmp_eq_u64 s[20:21], 0
	v_mov_b32_e32 v11, 0
	s_mov_b64 s[4:5], 0
	s_cbranch_scc1 .LBB8_1031
; %bb.1029:                             ;   in Loop: Header=BB8_1027 Depth=1
	v_mov_b32_e32 v10, 0
	s_lshl_b64 s[24:25], s[22:23], 3
	s_mov_b64 s[26:27], 0
	v_mov_b32_e32 v11, 0
	s_mov_b64 s[28:29], s[18:19]
.LBB8_1030:                             ;   Parent Loop BB8_1027 Depth=1
                                        ; =>  This Inner Loop Header: Depth=2
	global_load_ubyte v4, v28, s[28:29]
	s_waitcnt vmcnt(0)
	v_and_b32_e32 v27, 0xffff, v4
	v_lshlrev_b64 v[4:5], s26, v[27:28]
	s_add_u32 s26, s26, 8
	s_addc_u32 s27, s27, 0
	s_add_u32 s28, s28, 1
	s_addc_u32 s29, s29, 0
	v_or_b32_e32 v10, v4, v10
	s_cmp_lg_u32 s24, s26
	v_or_b32_e32 v11, v5, v11
	s_cbranch_scc1 .LBB8_1030
.LBB8_1031:                             ;   in Loop: Header=BB8_1027 Depth=1
	s_mov_b32 s15, 0
	s_andn2_b64 vcc, exec, s[4:5]
	s_mov_b64 s[4:5], s[18:19]
	s_cbranch_vccz .LBB8_1033
	s_branch .LBB8_1034
.LBB8_1032:                             ;   in Loop: Header=BB8_1027 Depth=1
                                        ; implicit-def: $vgpr10_vgpr11
                                        ; implicit-def: $sgpr15
	s_mov_b64 s[4:5], s[18:19]
.LBB8_1033:                             ;   in Loop: Header=BB8_1027 Depth=1
	global_load_dwordx2 v[10:11], v28, s[18:19]
	s_add_i32 s15, s22, -8
	s_add_u32 s4, s18, 8
	s_addc_u32 s5, s19, 0
.LBB8_1034:                             ;   in Loop: Header=BB8_1027 Depth=1
	s_cmp_gt_u32 s15, 7
	s_cbranch_scc1 .LBB8_1038
; %bb.1035:                             ;   in Loop: Header=BB8_1027 Depth=1
	s_cmp_eq_u32 s15, 0
	s_cbranch_scc1 .LBB8_1039
; %bb.1036:                             ;   in Loop: Header=BB8_1027 Depth=1
	v_mov_b32_e32 v12, 0
	s_mov_b64 s[24:25], 0
	v_mov_b32_e32 v13, 0
	s_mov_b64 s[26:27], 0
.LBB8_1037:                             ;   Parent Loop BB8_1027 Depth=1
                                        ; =>  This Inner Loop Header: Depth=2
	s_add_u32 s28, s4, s26
	s_addc_u32 s29, s5, s27
	global_load_ubyte v4, v28, s[28:29]
	s_add_u32 s26, s26, 1
	s_addc_u32 s27, s27, 0
	s_waitcnt vmcnt(0)
	v_and_b32_e32 v27, 0xffff, v4
	v_lshlrev_b64 v[4:5], s24, v[27:28]
	s_add_u32 s24, s24, 8
	s_addc_u32 s25, s25, 0
	v_or_b32_e32 v12, v4, v12
	s_cmp_lg_u32 s15, s26
	v_or_b32_e32 v13, v5, v13
	s_cbranch_scc1 .LBB8_1037
	s_branch .LBB8_1040
.LBB8_1038:                             ;   in Loop: Header=BB8_1027 Depth=1
                                        ; implicit-def: $vgpr12_vgpr13
                                        ; implicit-def: $sgpr28
	s_branch .LBB8_1041
.LBB8_1039:                             ;   in Loop: Header=BB8_1027 Depth=1
	v_mov_b32_e32 v12, 0
	v_mov_b32_e32 v13, 0
.LBB8_1040:                             ;   in Loop: Header=BB8_1027 Depth=1
	s_mov_b32 s28, 0
	s_cbranch_execnz .LBB8_1042
.LBB8_1041:                             ;   in Loop: Header=BB8_1027 Depth=1
	global_load_dwordx2 v[12:13], v28, s[4:5]
	s_add_i32 s28, s15, -8
	s_add_u32 s4, s4, 8
	s_addc_u32 s5, s5, 0
.LBB8_1042:                             ;   in Loop: Header=BB8_1027 Depth=1
	s_cmp_gt_u32 s28, 7
	s_cbranch_scc1 .LBB8_1046
; %bb.1043:                             ;   in Loop: Header=BB8_1027 Depth=1
	s_cmp_eq_u32 s28, 0
	s_cbranch_scc1 .LBB8_1047
; %bb.1044:                             ;   in Loop: Header=BB8_1027 Depth=1
	v_mov_b32_e32 v14, 0
	s_mov_b64 s[24:25], 0
	v_mov_b32_e32 v15, 0
	s_mov_b64 s[26:27], 0
.LBB8_1045:                             ;   Parent Loop BB8_1027 Depth=1
                                        ; =>  This Inner Loop Header: Depth=2
	s_add_u32 vcc_lo, s4, s26
	s_addc_u32 vcc_hi, s5, s27
	global_load_ubyte v4, v28, vcc
	s_add_u32 s26, s26, 1
	s_addc_u32 s27, s27, 0
	s_waitcnt vmcnt(0)
	v_and_b32_e32 v27, 0xffff, v4
	v_lshlrev_b64 v[4:5], s24, v[27:28]
	s_add_u32 s24, s24, 8
	s_addc_u32 s25, s25, 0
	v_or_b32_e32 v14, v4, v14
	s_cmp_lg_u32 s28, s26
	v_or_b32_e32 v15, v5, v15
	s_cbranch_scc1 .LBB8_1045
	s_branch .LBB8_1048
.LBB8_1046:                             ;   in Loop: Header=BB8_1027 Depth=1
                                        ; implicit-def: $sgpr15
	s_branch .LBB8_1049
.LBB8_1047:                             ;   in Loop: Header=BB8_1027 Depth=1
	v_mov_b32_e32 v14, 0
	v_mov_b32_e32 v15, 0
.LBB8_1048:                             ;   in Loop: Header=BB8_1027 Depth=1
	s_mov_b32 s15, 0
	s_cbranch_execnz .LBB8_1050
.LBB8_1049:                             ;   in Loop: Header=BB8_1027 Depth=1
	global_load_dwordx2 v[14:15], v28, s[4:5]
	s_add_i32 s15, s28, -8
	s_add_u32 s4, s4, 8
	s_addc_u32 s5, s5, 0
.LBB8_1050:                             ;   in Loop: Header=BB8_1027 Depth=1
	s_cmp_gt_u32 s15, 7
	s_cbranch_scc1 .LBB8_1054
; %bb.1051:                             ;   in Loop: Header=BB8_1027 Depth=1
	s_cmp_eq_u32 s15, 0
	s_cbranch_scc1 .LBB8_1055
; %bb.1052:                             ;   in Loop: Header=BB8_1027 Depth=1
	v_mov_b32_e32 v16, 0
	s_mov_b64 s[24:25], 0
	v_mov_b32_e32 v17, 0
	s_mov_b64 s[26:27], 0
.LBB8_1053:                             ;   Parent Loop BB8_1027 Depth=1
                                        ; =>  This Inner Loop Header: Depth=2
	s_add_u32 s28, s4, s26
	s_addc_u32 s29, s5, s27
	global_load_ubyte v4, v28, s[28:29]
	s_add_u32 s26, s26, 1
	s_addc_u32 s27, s27, 0
	s_waitcnt vmcnt(0)
	v_and_b32_e32 v27, 0xffff, v4
	v_lshlrev_b64 v[4:5], s24, v[27:28]
	s_add_u32 s24, s24, 8
	s_addc_u32 s25, s25, 0
	v_or_b32_e32 v16, v4, v16
	s_cmp_lg_u32 s15, s26
	v_or_b32_e32 v17, v5, v17
	s_cbranch_scc1 .LBB8_1053
	s_branch .LBB8_1056
.LBB8_1054:                             ;   in Loop: Header=BB8_1027 Depth=1
                                        ; implicit-def: $vgpr16_vgpr17
                                        ; implicit-def: $sgpr28
	s_branch .LBB8_1057
.LBB8_1055:                             ;   in Loop: Header=BB8_1027 Depth=1
	v_mov_b32_e32 v16, 0
	v_mov_b32_e32 v17, 0
.LBB8_1056:                             ;   in Loop: Header=BB8_1027 Depth=1
	s_mov_b32 s28, 0
	s_cbranch_execnz .LBB8_1058
.LBB8_1057:                             ;   in Loop: Header=BB8_1027 Depth=1
	global_load_dwordx2 v[16:17], v28, s[4:5]
	s_add_i32 s28, s15, -8
	s_add_u32 s4, s4, 8
	s_addc_u32 s5, s5, 0
.LBB8_1058:                             ;   in Loop: Header=BB8_1027 Depth=1
	s_cmp_gt_u32 s28, 7
	s_cbranch_scc1 .LBB8_1062
; %bb.1059:                             ;   in Loop: Header=BB8_1027 Depth=1
	s_cmp_eq_u32 s28, 0
	s_cbranch_scc1 .LBB8_1063
; %bb.1060:                             ;   in Loop: Header=BB8_1027 Depth=1
	v_mov_b32_e32 v18, 0
	s_mov_b64 s[24:25], 0
	v_mov_b32_e32 v19, 0
	s_mov_b64 s[26:27], 0
.LBB8_1061:                             ;   Parent Loop BB8_1027 Depth=1
                                        ; =>  This Inner Loop Header: Depth=2
	s_add_u32 vcc_lo, s4, s26
	s_addc_u32 vcc_hi, s5, s27
	global_load_ubyte v4, v28, vcc
	s_add_u32 s26, s26, 1
	s_addc_u32 s27, s27, 0
	s_waitcnt vmcnt(0)
	v_and_b32_e32 v27, 0xffff, v4
	v_lshlrev_b64 v[4:5], s24, v[27:28]
	s_add_u32 s24, s24, 8
	s_addc_u32 s25, s25, 0
	v_or_b32_e32 v18, v4, v18
	s_cmp_lg_u32 s28, s26
	v_or_b32_e32 v19, v5, v19
	s_cbranch_scc1 .LBB8_1061
	s_branch .LBB8_1064
.LBB8_1062:                             ;   in Loop: Header=BB8_1027 Depth=1
                                        ; implicit-def: $sgpr15
	s_branch .LBB8_1065
.LBB8_1063:                             ;   in Loop: Header=BB8_1027 Depth=1
	v_mov_b32_e32 v18, 0
	v_mov_b32_e32 v19, 0
.LBB8_1064:                             ;   in Loop: Header=BB8_1027 Depth=1
	s_mov_b32 s15, 0
	s_cbranch_execnz .LBB8_1066
.LBB8_1065:                             ;   in Loop: Header=BB8_1027 Depth=1
	global_load_dwordx2 v[18:19], v28, s[4:5]
	s_add_i32 s15, s28, -8
	s_add_u32 s4, s4, 8
	s_addc_u32 s5, s5, 0
.LBB8_1066:                             ;   in Loop: Header=BB8_1027 Depth=1
	s_cmp_gt_u32 s15, 7
	s_cbranch_scc1 .LBB8_1070
; %bb.1067:                             ;   in Loop: Header=BB8_1027 Depth=1
	s_cmp_eq_u32 s15, 0
	s_cbranch_scc1 .LBB8_1071
; %bb.1068:                             ;   in Loop: Header=BB8_1027 Depth=1
	v_mov_b32_e32 v20, 0
	s_mov_b64 s[24:25], 0
	v_mov_b32_e32 v21, 0
	s_mov_b64 s[26:27], 0
.LBB8_1069:                             ;   Parent Loop BB8_1027 Depth=1
                                        ; =>  This Inner Loop Header: Depth=2
	s_add_u32 s28, s4, s26
	s_addc_u32 s29, s5, s27
	global_load_ubyte v4, v28, s[28:29]
	s_add_u32 s26, s26, 1
	s_addc_u32 s27, s27, 0
	s_waitcnt vmcnt(0)
	v_and_b32_e32 v27, 0xffff, v4
	v_lshlrev_b64 v[4:5], s24, v[27:28]
	s_add_u32 s24, s24, 8
	s_addc_u32 s25, s25, 0
	v_or_b32_e32 v20, v4, v20
	s_cmp_lg_u32 s15, s26
	v_or_b32_e32 v21, v5, v21
	s_cbranch_scc1 .LBB8_1069
	s_branch .LBB8_1072
.LBB8_1070:                             ;   in Loop: Header=BB8_1027 Depth=1
                                        ; implicit-def: $vgpr20_vgpr21
                                        ; implicit-def: $sgpr28
	s_branch .LBB8_1073
.LBB8_1071:                             ;   in Loop: Header=BB8_1027 Depth=1
	v_mov_b32_e32 v20, 0
	v_mov_b32_e32 v21, 0
.LBB8_1072:                             ;   in Loop: Header=BB8_1027 Depth=1
	s_mov_b32 s28, 0
	s_cbranch_execnz .LBB8_1074
.LBB8_1073:                             ;   in Loop: Header=BB8_1027 Depth=1
	global_load_dwordx2 v[20:21], v28, s[4:5]
	s_add_i32 s28, s15, -8
	s_add_u32 s4, s4, 8
	s_addc_u32 s5, s5, 0
.LBB8_1074:                             ;   in Loop: Header=BB8_1027 Depth=1
	s_cmp_gt_u32 s28, 7
	s_cbranch_scc1 .LBB8_1078
; %bb.1075:                             ;   in Loop: Header=BB8_1027 Depth=1
	s_cmp_eq_u32 s28, 0
	s_cbranch_scc1 .LBB8_1079
; %bb.1076:                             ;   in Loop: Header=BB8_1027 Depth=1
	v_mov_b32_e32 v22, 0
	s_mov_b64 s[24:25], 0
	v_mov_b32_e32 v23, 0
	s_mov_b64 s[26:27], s[4:5]
.LBB8_1077:                             ;   Parent Loop BB8_1027 Depth=1
                                        ; =>  This Inner Loop Header: Depth=2
	global_load_ubyte v4, v28, s[26:27]
	s_add_i32 s28, s28, -1
	s_waitcnt vmcnt(0)
	v_and_b32_e32 v27, 0xffff, v4
	v_lshlrev_b64 v[4:5], s24, v[27:28]
	s_add_u32 s24, s24, 8
	s_addc_u32 s25, s25, 0
	s_add_u32 s26, s26, 1
	s_addc_u32 s27, s27, 0
	v_or_b32_e32 v22, v4, v22
	s_cmp_lg_u32 s28, 0
	v_or_b32_e32 v23, v5, v23
	s_cbranch_scc1 .LBB8_1077
	s_branch .LBB8_1080
.LBB8_1078:                             ;   in Loop: Header=BB8_1027 Depth=1
	s_branch .LBB8_1081
.LBB8_1079:                             ;   in Loop: Header=BB8_1027 Depth=1
	v_mov_b32_e32 v22, 0
	v_mov_b32_e32 v23, 0
.LBB8_1080:                             ;   in Loop: Header=BB8_1027 Depth=1
	s_cbranch_execnz .LBB8_1082
.LBB8_1081:                             ;   in Loop: Header=BB8_1027 Depth=1
	global_load_dwordx2 v[22:23], v28, s[4:5]
.LBB8_1082:                             ;   in Loop: Header=BB8_1027 Depth=1
	v_readfirstlane_b32 s4, v32
	s_waitcnt vmcnt(0)
	v_mov_b32_e32 v4, 0
	v_mov_b32_e32 v5, 0
	v_cmp_eq_u32_e64 s[4:5], s4, v32
	s_and_saveexec_b64 s[24:25], s[4:5]
	s_cbranch_execz .LBB8_1088
; %bb.1083:                             ;   in Loop: Header=BB8_1027 Depth=1
	global_load_dwordx2 v[26:27], v28, s[6:7] offset:24 glc
	s_waitcnt vmcnt(0)
	buffer_wbinvl1_vol
	global_load_dwordx2 v[4:5], v28, s[6:7] offset:40
	global_load_dwordx2 v[8:9], v28, s[6:7]
	s_waitcnt vmcnt(1)
	v_and_b32_e32 v4, v4, v26
	v_and_b32_e32 v5, v5, v27
	v_mul_lo_u32 v5, v5, 24
	v_mul_hi_u32 v24, v4, 24
	v_mul_lo_u32 v4, v4, 24
	v_add_u32_e32 v5, v24, v5
	s_waitcnt vmcnt(0)
	v_add_co_u32_e32 v4, vcc, v8, v4
	v_addc_co_u32_e32 v5, vcc, v9, v5, vcc
	global_load_dwordx2 v[24:25], v[4:5], off glc
	s_waitcnt vmcnt(0)
	global_atomic_cmpswap_x2 v[4:5], v28, v[24:27], s[6:7] offset:24 glc
	s_waitcnt vmcnt(0)
	buffer_wbinvl1_vol
	v_cmp_ne_u64_e32 vcc, v[4:5], v[26:27]
	s_and_saveexec_b64 s[26:27], vcc
	s_cbranch_execz .LBB8_1087
; %bb.1084:                             ;   in Loop: Header=BB8_1027 Depth=1
	s_mov_b64 s[28:29], 0
.LBB8_1085:                             ;   Parent Loop BB8_1027 Depth=1
                                        ; =>  This Inner Loop Header: Depth=2
	s_sleep 1
	global_load_dwordx2 v[8:9], v28, s[6:7] offset:40
	global_load_dwordx2 v[24:25], v28, s[6:7]
	v_mov_b32_e32 v27, v5
	v_mov_b32_e32 v26, v4
	s_waitcnt vmcnt(1)
	v_and_b32_e32 v4, v8, v26
	s_waitcnt vmcnt(0)
	v_mad_u64_u32 v[4:5], vcc, v4, 24, v[24:25]
	v_and_b32_e32 v8, v9, v27
	v_mad_u64_u32 v[8:9], vcc, v8, 24, v[5:6]
	v_mov_b32_e32 v5, v8
	global_load_dwordx2 v[24:25], v[4:5], off glc
	s_waitcnt vmcnt(0)
	global_atomic_cmpswap_x2 v[4:5], v28, v[24:27], s[6:7] offset:24 glc
	s_waitcnt vmcnt(0)
	buffer_wbinvl1_vol
	v_cmp_eq_u64_e32 vcc, v[4:5], v[26:27]
	s_or_b64 s[28:29], vcc, s[28:29]
	s_andn2_b64 exec, exec, s[28:29]
	s_cbranch_execnz .LBB8_1085
; %bb.1086:                             ;   in Loop: Header=BB8_1027 Depth=1
	s_or_b64 exec, exec, s[28:29]
.LBB8_1087:                             ;   in Loop: Header=BB8_1027 Depth=1
	s_or_b64 exec, exec, s[26:27]
.LBB8_1088:                             ;   in Loop: Header=BB8_1027 Depth=1
	s_or_b64 exec, exec, s[24:25]
	global_load_dwordx2 v[8:9], v28, s[6:7] offset:40
	global_load_dwordx4 v[24:27], v28, s[6:7]
	v_readfirstlane_b32 s24, v4
	v_readfirstlane_b32 s25, v5
	s_mov_b64 s[26:27], exec
	s_waitcnt vmcnt(1)
	v_readfirstlane_b32 s28, v8
	v_readfirstlane_b32 s29, v9
	s_and_b64 s[28:29], s[24:25], s[28:29]
	s_mul_i32 s15, s29, 24
	s_mul_hi_u32 vcc_lo, s28, 24
	s_mul_i32 vcc_hi, s28, 24
	s_add_i32 s15, vcc_lo, s15
	v_mov_b32_e32 v4, s15
	s_waitcnt vmcnt(0)
	v_add_co_u32_e32 v29, vcc, vcc_hi, v24
	v_addc_co_u32_e32 v30, vcc, v25, v4, vcc
	s_and_saveexec_b64 vcc, s[4:5]
	s_cbranch_execz .LBB8_1090
; %bb.1089:                             ;   in Loop: Header=BB8_1027 Depth=1
	v_mov_b32_e32 v4, s26
	v_mov_b32_e32 v5, s27
	global_store_dwordx4 v[29:30], v[4:7], off offset:8
.LBB8_1090:                             ;   in Loop: Header=BB8_1027 Depth=1
	s_or_b64 exec, exec, vcc
	s_lshl_b64 s[26:27], s[28:29], 12
	v_mov_b32_e32 v4, s27
	v_add_co_u32_e32 v26, vcc, s26, v26
	v_addc_co_u32_e32 v34, vcc, v27, v4, vcc
	v_cmp_gt_u64_e64 vcc, s[20:21], 56
	v_or_b32_e32 v5, v2, v33
	s_lshl_b32 s15, s22, 2
	v_cndmask_b32_e32 v2, v5, v2, vcc
	s_add_i32 s15, s15, 28
	v_or_b32_e32 v4, 0, v3
	s_and_b32 s15, s15, 0x1e0
	v_and_b32_e32 v2, 0xffffff1f, v2
	v_cndmask_b32_e32 v9, v4, v3, vcc
	v_or_b32_e32 v8, s15, v2
	v_readfirstlane_b32 s26, v26
	v_readfirstlane_b32 s27, v34
	s_nop 4
	global_store_dwordx4 v31, v[8:11], s[26:27]
	global_store_dwordx4 v31, v[12:15], s[26:27] offset:16
	global_store_dwordx4 v31, v[16:19], s[26:27] offset:32
	;; [unrolled: 1-line block ×3, first 2 shown]
	s_and_saveexec_b64 s[26:27], s[4:5]
	s_cbranch_execz .LBB8_1098
; %bb.1091:                             ;   in Loop: Header=BB8_1027 Depth=1
	global_load_dwordx2 v[12:13], v28, s[6:7] offset:32 glc
	global_load_dwordx2 v[2:3], v28, s[6:7] offset:40
	v_mov_b32_e32 v10, s24
	v_mov_b32_e32 v11, s25
	s_waitcnt vmcnt(0)
	v_readfirstlane_b32 s28, v2
	v_readfirstlane_b32 s29, v3
	s_and_b64 s[28:29], s[28:29], s[24:25]
	s_mul_i32 s15, s29, 24
	s_mul_hi_u32 s29, s28, 24
	s_mul_i32 s28, s28, 24
	s_add_i32 s15, s29, s15
	v_mov_b32_e32 v2, s15
	v_add_co_u32_e32 v8, vcc, s28, v24
	v_addc_co_u32_e32 v9, vcc, v25, v2, vcc
	global_store_dwordx2 v[8:9], v[12:13], off
	s_waitcnt vmcnt(0)
	global_atomic_cmpswap_x2 v[4:5], v28, v[10:13], s[6:7] offset:32 glc
	s_waitcnt vmcnt(0)
	v_cmp_ne_u64_e32 vcc, v[4:5], v[12:13]
	s_and_saveexec_b64 s[28:29], vcc
	s_cbranch_execz .LBB8_1094
; %bb.1092:                             ;   in Loop: Header=BB8_1027 Depth=1
	s_mov_b64 s[30:31], 0
.LBB8_1093:                             ;   Parent Loop BB8_1027 Depth=1
                                        ; =>  This Inner Loop Header: Depth=2
	s_sleep 1
	global_store_dwordx2 v[8:9], v[4:5], off
	v_mov_b32_e32 v2, s24
	v_mov_b32_e32 v3, s25
	s_waitcnt vmcnt(0)
	global_atomic_cmpswap_x2 v[2:3], v28, v[2:5], s[6:7] offset:32 glc
	s_waitcnt vmcnt(0)
	v_cmp_eq_u64_e32 vcc, v[2:3], v[4:5]
	v_mov_b32_e32 v5, v3
	s_or_b64 s[30:31], vcc, s[30:31]
	v_mov_b32_e32 v4, v2
	s_andn2_b64 exec, exec, s[30:31]
	s_cbranch_execnz .LBB8_1093
.LBB8_1094:                             ;   in Loop: Header=BB8_1027 Depth=1
	s_or_b64 exec, exec, s[28:29]
	global_load_dwordx2 v[2:3], v28, s[6:7] offset:16
	s_mov_b64 s[30:31], exec
	v_mbcnt_lo_u32_b32 v4, s30, 0
	v_mbcnt_hi_u32_b32 v4, s31, v4
	v_cmp_eq_u32_e32 vcc, 0, v4
	s_and_saveexec_b64 s[28:29], vcc
	s_cbranch_execz .LBB8_1096
; %bb.1095:                             ;   in Loop: Header=BB8_1027 Depth=1
	s_bcnt1_i32_b64 s15, s[30:31]
	v_mov_b32_e32 v27, s15
	s_waitcnt vmcnt(0)
	global_atomic_add_x2 v[2:3], v[27:28], off offset:8
.LBB8_1096:                             ;   in Loop: Header=BB8_1027 Depth=1
	s_or_b64 exec, exec, s[28:29]
	s_waitcnt vmcnt(0)
	global_load_dwordx2 v[4:5], v[2:3], off offset:16
	s_waitcnt vmcnt(0)
	v_cmp_eq_u64_e32 vcc, 0, v[4:5]
	s_cbranch_vccnz .LBB8_1098
; %bb.1097:                             ;   in Loop: Header=BB8_1027 Depth=1
	global_load_dword v27, v[2:3], off offset:24
	s_waitcnt vmcnt(0)
	v_and_b32_e32 v2, 0xffffff, v27
	v_readfirstlane_b32 m0, v2
	global_store_dwordx2 v[4:5], v[27:28], off
	s_sendmsg sendmsg(MSG_INTERRUPT)
.LBB8_1098:                             ;   in Loop: Header=BB8_1027 Depth=1
	s_or_b64 exec, exec, s[26:27]
	v_add_co_u32_e32 v2, vcc, v26, v31
	v_addc_co_u32_e32 v3, vcc, 0, v34, vcc
	s_branch .LBB8_1102
.LBB8_1099:                             ;   in Loop: Header=BB8_1102 Depth=2
	s_or_b64 exec, exec, s[26:27]
	v_readfirstlane_b32 s15, v4
	s_cmp_eq_u32 s15, 0
	s_cbranch_scc1 .LBB8_1101
; %bb.1100:                             ;   in Loop: Header=BB8_1102 Depth=2
	s_sleep 1
	s_cbranch_execnz .LBB8_1102
	s_branch .LBB8_1104
.LBB8_1101:                             ;   in Loop: Header=BB8_1027 Depth=1
	s_branch .LBB8_1104
.LBB8_1102:                             ;   Parent Loop BB8_1027 Depth=1
                                        ; =>  This Inner Loop Header: Depth=2
	v_mov_b32_e32 v4, 1
	s_and_saveexec_b64 s[26:27], s[4:5]
	s_cbranch_execz .LBB8_1099
; %bb.1103:                             ;   in Loop: Header=BB8_1102 Depth=2
	global_load_dword v4, v[29:30], off offset:20 glc
	s_waitcnt vmcnt(0)
	buffer_wbinvl1_vol
	v_and_b32_e32 v4, 1, v4
	s_branch .LBB8_1099
.LBB8_1104:                             ;   in Loop: Header=BB8_1027 Depth=1
	global_load_dwordx4 v[2:5], v[2:3], off
	s_and_saveexec_b64 s[26:27], s[4:5]
	s_cbranch_execz .LBB8_1026
; %bb.1105:                             ;   in Loop: Header=BB8_1027 Depth=1
	global_load_dwordx2 v[4:5], v28, s[6:7] offset:40
	global_load_dwordx2 v[12:13], v28, s[6:7] offset:24 glc
	global_load_dwordx2 v[14:15], v28, s[6:7]
	v_mov_b32_e32 v9, s25
	s_waitcnt vmcnt(2)
	v_add_co_u32_e32 v10, vcc, 1, v4
	v_addc_co_u32_e32 v11, vcc, 0, v5, vcc
	v_add_co_u32_e32 v8, vcc, s24, v10
	v_addc_co_u32_e32 v9, vcc, v11, v9, vcc
	v_cmp_eq_u64_e32 vcc, 0, v[8:9]
	v_cndmask_b32_e32 v9, v9, v11, vcc
	v_cndmask_b32_e32 v8, v8, v10, vcc
	v_and_b32_e32 v5, v9, v5
	v_and_b32_e32 v4, v8, v4
	v_mul_lo_u32 v5, v5, 24
	v_mul_hi_u32 v11, v4, 24
	v_mul_lo_u32 v4, v4, 24
	s_waitcnt vmcnt(1)
	v_mov_b32_e32 v10, v12
	v_add_u32_e32 v5, v11, v5
	s_waitcnt vmcnt(0)
	v_add_co_u32_e32 v4, vcc, v14, v4
	v_addc_co_u32_e32 v5, vcc, v15, v5, vcc
	global_store_dwordx2 v[4:5], v[12:13], off
	v_mov_b32_e32 v11, v13
	s_waitcnt vmcnt(0)
	global_atomic_cmpswap_x2 v[10:11], v28, v[8:11], s[6:7] offset:24 glc
	s_waitcnt vmcnt(0)
	v_cmp_ne_u64_e32 vcc, v[10:11], v[12:13]
	s_and_b64 exec, exec, vcc
	s_cbranch_execz .LBB8_1026
; %bb.1106:                             ;   in Loop: Header=BB8_1027 Depth=1
	s_mov_b64 s[4:5], 0
.LBB8_1107:                             ;   Parent Loop BB8_1027 Depth=1
                                        ; =>  This Inner Loop Header: Depth=2
	s_sleep 1
	global_store_dwordx2 v[4:5], v[10:11], off
	s_waitcnt vmcnt(0)
	global_atomic_cmpswap_x2 v[12:13], v28, v[8:11], s[6:7] offset:24 glc
	s_waitcnt vmcnt(0)
	v_cmp_eq_u64_e32 vcc, v[12:13], v[10:11]
	v_mov_b32_e32 v10, v12
	s_or_b64 s[4:5], vcc, s[4:5]
	v_mov_b32_e32 v11, v13
	s_andn2_b64 exec, exec, s[4:5]
	s_cbranch_execnz .LBB8_1107
	s_branch .LBB8_1026
.LBB8_1108:
	s_branch .LBB8_1136
.LBB8_1109:
                                        ; implicit-def: $vgpr2_vgpr3
	s_cbranch_execz .LBB8_1136
; %bb.1110:
	v_readfirstlane_b32 s4, v32
	v_mov_b32_e32 v8, 0
	v_mov_b32_e32 v9, 0
	v_cmp_eq_u32_e64 s[4:5], s4, v32
	s_and_saveexec_b64 s[18:19], s[4:5]
	s_cbranch_execz .LBB8_1116
; %bb.1111:
	s_waitcnt vmcnt(0)
	v_mov_b32_e32 v2, 0
	global_load_dwordx2 v[5:6], v2, s[6:7] offset:24 glc
	s_waitcnt vmcnt(0)
	buffer_wbinvl1_vol
	global_load_dwordx2 v[3:4], v2, s[6:7] offset:40
	global_load_dwordx2 v[7:8], v2, s[6:7]
	s_waitcnt vmcnt(1)
	v_and_b32_e32 v3, v3, v5
	v_and_b32_e32 v4, v4, v6
	v_mul_lo_u32 v4, v4, 24
	v_mul_hi_u32 v9, v3, 24
	v_mul_lo_u32 v3, v3, 24
	v_add_u32_e32 v4, v9, v4
	s_waitcnt vmcnt(0)
	v_add_co_u32_e32 v3, vcc, v7, v3
	v_addc_co_u32_e32 v4, vcc, v8, v4, vcc
	global_load_dwordx2 v[3:4], v[3:4], off glc
	s_waitcnt vmcnt(0)
	global_atomic_cmpswap_x2 v[8:9], v2, v[3:6], s[6:7] offset:24 glc
	s_waitcnt vmcnt(0)
	buffer_wbinvl1_vol
	v_cmp_ne_u64_e32 vcc, v[8:9], v[5:6]
	s_and_saveexec_b64 s[20:21], vcc
	s_cbranch_execz .LBB8_1115
; %bb.1112:
	s_mov_b64 s[22:23], 0
.LBB8_1113:                             ; =>This Inner Loop Header: Depth=1
	s_sleep 1
	global_load_dwordx2 v[3:4], v2, s[6:7] offset:40
	global_load_dwordx2 v[10:11], v2, s[6:7]
	v_mov_b32_e32 v5, v8
	v_mov_b32_e32 v6, v9
	s_waitcnt vmcnt(1)
	v_and_b32_e32 v3, v3, v5
	s_waitcnt vmcnt(0)
	v_mad_u64_u32 v[7:8], s[24:25], v3, 24, v[10:11]
	v_and_b32_e32 v4, v4, v6
	v_mov_b32_e32 v3, v8
	v_mad_u64_u32 v[3:4], s[24:25], v4, 24, v[3:4]
	v_mov_b32_e32 v8, v3
	global_load_dwordx2 v[3:4], v[7:8], off glc
	s_waitcnt vmcnt(0)
	global_atomic_cmpswap_x2 v[8:9], v2, v[3:6], s[6:7] offset:24 glc
	s_waitcnt vmcnt(0)
	buffer_wbinvl1_vol
	v_cmp_eq_u64_e32 vcc, v[8:9], v[5:6]
	s_or_b64 s[22:23], vcc, s[22:23]
	s_andn2_b64 exec, exec, s[22:23]
	s_cbranch_execnz .LBB8_1113
; %bb.1114:
	s_or_b64 exec, exec, s[22:23]
.LBB8_1115:
	s_or_b64 exec, exec, s[20:21]
.LBB8_1116:
	s_or_b64 exec, exec, s[18:19]
	s_waitcnt vmcnt(0)
	v_mov_b32_e32 v2, 0
	global_load_dwordx2 v[10:11], v2, s[6:7] offset:40
	global_load_dwordx4 v[4:7], v2, s[6:7]
	v_readfirstlane_b32 s18, v8
	v_readfirstlane_b32 s19, v9
	s_mov_b64 s[20:21], exec
	s_waitcnt vmcnt(1)
	v_readfirstlane_b32 s22, v10
	v_readfirstlane_b32 s23, v11
	s_and_b64 s[22:23], s[18:19], s[22:23]
	s_mul_i32 s15, s23, 24
	s_mul_hi_u32 s24, s22, 24
	s_mul_i32 s25, s22, 24
	s_add_i32 s15, s24, s15
	v_mov_b32_e32 v3, s15
	s_waitcnt vmcnt(0)
	v_add_co_u32_e32 v8, vcc, s25, v4
	v_addc_co_u32_e32 v9, vcc, v5, v3, vcc
	s_and_saveexec_b64 s[24:25], s[4:5]
	s_cbranch_execz .LBB8_1118
; %bb.1117:
	v_mov_b32_e32 v10, s20
	v_mov_b32_e32 v11, s21
	;; [unrolled: 1-line block ×4, first 2 shown]
	global_store_dwordx4 v[8:9], v[10:13], off offset:8
.LBB8_1118:
	s_or_b64 exec, exec, s[24:25]
	s_lshl_b64 s[20:21], s[22:23], 12
	v_mov_b32_e32 v3, s21
	v_add_co_u32_e32 v10, vcc, s20, v6
	v_addc_co_u32_e32 v11, vcc, v7, v3, vcc
	s_movk_i32 s15, 0xff1f
	v_and_or_b32 v0, v0, s15, 32
	s_mov_b32 s20, 0
	v_mov_b32_e32 v3, v2
	v_readfirstlane_b32 s24, v10
	v_readfirstlane_b32 s25, v11
	v_add_co_u32_e32 v6, vcc, v10, v31
	s_mov_b32 s21, s20
	s_mov_b32 s22, s20
	s_mov_b32 s23, s20
	s_nop 0
	global_store_dwordx4 v31, v[0:3], s[24:25]
	v_addc_co_u32_e32 v7, vcc, 0, v11, vcc
	v_mov_b32_e32 v0, s20
	v_mov_b32_e32 v1, s21
	;; [unrolled: 1-line block ×4, first 2 shown]
	global_store_dwordx4 v31, v[0:3], s[24:25] offset:16
	global_store_dwordx4 v31, v[0:3], s[24:25] offset:32
	;; [unrolled: 1-line block ×3, first 2 shown]
	s_and_saveexec_b64 s[20:21], s[4:5]
	s_cbranch_execz .LBB8_1126
; %bb.1119:
	v_mov_b32_e32 v10, 0
	global_load_dwordx2 v[13:14], v10, s[6:7] offset:32 glc
	global_load_dwordx2 v[0:1], v10, s[6:7] offset:40
	v_mov_b32_e32 v11, s18
	v_mov_b32_e32 v12, s19
	s_waitcnt vmcnt(0)
	v_readfirstlane_b32 s22, v0
	v_readfirstlane_b32 s23, v1
	s_and_b64 s[22:23], s[22:23], s[18:19]
	s_mul_i32 s15, s23, 24
	s_mul_hi_u32 s23, s22, 24
	s_mul_i32 s22, s22, 24
	s_add_i32 s15, s23, s15
	v_mov_b32_e32 v0, s15
	v_add_co_u32_e32 v4, vcc, s22, v4
	v_addc_co_u32_e32 v5, vcc, v5, v0, vcc
	global_store_dwordx2 v[4:5], v[13:14], off
	s_waitcnt vmcnt(0)
	global_atomic_cmpswap_x2 v[2:3], v10, v[11:14], s[6:7] offset:32 glc
	s_waitcnt vmcnt(0)
	v_cmp_ne_u64_e32 vcc, v[2:3], v[13:14]
	s_and_saveexec_b64 s[22:23], vcc
	s_cbranch_execz .LBB8_1122
; %bb.1120:
	s_mov_b64 s[24:25], 0
.LBB8_1121:                             ; =>This Inner Loop Header: Depth=1
	s_sleep 1
	global_store_dwordx2 v[4:5], v[2:3], off
	v_mov_b32_e32 v0, s18
	v_mov_b32_e32 v1, s19
	s_waitcnt vmcnt(0)
	global_atomic_cmpswap_x2 v[0:1], v10, v[0:3], s[6:7] offset:32 glc
	s_waitcnt vmcnt(0)
	v_cmp_eq_u64_e32 vcc, v[0:1], v[2:3]
	v_mov_b32_e32 v3, v1
	s_or_b64 s[24:25], vcc, s[24:25]
	v_mov_b32_e32 v2, v0
	s_andn2_b64 exec, exec, s[24:25]
	s_cbranch_execnz .LBB8_1121
.LBB8_1122:
	s_or_b64 exec, exec, s[22:23]
	v_mov_b32_e32 v3, 0
	global_load_dwordx2 v[0:1], v3, s[6:7] offset:16
	s_mov_b64 s[22:23], exec
	v_mbcnt_lo_u32_b32 v2, s22, 0
	v_mbcnt_hi_u32_b32 v2, s23, v2
	v_cmp_eq_u32_e32 vcc, 0, v2
	s_and_saveexec_b64 s[24:25], vcc
	s_cbranch_execz .LBB8_1124
; %bb.1123:
	s_bcnt1_i32_b64 s15, s[22:23]
	v_mov_b32_e32 v2, s15
	s_waitcnt vmcnt(0)
	global_atomic_add_x2 v[0:1], v[2:3], off offset:8
.LBB8_1124:
	s_or_b64 exec, exec, s[24:25]
	s_waitcnt vmcnt(0)
	global_load_dwordx2 v[2:3], v[0:1], off offset:16
	s_waitcnt vmcnt(0)
	v_cmp_eq_u64_e32 vcc, 0, v[2:3]
	s_cbranch_vccnz .LBB8_1126
; %bb.1125:
	global_load_dword v0, v[0:1], off offset:24
	v_mov_b32_e32 v1, 0
	s_waitcnt vmcnt(0)
	global_store_dwordx2 v[2:3], v[0:1], off
	v_and_b32_e32 v0, 0xffffff, v0
	v_readfirstlane_b32 m0, v0
	s_sendmsg sendmsg(MSG_INTERRUPT)
.LBB8_1126:
	s_or_b64 exec, exec, s[20:21]
	s_branch .LBB8_1130
.LBB8_1127:                             ;   in Loop: Header=BB8_1130 Depth=1
	s_or_b64 exec, exec, s[20:21]
	v_readfirstlane_b32 s15, v0
	s_cmp_eq_u32 s15, 0
	s_cbranch_scc1 .LBB8_1129
; %bb.1128:                             ;   in Loop: Header=BB8_1130 Depth=1
	s_sleep 1
	s_cbranch_execnz .LBB8_1130
	s_branch .LBB8_1132
.LBB8_1129:
	s_branch .LBB8_1132
.LBB8_1130:                             ; =>This Inner Loop Header: Depth=1
	v_mov_b32_e32 v0, 1
	s_and_saveexec_b64 s[20:21], s[4:5]
	s_cbranch_execz .LBB8_1127
; %bb.1131:                             ;   in Loop: Header=BB8_1130 Depth=1
	global_load_dword v0, v[8:9], off offset:20 glc
	s_waitcnt vmcnt(0)
	buffer_wbinvl1_vol
	v_and_b32_e32 v0, 1, v0
	s_branch .LBB8_1127
.LBB8_1132:
	global_load_dwordx2 v[2:3], v[6:7], off
	s_and_saveexec_b64 s[20:21], s[4:5]
	s_cbranch_execz .LBB8_1135
; %bb.1133:
	v_mov_b32_e32 v8, 0
	global_load_dwordx2 v[0:1], v8, s[6:7] offset:40
	global_load_dwordx2 v[9:10], v8, s[6:7] offset:24 glc
	global_load_dwordx2 v[11:12], v8, s[6:7]
	v_mov_b32_e32 v5, s19
	s_mov_b64 s[4:5], 0
	s_waitcnt vmcnt(2)
	v_add_co_u32_e32 v6, vcc, 1, v0
	v_addc_co_u32_e32 v7, vcc, 0, v1, vcc
	v_add_co_u32_e32 v4, vcc, s18, v6
	v_addc_co_u32_e32 v5, vcc, v7, v5, vcc
	v_cmp_eq_u64_e32 vcc, 0, v[4:5]
	v_cndmask_b32_e32 v5, v5, v7, vcc
	v_cndmask_b32_e32 v4, v4, v6, vcc
	v_and_b32_e32 v1, v5, v1
	v_and_b32_e32 v0, v4, v0
	v_mul_lo_u32 v1, v1, 24
	v_mul_hi_u32 v7, v0, 24
	v_mul_lo_u32 v0, v0, 24
	s_waitcnt vmcnt(1)
	v_mov_b32_e32 v6, v9
	v_add_u32_e32 v1, v7, v1
	s_waitcnt vmcnt(0)
	v_add_co_u32_e32 v0, vcc, v11, v0
	v_addc_co_u32_e32 v1, vcc, v12, v1, vcc
	global_store_dwordx2 v[0:1], v[9:10], off
	v_mov_b32_e32 v7, v10
	s_waitcnt vmcnt(0)
	global_atomic_cmpswap_x2 v[6:7], v8, v[4:7], s[6:7] offset:24 glc
	s_waitcnt vmcnt(0)
	v_cmp_ne_u64_e32 vcc, v[6:7], v[9:10]
	s_and_b64 exec, exec, vcc
	s_cbranch_execz .LBB8_1135
.LBB8_1134:                             ; =>This Inner Loop Header: Depth=1
	s_sleep 1
	global_store_dwordx2 v[0:1], v[6:7], off
	s_waitcnt vmcnt(0)
	global_atomic_cmpswap_x2 v[9:10], v8, v[4:7], s[6:7] offset:24 glc
	s_waitcnt vmcnt(0)
	v_cmp_eq_u64_e32 vcc, v[9:10], v[6:7]
	v_mov_b32_e32 v6, v9
	s_or_b64 s[4:5], vcc, s[4:5]
	v_mov_b32_e32 v7, v10
	s_andn2_b64 exec, exec, s[4:5]
	s_cbranch_execnz .LBB8_1134
.LBB8_1135:
	s_or_b64 exec, exec, s[20:21]
.LBB8_1136:
	v_readfirstlane_b32 s4, v32
	s_waitcnt vmcnt(0)
	v_mov_b32_e32 v0, 0
	v_mov_b32_e32 v1, 0
	v_cmp_eq_u32_e64 s[4:5], s4, v32
	s_and_saveexec_b64 s[18:19], s[4:5]
	s_cbranch_execz .LBB8_1142
; %bb.1137:
	v_mov_b32_e32 v4, 0
	global_load_dwordx2 v[7:8], v4, s[6:7] offset:24 glc
	s_waitcnt vmcnt(0)
	buffer_wbinvl1_vol
	global_load_dwordx2 v[0:1], v4, s[6:7] offset:40
	global_load_dwordx2 v[5:6], v4, s[6:7]
	s_waitcnt vmcnt(1)
	v_and_b32_e32 v0, v0, v7
	v_and_b32_e32 v1, v1, v8
	v_mul_lo_u32 v1, v1, 24
	v_mul_hi_u32 v9, v0, 24
	v_mul_lo_u32 v0, v0, 24
	v_add_u32_e32 v1, v9, v1
	s_waitcnt vmcnt(0)
	v_add_co_u32_e32 v0, vcc, v5, v0
	v_addc_co_u32_e32 v1, vcc, v6, v1, vcc
	global_load_dwordx2 v[5:6], v[0:1], off glc
	s_waitcnt vmcnt(0)
	global_atomic_cmpswap_x2 v[0:1], v4, v[5:8], s[6:7] offset:24 glc
	s_waitcnt vmcnt(0)
	buffer_wbinvl1_vol
	v_cmp_ne_u64_e32 vcc, v[0:1], v[7:8]
	s_and_saveexec_b64 s[20:21], vcc
	s_cbranch_execz .LBB8_1141
; %bb.1138:
	s_mov_b64 s[22:23], 0
.LBB8_1139:                             ; =>This Inner Loop Header: Depth=1
	s_sleep 1
	global_load_dwordx2 v[5:6], v4, s[6:7] offset:40
	global_load_dwordx2 v[9:10], v4, s[6:7]
	v_mov_b32_e32 v8, v1
	v_mov_b32_e32 v7, v0
	s_waitcnt vmcnt(1)
	v_and_b32_e32 v0, v5, v7
	s_waitcnt vmcnt(0)
	v_mad_u64_u32 v[0:1], s[24:25], v0, 24, v[9:10]
	v_and_b32_e32 v5, v6, v8
	v_mad_u64_u32 v[5:6], s[24:25], v5, 24, v[1:2]
	v_mov_b32_e32 v1, v5
	global_load_dwordx2 v[5:6], v[0:1], off glc
	s_waitcnt vmcnt(0)
	global_atomic_cmpswap_x2 v[0:1], v4, v[5:8], s[6:7] offset:24 glc
	s_waitcnt vmcnt(0)
	buffer_wbinvl1_vol
	v_cmp_eq_u64_e32 vcc, v[0:1], v[7:8]
	s_or_b64 s[22:23], vcc, s[22:23]
	s_andn2_b64 exec, exec, s[22:23]
	s_cbranch_execnz .LBB8_1139
; %bb.1140:
	s_or_b64 exec, exec, s[22:23]
.LBB8_1141:
	s_or_b64 exec, exec, s[20:21]
.LBB8_1142:
	s_or_b64 exec, exec, s[18:19]
	v_mov_b32_e32 v5, 0
	global_load_dwordx2 v[10:11], v5, s[6:7] offset:40
	global_load_dwordx4 v[6:9], v5, s[6:7]
	v_readfirstlane_b32 s18, v0
	v_readfirstlane_b32 s19, v1
	s_mov_b64 s[20:21], exec
	s_waitcnt vmcnt(1)
	v_readfirstlane_b32 s22, v10
	v_readfirstlane_b32 s23, v11
	s_and_b64 s[22:23], s[18:19], s[22:23]
	s_mul_i32 s15, s23, 24
	s_mul_hi_u32 s24, s22, 24
	s_mul_i32 s25, s22, 24
	s_add_i32 s15, s24, s15
	v_mov_b32_e32 v0, s15
	s_waitcnt vmcnt(0)
	v_add_co_u32_e32 v10, vcc, s25, v6
	v_addc_co_u32_e32 v11, vcc, v7, v0, vcc
	s_and_saveexec_b64 s[24:25], s[4:5]
	s_cbranch_execz .LBB8_1144
; %bb.1143:
	v_mov_b32_e32 v12, s20
	v_mov_b32_e32 v13, s21
	;; [unrolled: 1-line block ×4, first 2 shown]
	global_store_dwordx4 v[10:11], v[12:15], off offset:8
.LBB8_1144:
	s_or_b64 exec, exec, s[24:25]
	s_lshl_b64 s[20:21], s[22:23], 12
	v_mov_b32_e32 v0, s21
	v_add_co_u32_e32 v1, vcc, s20, v8
	v_addc_co_u32_e32 v0, vcc, v9, v0, vcc
	s_movk_i32 s15, 0xff1d
	v_and_or_b32 v2, v2, s15, 34
	s_mov_b32 s20, 0
	v_mov_b32_e32 v4, 58
	v_readfirstlane_b32 s24, v1
	v_readfirstlane_b32 s25, v0
	s_mov_b32 s21, s20
	s_mov_b32 s22, s20
	;; [unrolled: 1-line block ×3, first 2 shown]
	s_nop 1
	global_store_dwordx4 v31, v[2:5], s[24:25]
	v_mov_b32_e32 v0, s20
	v_mov_b32_e32 v1, s21
	;; [unrolled: 1-line block ×4, first 2 shown]
	global_store_dwordx4 v31, v[0:3], s[24:25] offset:16
	global_store_dwordx4 v31, v[0:3], s[24:25] offset:32
	;; [unrolled: 1-line block ×3, first 2 shown]
	s_and_saveexec_b64 s[20:21], s[4:5]
	s_cbranch_execz .LBB8_1152
; %bb.1145:
	v_mov_b32_e32 v8, 0
	global_load_dwordx2 v[14:15], v8, s[6:7] offset:32 glc
	global_load_dwordx2 v[0:1], v8, s[6:7] offset:40
	v_mov_b32_e32 v12, s18
	v_mov_b32_e32 v13, s19
	s_waitcnt vmcnt(0)
	v_readfirstlane_b32 s22, v0
	v_readfirstlane_b32 s23, v1
	s_and_b64 s[22:23], s[22:23], s[18:19]
	s_mul_i32 s15, s23, 24
	s_mul_hi_u32 s23, s22, 24
	s_mul_i32 s22, s22, 24
	s_add_i32 s15, s23, s15
	v_mov_b32_e32 v0, s15
	v_add_co_u32_e32 v4, vcc, s22, v6
	v_addc_co_u32_e32 v5, vcc, v7, v0, vcc
	global_store_dwordx2 v[4:5], v[14:15], off
	s_waitcnt vmcnt(0)
	global_atomic_cmpswap_x2 v[2:3], v8, v[12:15], s[6:7] offset:32 glc
	s_waitcnt vmcnt(0)
	v_cmp_ne_u64_e32 vcc, v[2:3], v[14:15]
	s_and_saveexec_b64 s[22:23], vcc
	s_cbranch_execz .LBB8_1148
; %bb.1146:
	s_mov_b64 s[24:25], 0
.LBB8_1147:                             ; =>This Inner Loop Header: Depth=1
	s_sleep 1
	global_store_dwordx2 v[4:5], v[2:3], off
	v_mov_b32_e32 v0, s18
	v_mov_b32_e32 v1, s19
	s_waitcnt vmcnt(0)
	global_atomic_cmpswap_x2 v[0:1], v8, v[0:3], s[6:7] offset:32 glc
	s_waitcnt vmcnt(0)
	v_cmp_eq_u64_e32 vcc, v[0:1], v[2:3]
	v_mov_b32_e32 v3, v1
	s_or_b64 s[24:25], vcc, s[24:25]
	v_mov_b32_e32 v2, v0
	s_andn2_b64 exec, exec, s[24:25]
	s_cbranch_execnz .LBB8_1147
.LBB8_1148:
	s_or_b64 exec, exec, s[22:23]
	v_mov_b32_e32 v3, 0
	global_load_dwordx2 v[0:1], v3, s[6:7] offset:16
	s_mov_b64 s[22:23], exec
	v_mbcnt_lo_u32_b32 v2, s22, 0
	v_mbcnt_hi_u32_b32 v2, s23, v2
	v_cmp_eq_u32_e32 vcc, 0, v2
	s_and_saveexec_b64 s[24:25], vcc
	s_cbranch_execz .LBB8_1150
; %bb.1149:
	s_bcnt1_i32_b64 s15, s[22:23]
	v_mov_b32_e32 v2, s15
	s_waitcnt vmcnt(0)
	global_atomic_add_x2 v[0:1], v[2:3], off offset:8
.LBB8_1150:
	s_or_b64 exec, exec, s[24:25]
	s_waitcnt vmcnt(0)
	global_load_dwordx2 v[2:3], v[0:1], off offset:16
	s_waitcnt vmcnt(0)
	v_cmp_eq_u64_e32 vcc, 0, v[2:3]
	s_cbranch_vccnz .LBB8_1152
; %bb.1151:
	global_load_dword v0, v[0:1], off offset:24
	v_mov_b32_e32 v1, 0
	s_waitcnt vmcnt(0)
	global_store_dwordx2 v[2:3], v[0:1], off
	v_and_b32_e32 v0, 0xffffff, v0
	v_readfirstlane_b32 m0, v0
	s_sendmsg sendmsg(MSG_INTERRUPT)
.LBB8_1152:
	s_or_b64 exec, exec, s[20:21]
	s_branch .LBB8_1156
.LBB8_1153:                             ;   in Loop: Header=BB8_1156 Depth=1
	s_or_b64 exec, exec, s[20:21]
	v_readfirstlane_b32 s15, v0
	s_cmp_eq_u32 s15, 0
	s_cbranch_scc1 .LBB8_1155
; %bb.1154:                             ;   in Loop: Header=BB8_1156 Depth=1
	s_sleep 1
	s_cbranch_execnz .LBB8_1156
	s_branch .LBB8_1158
.LBB8_1155:
	s_branch .LBB8_1158
.LBB8_1156:                             ; =>This Inner Loop Header: Depth=1
	v_mov_b32_e32 v0, 1
	s_and_saveexec_b64 s[20:21], s[4:5]
	s_cbranch_execz .LBB8_1153
; %bb.1157:                             ;   in Loop: Header=BB8_1156 Depth=1
	global_load_dword v0, v[10:11], off offset:20 glc
	s_waitcnt vmcnt(0)
	buffer_wbinvl1_vol
	v_and_b32_e32 v0, 1, v0
	s_branch .LBB8_1153
.LBB8_1158:
	s_and_saveexec_b64 s[20:21], s[4:5]
	s_cbranch_execz .LBB8_1161
; %bb.1159:
	v_mov_b32_e32 v6, 0
	global_load_dwordx2 v[2:3], v6, s[6:7] offset:40
	global_load_dwordx2 v[7:8], v6, s[6:7] offset:24 glc
	global_load_dwordx2 v[4:5], v6, s[6:7]
	v_mov_b32_e32 v1, s19
	s_mov_b64 s[4:5], 0
	s_waitcnt vmcnt(2)
	v_add_co_u32_e32 v9, vcc, 1, v2
	v_addc_co_u32_e32 v10, vcc, 0, v3, vcc
	v_add_co_u32_e32 v0, vcc, s18, v9
	v_addc_co_u32_e32 v1, vcc, v10, v1, vcc
	v_cmp_eq_u64_e32 vcc, 0, v[0:1]
	v_cndmask_b32_e32 v1, v1, v10, vcc
	v_cndmask_b32_e32 v0, v0, v9, vcc
	v_and_b32_e32 v3, v1, v3
	v_and_b32_e32 v2, v0, v2
	v_mul_lo_u32 v3, v3, 24
	v_mul_hi_u32 v9, v2, 24
	v_mul_lo_u32 v10, v2, 24
	s_waitcnt vmcnt(1)
	v_mov_b32_e32 v2, v7
	v_add_u32_e32 v3, v9, v3
	s_waitcnt vmcnt(0)
	v_add_co_u32_e32 v4, vcc, v4, v10
	v_addc_co_u32_e32 v5, vcc, v5, v3, vcc
	global_store_dwordx2 v[4:5], v[7:8], off
	v_mov_b32_e32 v3, v8
	s_waitcnt vmcnt(0)
	global_atomic_cmpswap_x2 v[2:3], v6, v[0:3], s[6:7] offset:24 glc
	s_waitcnt vmcnt(0)
	v_cmp_ne_u64_e32 vcc, v[2:3], v[7:8]
	s_and_b64 exec, exec, vcc
	s_cbranch_execz .LBB8_1161
.LBB8_1160:                             ; =>This Inner Loop Header: Depth=1
	s_sleep 1
	global_store_dwordx2 v[4:5], v[2:3], off
	s_waitcnt vmcnt(0)
	global_atomic_cmpswap_x2 v[7:8], v6, v[0:3], s[6:7] offset:24 glc
	s_waitcnt vmcnt(0)
	v_cmp_eq_u64_e32 vcc, v[7:8], v[2:3]
	v_mov_b32_e32 v2, v7
	s_or_b64 s[4:5], vcc, s[4:5]
	v_mov_b32_e32 v3, v8
	s_andn2_b64 exec, exec, s[4:5]
	s_cbranch_execnz .LBB8_1160
.LBB8_1161:
	s_or_b64 exec, exec, s[20:21]
	v_readfirstlane_b32 s4, v32
	v_mov_b32_e32 v5, 0
	v_mov_b32_e32 v6, 0
	v_cmp_eq_u32_e64 s[4:5], s4, v32
	s_and_saveexec_b64 s[18:19], s[4:5]
	s_cbranch_execz .LBB8_1167
; %bb.1162:
	v_mov_b32_e32 v0, 0
	global_load_dwordx2 v[3:4], v0, s[6:7] offset:24 glc
	s_waitcnt vmcnt(0)
	buffer_wbinvl1_vol
	global_load_dwordx2 v[1:2], v0, s[6:7] offset:40
	global_load_dwordx2 v[5:6], v0, s[6:7]
	s_waitcnt vmcnt(1)
	v_and_b32_e32 v1, v1, v3
	v_and_b32_e32 v2, v2, v4
	v_mul_lo_u32 v2, v2, 24
	v_mul_hi_u32 v7, v1, 24
	v_mul_lo_u32 v1, v1, 24
	v_add_u32_e32 v2, v7, v2
	s_waitcnt vmcnt(0)
	v_add_co_u32_e32 v1, vcc, v5, v1
	v_addc_co_u32_e32 v2, vcc, v6, v2, vcc
	global_load_dwordx2 v[1:2], v[1:2], off glc
	s_waitcnt vmcnt(0)
	global_atomic_cmpswap_x2 v[5:6], v0, v[1:4], s[6:7] offset:24 glc
	s_waitcnt vmcnt(0)
	buffer_wbinvl1_vol
	v_cmp_ne_u64_e32 vcc, v[5:6], v[3:4]
	s_and_saveexec_b64 s[20:21], vcc
	s_cbranch_execz .LBB8_1166
; %bb.1163:
	s_mov_b64 s[22:23], 0
.LBB8_1164:                             ; =>This Inner Loop Header: Depth=1
	s_sleep 1
	global_load_dwordx2 v[1:2], v0, s[6:7] offset:40
	global_load_dwordx2 v[7:8], v0, s[6:7]
	v_mov_b32_e32 v3, v5
	v_mov_b32_e32 v4, v6
	s_waitcnt vmcnt(1)
	v_and_b32_e32 v1, v1, v3
	s_waitcnt vmcnt(0)
	v_mad_u64_u32 v[5:6], s[24:25], v1, 24, v[7:8]
	v_and_b32_e32 v2, v2, v4
	v_mov_b32_e32 v1, v6
	v_mad_u64_u32 v[1:2], s[24:25], v2, 24, v[1:2]
	v_mov_b32_e32 v6, v1
	global_load_dwordx2 v[1:2], v[5:6], off glc
	s_waitcnt vmcnt(0)
	global_atomic_cmpswap_x2 v[5:6], v0, v[1:4], s[6:7] offset:24 glc
	s_waitcnt vmcnt(0)
	buffer_wbinvl1_vol
	v_cmp_eq_u64_e32 vcc, v[5:6], v[3:4]
	s_or_b64 s[22:23], vcc, s[22:23]
	s_andn2_b64 exec, exec, s[22:23]
	s_cbranch_execnz .LBB8_1164
; %bb.1165:
	s_or_b64 exec, exec, s[22:23]
.LBB8_1166:
	s_or_b64 exec, exec, s[20:21]
.LBB8_1167:
	s_or_b64 exec, exec, s[18:19]
	v_mov_b32_e32 v4, 0
	global_load_dwordx2 v[7:8], v4, s[6:7] offset:40
	global_load_dwordx4 v[0:3], v4, s[6:7]
	v_readfirstlane_b32 s18, v5
	v_readfirstlane_b32 s19, v6
	s_mov_b64 s[20:21], exec
	s_waitcnt vmcnt(1)
	v_readfirstlane_b32 s22, v7
	v_readfirstlane_b32 s23, v8
	s_and_b64 s[22:23], s[18:19], s[22:23]
	s_mul_i32 s15, s23, 24
	s_mul_hi_u32 s24, s22, 24
	s_mul_i32 s25, s22, 24
	s_add_i32 s15, s24, s15
	v_mov_b32_e32 v5, s15
	s_waitcnt vmcnt(0)
	v_add_co_u32_e32 v7, vcc, s25, v0
	v_addc_co_u32_e32 v8, vcc, v1, v5, vcc
	s_and_saveexec_b64 s[24:25], s[4:5]
	s_cbranch_execz .LBB8_1169
; %bb.1168:
	v_mov_b32_e32 v9, s20
	v_mov_b32_e32 v10, s21
	;; [unrolled: 1-line block ×4, first 2 shown]
	global_store_dwordx4 v[7:8], v[9:12], off offset:8
.LBB8_1169:
	s_or_b64 exec, exec, s[24:25]
	s_lshl_b64 s[20:21], s[22:23], 12
	v_mov_b32_e32 v5, s21
	v_add_co_u32_e32 v2, vcc, s20, v2
	v_addc_co_u32_e32 v11, vcc, v3, v5, vcc
	s_mov_b32 s20, 0
	v_mov_b32_e32 v3, 33
	v_mov_b32_e32 v5, v4
	v_mov_b32_e32 v6, v4
	v_readfirstlane_b32 s24, v2
	v_readfirstlane_b32 s25, v11
	v_add_co_u32_e32 v9, vcc, v2, v31
	s_mov_b32 s21, s20
	s_mov_b32 s22, s20
	;; [unrolled: 1-line block ×3, first 2 shown]
	s_nop 0
	global_store_dwordx4 v31, v[3:6], s[24:25]
	v_mov_b32_e32 v2, s20
	v_addc_co_u32_e32 v10, vcc, 0, v11, vcc
	v_mov_b32_e32 v3, s21
	v_mov_b32_e32 v4, s22
	;; [unrolled: 1-line block ×3, first 2 shown]
	global_store_dwordx4 v31, v[2:5], s[24:25] offset:16
	global_store_dwordx4 v31, v[2:5], s[24:25] offset:32
	;; [unrolled: 1-line block ×3, first 2 shown]
	s_and_saveexec_b64 s[20:21], s[4:5]
	s_cbranch_execz .LBB8_1177
; %bb.1170:
	v_mov_b32_e32 v6, 0
	global_load_dwordx2 v[13:14], v6, s[6:7] offset:32 glc
	global_load_dwordx2 v[2:3], v6, s[6:7] offset:40
	v_mov_b32_e32 v11, s18
	v_mov_b32_e32 v12, s19
	s_waitcnt vmcnt(0)
	v_readfirstlane_b32 s22, v2
	v_readfirstlane_b32 s23, v3
	s_and_b64 s[22:23], s[22:23], s[18:19]
	s_mul_i32 s15, s23, 24
	s_mul_hi_u32 s23, s22, 24
	s_mul_i32 s22, s22, 24
	s_add_i32 s15, s23, s15
	v_mov_b32_e32 v2, s15
	v_add_co_u32_e32 v4, vcc, s22, v0
	v_addc_co_u32_e32 v5, vcc, v1, v2, vcc
	global_store_dwordx2 v[4:5], v[13:14], off
	s_waitcnt vmcnt(0)
	global_atomic_cmpswap_x2 v[2:3], v6, v[11:14], s[6:7] offset:32 glc
	s_waitcnt vmcnt(0)
	v_cmp_ne_u64_e32 vcc, v[2:3], v[13:14]
	s_and_saveexec_b64 s[22:23], vcc
	s_cbranch_execz .LBB8_1173
; %bb.1171:
	s_mov_b64 s[24:25], 0
.LBB8_1172:                             ; =>This Inner Loop Header: Depth=1
	s_sleep 1
	global_store_dwordx2 v[4:5], v[2:3], off
	v_mov_b32_e32 v0, s18
	v_mov_b32_e32 v1, s19
	s_waitcnt vmcnt(0)
	global_atomic_cmpswap_x2 v[0:1], v6, v[0:3], s[6:7] offset:32 glc
	s_waitcnt vmcnt(0)
	v_cmp_eq_u64_e32 vcc, v[0:1], v[2:3]
	v_mov_b32_e32 v3, v1
	s_or_b64 s[24:25], vcc, s[24:25]
	v_mov_b32_e32 v2, v0
	s_andn2_b64 exec, exec, s[24:25]
	s_cbranch_execnz .LBB8_1172
.LBB8_1173:
	s_or_b64 exec, exec, s[22:23]
	v_mov_b32_e32 v3, 0
	global_load_dwordx2 v[0:1], v3, s[6:7] offset:16
	s_mov_b64 s[22:23], exec
	v_mbcnt_lo_u32_b32 v2, s22, 0
	v_mbcnt_hi_u32_b32 v2, s23, v2
	v_cmp_eq_u32_e32 vcc, 0, v2
	s_and_saveexec_b64 s[24:25], vcc
	s_cbranch_execz .LBB8_1175
; %bb.1174:
	s_bcnt1_i32_b64 s15, s[22:23]
	v_mov_b32_e32 v2, s15
	s_waitcnt vmcnt(0)
	global_atomic_add_x2 v[0:1], v[2:3], off offset:8
.LBB8_1175:
	s_or_b64 exec, exec, s[24:25]
	s_waitcnt vmcnt(0)
	global_load_dwordx2 v[2:3], v[0:1], off offset:16
	s_waitcnt vmcnt(0)
	v_cmp_eq_u64_e32 vcc, 0, v[2:3]
	s_cbranch_vccnz .LBB8_1177
; %bb.1176:
	global_load_dword v0, v[0:1], off offset:24
	v_mov_b32_e32 v1, 0
	s_waitcnt vmcnt(0)
	global_store_dwordx2 v[2:3], v[0:1], off
	v_and_b32_e32 v0, 0xffffff, v0
	v_readfirstlane_b32 m0, v0
	s_sendmsg sendmsg(MSG_INTERRUPT)
.LBB8_1177:
	s_or_b64 exec, exec, s[20:21]
	s_branch .LBB8_1181
.LBB8_1178:                             ;   in Loop: Header=BB8_1181 Depth=1
	s_or_b64 exec, exec, s[20:21]
	v_readfirstlane_b32 s15, v0
	s_cmp_eq_u32 s15, 0
	s_cbranch_scc1 .LBB8_1180
; %bb.1179:                             ;   in Loop: Header=BB8_1181 Depth=1
	s_sleep 1
	s_cbranch_execnz .LBB8_1181
	s_branch .LBB8_1183
.LBB8_1180:
	s_branch .LBB8_1183
.LBB8_1181:                             ; =>This Inner Loop Header: Depth=1
	v_mov_b32_e32 v0, 1
	s_and_saveexec_b64 s[20:21], s[4:5]
	s_cbranch_execz .LBB8_1178
; %bb.1182:                             ;   in Loop: Header=BB8_1181 Depth=1
	global_load_dword v0, v[7:8], off offset:20 glc
	s_waitcnt vmcnt(0)
	buffer_wbinvl1_vol
	v_and_b32_e32 v0, 1, v0
	s_branch .LBB8_1178
.LBB8_1183:
	global_load_dwordx2 v[0:1], v[9:10], off
	s_and_saveexec_b64 s[20:21], s[4:5]
	s_cbranch_execz .LBB8_1186
; %bb.1184:
	v_mov_b32_e32 v8, 0
	global_load_dwordx2 v[4:5], v8, s[6:7] offset:40
	global_load_dwordx2 v[9:10], v8, s[6:7] offset:24 glc
	global_load_dwordx2 v[6:7], v8, s[6:7]
	v_mov_b32_e32 v3, s19
	s_mov_b64 s[4:5], 0
	s_waitcnt vmcnt(2)
	v_add_co_u32_e32 v11, vcc, 1, v4
	v_addc_co_u32_e32 v12, vcc, 0, v5, vcc
	v_add_co_u32_e32 v2, vcc, s18, v11
	v_addc_co_u32_e32 v3, vcc, v12, v3, vcc
	v_cmp_eq_u64_e32 vcc, 0, v[2:3]
	v_cndmask_b32_e32 v3, v3, v12, vcc
	v_cndmask_b32_e32 v2, v2, v11, vcc
	v_and_b32_e32 v5, v3, v5
	v_and_b32_e32 v4, v2, v4
	v_mul_lo_u32 v5, v5, 24
	v_mul_hi_u32 v11, v4, 24
	v_mul_lo_u32 v12, v4, 24
	s_waitcnt vmcnt(1)
	v_mov_b32_e32 v4, v9
	v_add_u32_e32 v5, v11, v5
	s_waitcnt vmcnt(0)
	v_add_co_u32_e32 v6, vcc, v6, v12
	v_addc_co_u32_e32 v7, vcc, v7, v5, vcc
	global_store_dwordx2 v[6:7], v[9:10], off
	v_mov_b32_e32 v5, v10
	s_waitcnt vmcnt(0)
	global_atomic_cmpswap_x2 v[4:5], v8, v[2:5], s[6:7] offset:24 glc
	s_waitcnt vmcnt(0)
	v_cmp_ne_u64_e32 vcc, v[4:5], v[9:10]
	s_and_b64 exec, exec, vcc
	s_cbranch_execz .LBB8_1186
.LBB8_1185:                             ; =>This Inner Loop Header: Depth=1
	s_sleep 1
	global_store_dwordx2 v[6:7], v[4:5], off
	s_waitcnt vmcnt(0)
	global_atomic_cmpswap_x2 v[9:10], v8, v[2:5], s[6:7] offset:24 glc
	s_waitcnt vmcnt(0)
	v_cmp_eq_u64_e32 vcc, v[9:10], v[4:5]
	v_mov_b32_e32 v4, v9
	s_or_b64 s[4:5], vcc, s[4:5]
	v_mov_b32_e32 v5, v10
	s_andn2_b64 exec, exec, s[4:5]
	s_cbranch_execnz .LBB8_1185
.LBB8_1186:
	s_or_b64 exec, exec, s[20:21]
	s_and_b64 vcc, exec, s[16:17]
	s_cbranch_vccz .LBB8_1271
; %bb.1187:
	s_waitcnt vmcnt(0)
	v_and_b32_e32 v33, 2, v0
	v_mov_b32_e32 v28, 0
	v_and_b32_e32 v2, -3, v0
	v_mov_b32_e32 v3, v1
	s_mov_b64 s[18:19], 3
	v_mov_b32_e32 v6, 2
	v_mov_b32_e32 v7, 1
	s_getpc_b64 s[16:17]
	s_add_u32 s16, s16, .str.6@rel32@lo+4
	s_addc_u32 s17, s17, .str.6@rel32@hi+12
	s_branch .LBB8_1189
.LBB8_1188:                             ;   in Loop: Header=BB8_1189 Depth=1
	s_or_b64 exec, exec, s[24:25]
	s_sub_u32 s18, s18, s20
	s_subb_u32 s19, s19, s21
	s_add_u32 s16, s16, s20
	s_addc_u32 s17, s17, s21
	s_cmp_lg_u64 s[18:19], 0
	s_cbranch_scc0 .LBB8_1270
.LBB8_1189:                             ; =>This Loop Header: Depth=1
                                        ;     Child Loop BB8_1192 Depth 2
                                        ;     Child Loop BB8_1199 Depth 2
	;; [unrolled: 1-line block ×11, first 2 shown]
	v_cmp_lt_u64_e64 s[4:5], s[18:19], 56
	v_cmp_gt_u64_e64 s[22:23], s[18:19], 7
	s_and_b64 s[4:5], s[4:5], exec
	s_cselect_b32 s21, s19, 0
	s_cselect_b32 s20, s18, 56
	s_and_b64 vcc, exec, s[22:23]
	s_cbranch_vccnz .LBB8_1194
; %bb.1190:                             ;   in Loop: Header=BB8_1189 Depth=1
	v_mov_b32_e32 v10, 0
	s_cmp_eq_u64 s[18:19], 0
	v_mov_b32_e32 v11, 0
	s_mov_b64 s[4:5], 0
	s_cbranch_scc1 .LBB8_1193
; %bb.1191:                             ;   in Loop: Header=BB8_1189 Depth=1
	v_mov_b32_e32 v10, 0
	s_lshl_b64 s[22:23], s[20:21], 3
	s_mov_b64 s[24:25], 0
	v_mov_b32_e32 v11, 0
	s_mov_b64 s[26:27], s[16:17]
.LBB8_1192:                             ;   Parent Loop BB8_1189 Depth=1
                                        ; =>  This Inner Loop Header: Depth=2
	global_load_ubyte v4, v28, s[26:27]
	s_waitcnt vmcnt(0)
	v_and_b32_e32 v27, 0xffff, v4
	v_lshlrev_b64 v[4:5], s24, v[27:28]
	s_add_u32 s24, s24, 8
	s_addc_u32 s25, s25, 0
	s_add_u32 s26, s26, 1
	s_addc_u32 s27, s27, 0
	v_or_b32_e32 v10, v4, v10
	s_cmp_lg_u32 s22, s24
	v_or_b32_e32 v11, v5, v11
	s_cbranch_scc1 .LBB8_1192
.LBB8_1193:                             ;   in Loop: Header=BB8_1189 Depth=1
	s_mov_b32 s15, 0
	s_andn2_b64 vcc, exec, s[4:5]
	s_mov_b64 s[4:5], s[16:17]
	s_cbranch_vccz .LBB8_1195
	s_branch .LBB8_1196
.LBB8_1194:                             ;   in Loop: Header=BB8_1189 Depth=1
                                        ; implicit-def: $vgpr10_vgpr11
                                        ; implicit-def: $sgpr15
	s_mov_b64 s[4:5], s[16:17]
.LBB8_1195:                             ;   in Loop: Header=BB8_1189 Depth=1
	global_load_dwordx2 v[10:11], v28, s[16:17]
	s_add_i32 s15, s20, -8
	s_add_u32 s4, s16, 8
	s_addc_u32 s5, s17, 0
.LBB8_1196:                             ;   in Loop: Header=BB8_1189 Depth=1
	s_cmp_gt_u32 s15, 7
	s_cbranch_scc1 .LBB8_1200
; %bb.1197:                             ;   in Loop: Header=BB8_1189 Depth=1
	s_cmp_eq_u32 s15, 0
	s_cbranch_scc1 .LBB8_1201
; %bb.1198:                             ;   in Loop: Header=BB8_1189 Depth=1
	v_mov_b32_e32 v12, 0
	s_mov_b64 s[22:23], 0
	v_mov_b32_e32 v13, 0
	s_mov_b64 s[24:25], 0
.LBB8_1199:                             ;   Parent Loop BB8_1189 Depth=1
                                        ; =>  This Inner Loop Header: Depth=2
	s_add_u32 s26, s4, s24
	s_addc_u32 s27, s5, s25
	global_load_ubyte v4, v28, s[26:27]
	s_add_u32 s24, s24, 1
	s_addc_u32 s25, s25, 0
	s_waitcnt vmcnt(0)
	v_and_b32_e32 v27, 0xffff, v4
	v_lshlrev_b64 v[4:5], s22, v[27:28]
	s_add_u32 s22, s22, 8
	s_addc_u32 s23, s23, 0
	v_or_b32_e32 v12, v4, v12
	s_cmp_lg_u32 s15, s24
	v_or_b32_e32 v13, v5, v13
	s_cbranch_scc1 .LBB8_1199
	s_branch .LBB8_1202
.LBB8_1200:                             ;   in Loop: Header=BB8_1189 Depth=1
                                        ; implicit-def: $vgpr12_vgpr13
                                        ; implicit-def: $sgpr26
	s_branch .LBB8_1203
.LBB8_1201:                             ;   in Loop: Header=BB8_1189 Depth=1
	v_mov_b32_e32 v12, 0
	v_mov_b32_e32 v13, 0
.LBB8_1202:                             ;   in Loop: Header=BB8_1189 Depth=1
	s_mov_b32 s26, 0
	s_cbranch_execnz .LBB8_1204
.LBB8_1203:                             ;   in Loop: Header=BB8_1189 Depth=1
	global_load_dwordx2 v[12:13], v28, s[4:5]
	s_add_i32 s26, s15, -8
	s_add_u32 s4, s4, 8
	s_addc_u32 s5, s5, 0
.LBB8_1204:                             ;   in Loop: Header=BB8_1189 Depth=1
	s_cmp_gt_u32 s26, 7
	s_cbranch_scc1 .LBB8_1208
; %bb.1205:                             ;   in Loop: Header=BB8_1189 Depth=1
	s_cmp_eq_u32 s26, 0
	s_cbranch_scc1 .LBB8_1209
; %bb.1206:                             ;   in Loop: Header=BB8_1189 Depth=1
	v_mov_b32_e32 v14, 0
	s_mov_b64 s[22:23], 0
	v_mov_b32_e32 v15, 0
	s_mov_b64 s[24:25], 0
.LBB8_1207:                             ;   Parent Loop BB8_1189 Depth=1
                                        ; =>  This Inner Loop Header: Depth=2
	s_add_u32 s28, s4, s24
	s_addc_u32 s29, s5, s25
	global_load_ubyte v4, v28, s[28:29]
	s_add_u32 s24, s24, 1
	s_addc_u32 s25, s25, 0
	s_waitcnt vmcnt(0)
	v_and_b32_e32 v27, 0xffff, v4
	v_lshlrev_b64 v[4:5], s22, v[27:28]
	s_add_u32 s22, s22, 8
	s_addc_u32 s23, s23, 0
	v_or_b32_e32 v14, v4, v14
	s_cmp_lg_u32 s26, s24
	v_or_b32_e32 v15, v5, v15
	s_cbranch_scc1 .LBB8_1207
	s_branch .LBB8_1210
.LBB8_1208:                             ;   in Loop: Header=BB8_1189 Depth=1
                                        ; implicit-def: $sgpr15
	s_branch .LBB8_1211
.LBB8_1209:                             ;   in Loop: Header=BB8_1189 Depth=1
	v_mov_b32_e32 v14, 0
	v_mov_b32_e32 v15, 0
.LBB8_1210:                             ;   in Loop: Header=BB8_1189 Depth=1
	s_mov_b32 s15, 0
	s_cbranch_execnz .LBB8_1212
.LBB8_1211:                             ;   in Loop: Header=BB8_1189 Depth=1
	global_load_dwordx2 v[14:15], v28, s[4:5]
	s_add_i32 s15, s26, -8
	s_add_u32 s4, s4, 8
	s_addc_u32 s5, s5, 0
.LBB8_1212:                             ;   in Loop: Header=BB8_1189 Depth=1
	s_cmp_gt_u32 s15, 7
	s_cbranch_scc1 .LBB8_1216
; %bb.1213:                             ;   in Loop: Header=BB8_1189 Depth=1
	s_cmp_eq_u32 s15, 0
	s_cbranch_scc1 .LBB8_1217
; %bb.1214:                             ;   in Loop: Header=BB8_1189 Depth=1
	v_mov_b32_e32 v16, 0
	s_mov_b64 s[22:23], 0
	v_mov_b32_e32 v17, 0
	s_mov_b64 s[24:25], 0
.LBB8_1215:                             ;   Parent Loop BB8_1189 Depth=1
                                        ; =>  This Inner Loop Header: Depth=2
	s_add_u32 s26, s4, s24
	s_addc_u32 s27, s5, s25
	global_load_ubyte v4, v28, s[26:27]
	s_add_u32 s24, s24, 1
	s_addc_u32 s25, s25, 0
	s_waitcnt vmcnt(0)
	v_and_b32_e32 v27, 0xffff, v4
	v_lshlrev_b64 v[4:5], s22, v[27:28]
	s_add_u32 s22, s22, 8
	s_addc_u32 s23, s23, 0
	v_or_b32_e32 v16, v4, v16
	s_cmp_lg_u32 s15, s24
	v_or_b32_e32 v17, v5, v17
	s_cbranch_scc1 .LBB8_1215
	s_branch .LBB8_1218
.LBB8_1216:                             ;   in Loop: Header=BB8_1189 Depth=1
                                        ; implicit-def: $vgpr16_vgpr17
                                        ; implicit-def: $sgpr26
	s_branch .LBB8_1219
.LBB8_1217:                             ;   in Loop: Header=BB8_1189 Depth=1
	v_mov_b32_e32 v16, 0
	v_mov_b32_e32 v17, 0
.LBB8_1218:                             ;   in Loop: Header=BB8_1189 Depth=1
	s_mov_b32 s26, 0
	s_cbranch_execnz .LBB8_1220
.LBB8_1219:                             ;   in Loop: Header=BB8_1189 Depth=1
	global_load_dwordx2 v[16:17], v28, s[4:5]
	s_add_i32 s26, s15, -8
	s_add_u32 s4, s4, 8
	s_addc_u32 s5, s5, 0
.LBB8_1220:                             ;   in Loop: Header=BB8_1189 Depth=1
	s_cmp_gt_u32 s26, 7
	s_cbranch_scc1 .LBB8_1224
; %bb.1221:                             ;   in Loop: Header=BB8_1189 Depth=1
	s_cmp_eq_u32 s26, 0
	s_cbranch_scc1 .LBB8_1225
; %bb.1222:                             ;   in Loop: Header=BB8_1189 Depth=1
	v_mov_b32_e32 v18, 0
	s_mov_b64 s[22:23], 0
	v_mov_b32_e32 v19, 0
	s_mov_b64 s[24:25], 0
.LBB8_1223:                             ;   Parent Loop BB8_1189 Depth=1
                                        ; =>  This Inner Loop Header: Depth=2
	s_add_u32 s28, s4, s24
	s_addc_u32 s29, s5, s25
	global_load_ubyte v4, v28, s[28:29]
	s_add_u32 s24, s24, 1
	s_addc_u32 s25, s25, 0
	s_waitcnt vmcnt(0)
	v_and_b32_e32 v27, 0xffff, v4
	v_lshlrev_b64 v[4:5], s22, v[27:28]
	s_add_u32 s22, s22, 8
	s_addc_u32 s23, s23, 0
	v_or_b32_e32 v18, v4, v18
	s_cmp_lg_u32 s26, s24
	v_or_b32_e32 v19, v5, v19
	s_cbranch_scc1 .LBB8_1223
	s_branch .LBB8_1226
.LBB8_1224:                             ;   in Loop: Header=BB8_1189 Depth=1
                                        ; implicit-def: $sgpr15
	s_branch .LBB8_1227
.LBB8_1225:                             ;   in Loop: Header=BB8_1189 Depth=1
	v_mov_b32_e32 v18, 0
	v_mov_b32_e32 v19, 0
.LBB8_1226:                             ;   in Loop: Header=BB8_1189 Depth=1
	s_mov_b32 s15, 0
	s_cbranch_execnz .LBB8_1228
.LBB8_1227:                             ;   in Loop: Header=BB8_1189 Depth=1
	global_load_dwordx2 v[18:19], v28, s[4:5]
	s_add_i32 s15, s26, -8
	s_add_u32 s4, s4, 8
	s_addc_u32 s5, s5, 0
.LBB8_1228:                             ;   in Loop: Header=BB8_1189 Depth=1
	s_cmp_gt_u32 s15, 7
	s_cbranch_scc1 .LBB8_1232
; %bb.1229:                             ;   in Loop: Header=BB8_1189 Depth=1
	s_cmp_eq_u32 s15, 0
	s_cbranch_scc1 .LBB8_1233
; %bb.1230:                             ;   in Loop: Header=BB8_1189 Depth=1
	v_mov_b32_e32 v20, 0
	s_mov_b64 s[22:23], 0
	v_mov_b32_e32 v21, 0
	s_mov_b64 s[24:25], 0
.LBB8_1231:                             ;   Parent Loop BB8_1189 Depth=1
                                        ; =>  This Inner Loop Header: Depth=2
	s_add_u32 s26, s4, s24
	s_addc_u32 s27, s5, s25
	global_load_ubyte v4, v28, s[26:27]
	s_add_u32 s24, s24, 1
	s_addc_u32 s25, s25, 0
	s_waitcnt vmcnt(0)
	v_and_b32_e32 v27, 0xffff, v4
	v_lshlrev_b64 v[4:5], s22, v[27:28]
	s_add_u32 s22, s22, 8
	s_addc_u32 s23, s23, 0
	v_or_b32_e32 v20, v4, v20
	s_cmp_lg_u32 s15, s24
	v_or_b32_e32 v21, v5, v21
	s_cbranch_scc1 .LBB8_1231
	s_branch .LBB8_1234
.LBB8_1232:                             ;   in Loop: Header=BB8_1189 Depth=1
                                        ; implicit-def: $vgpr20_vgpr21
                                        ; implicit-def: $sgpr26
	s_branch .LBB8_1235
.LBB8_1233:                             ;   in Loop: Header=BB8_1189 Depth=1
	v_mov_b32_e32 v20, 0
	v_mov_b32_e32 v21, 0
.LBB8_1234:                             ;   in Loop: Header=BB8_1189 Depth=1
	s_mov_b32 s26, 0
	s_cbranch_execnz .LBB8_1236
.LBB8_1235:                             ;   in Loop: Header=BB8_1189 Depth=1
	global_load_dwordx2 v[20:21], v28, s[4:5]
	s_add_i32 s26, s15, -8
	s_add_u32 s4, s4, 8
	s_addc_u32 s5, s5, 0
.LBB8_1236:                             ;   in Loop: Header=BB8_1189 Depth=1
	s_cmp_gt_u32 s26, 7
	s_cbranch_scc1 .LBB8_1240
; %bb.1237:                             ;   in Loop: Header=BB8_1189 Depth=1
	s_cmp_eq_u32 s26, 0
	s_cbranch_scc1 .LBB8_1241
; %bb.1238:                             ;   in Loop: Header=BB8_1189 Depth=1
	v_mov_b32_e32 v22, 0
	s_mov_b64 s[22:23], 0
	v_mov_b32_e32 v23, 0
	s_mov_b64 s[24:25], s[4:5]
.LBB8_1239:                             ;   Parent Loop BB8_1189 Depth=1
                                        ; =>  This Inner Loop Header: Depth=2
	global_load_ubyte v4, v28, s[24:25]
	s_add_i32 s26, s26, -1
	s_waitcnt vmcnt(0)
	v_and_b32_e32 v27, 0xffff, v4
	v_lshlrev_b64 v[4:5], s22, v[27:28]
	s_add_u32 s22, s22, 8
	s_addc_u32 s23, s23, 0
	s_add_u32 s24, s24, 1
	s_addc_u32 s25, s25, 0
	v_or_b32_e32 v22, v4, v22
	s_cmp_lg_u32 s26, 0
	v_or_b32_e32 v23, v5, v23
	s_cbranch_scc1 .LBB8_1239
	s_branch .LBB8_1242
.LBB8_1240:                             ;   in Loop: Header=BB8_1189 Depth=1
	s_branch .LBB8_1243
.LBB8_1241:                             ;   in Loop: Header=BB8_1189 Depth=1
	v_mov_b32_e32 v22, 0
	v_mov_b32_e32 v23, 0
.LBB8_1242:                             ;   in Loop: Header=BB8_1189 Depth=1
	s_cbranch_execnz .LBB8_1244
.LBB8_1243:                             ;   in Loop: Header=BB8_1189 Depth=1
	global_load_dwordx2 v[22:23], v28, s[4:5]
.LBB8_1244:                             ;   in Loop: Header=BB8_1189 Depth=1
	v_readfirstlane_b32 s4, v32
	s_waitcnt vmcnt(0)
	v_mov_b32_e32 v4, 0
	v_mov_b32_e32 v5, 0
	v_cmp_eq_u32_e64 s[4:5], s4, v32
	s_and_saveexec_b64 s[22:23], s[4:5]
	s_cbranch_execz .LBB8_1250
; %bb.1245:                             ;   in Loop: Header=BB8_1189 Depth=1
	global_load_dwordx2 v[26:27], v28, s[6:7] offset:24 glc
	s_waitcnt vmcnt(0)
	buffer_wbinvl1_vol
	global_load_dwordx2 v[4:5], v28, s[6:7] offset:40
	global_load_dwordx2 v[8:9], v28, s[6:7]
	s_waitcnt vmcnt(1)
	v_and_b32_e32 v4, v4, v26
	v_and_b32_e32 v5, v5, v27
	v_mul_lo_u32 v5, v5, 24
	v_mul_hi_u32 v24, v4, 24
	v_mul_lo_u32 v4, v4, 24
	v_add_u32_e32 v5, v24, v5
	s_waitcnt vmcnt(0)
	v_add_co_u32_e32 v4, vcc, v8, v4
	v_addc_co_u32_e32 v5, vcc, v9, v5, vcc
	global_load_dwordx2 v[24:25], v[4:5], off glc
	s_waitcnt vmcnt(0)
	global_atomic_cmpswap_x2 v[4:5], v28, v[24:27], s[6:7] offset:24 glc
	s_waitcnt vmcnt(0)
	buffer_wbinvl1_vol
	v_cmp_ne_u64_e32 vcc, v[4:5], v[26:27]
	s_and_saveexec_b64 s[24:25], vcc
	s_cbranch_execz .LBB8_1249
; %bb.1246:                             ;   in Loop: Header=BB8_1189 Depth=1
	s_mov_b64 s[26:27], 0
.LBB8_1247:                             ;   Parent Loop BB8_1189 Depth=1
                                        ; =>  This Inner Loop Header: Depth=2
	s_sleep 1
	global_load_dwordx2 v[8:9], v28, s[6:7] offset:40
	global_load_dwordx2 v[24:25], v28, s[6:7]
	v_mov_b32_e32 v27, v5
	v_mov_b32_e32 v26, v4
	s_waitcnt vmcnt(1)
	v_and_b32_e32 v4, v8, v26
	s_waitcnt vmcnt(0)
	v_mad_u64_u32 v[4:5], s[28:29], v4, 24, v[24:25]
	v_and_b32_e32 v8, v9, v27
	v_mad_u64_u32 v[8:9], s[28:29], v8, 24, v[5:6]
	v_mov_b32_e32 v5, v8
	global_load_dwordx2 v[24:25], v[4:5], off glc
	s_waitcnt vmcnt(0)
	global_atomic_cmpswap_x2 v[4:5], v28, v[24:27], s[6:7] offset:24 glc
	s_waitcnt vmcnt(0)
	buffer_wbinvl1_vol
	v_cmp_eq_u64_e32 vcc, v[4:5], v[26:27]
	s_or_b64 s[26:27], vcc, s[26:27]
	s_andn2_b64 exec, exec, s[26:27]
	s_cbranch_execnz .LBB8_1247
; %bb.1248:                             ;   in Loop: Header=BB8_1189 Depth=1
	s_or_b64 exec, exec, s[26:27]
.LBB8_1249:                             ;   in Loop: Header=BB8_1189 Depth=1
	s_or_b64 exec, exec, s[24:25]
.LBB8_1250:                             ;   in Loop: Header=BB8_1189 Depth=1
	s_or_b64 exec, exec, s[22:23]
	global_load_dwordx2 v[8:9], v28, s[6:7] offset:40
	global_load_dwordx4 v[24:27], v28, s[6:7]
	v_readfirstlane_b32 s22, v4
	v_readfirstlane_b32 s23, v5
	s_mov_b64 s[24:25], exec
	s_waitcnt vmcnt(1)
	v_readfirstlane_b32 s26, v8
	v_readfirstlane_b32 s27, v9
	s_and_b64 s[26:27], s[22:23], s[26:27]
	s_mul_i32 s15, s27, 24
	s_mul_hi_u32 s28, s26, 24
	s_mul_i32 s29, s26, 24
	s_add_i32 s15, s28, s15
	v_mov_b32_e32 v4, s15
	s_waitcnt vmcnt(0)
	v_add_co_u32_e32 v29, vcc, s29, v24
	v_addc_co_u32_e32 v30, vcc, v25, v4, vcc
	s_and_saveexec_b64 s[28:29], s[4:5]
	s_cbranch_execz .LBB8_1252
; %bb.1251:                             ;   in Loop: Header=BB8_1189 Depth=1
	v_mov_b32_e32 v4, s24
	v_mov_b32_e32 v5, s25
	global_store_dwordx4 v[29:30], v[4:7], off offset:8
.LBB8_1252:                             ;   in Loop: Header=BB8_1189 Depth=1
	s_or_b64 exec, exec, s[28:29]
	s_lshl_b64 s[24:25], s[26:27], 12
	v_mov_b32_e32 v4, s25
	v_add_co_u32_e32 v26, vcc, s24, v26
	v_addc_co_u32_e32 v34, vcc, v27, v4, vcc
	v_cmp_gt_u64_e64 vcc, s[18:19], 56
	v_or_b32_e32 v5, v2, v33
	s_lshl_b32 s15, s20, 2
	v_cndmask_b32_e32 v2, v5, v2, vcc
	s_add_i32 s15, s15, 28
	v_or_b32_e32 v4, 0, v3
	s_and_b32 s15, s15, 0x1e0
	v_and_b32_e32 v2, 0xffffff1f, v2
	v_cndmask_b32_e32 v9, v4, v3, vcc
	v_or_b32_e32 v8, s15, v2
	v_readfirstlane_b32 s24, v26
	v_readfirstlane_b32 s25, v34
	s_nop 4
	global_store_dwordx4 v31, v[8:11], s[24:25]
	global_store_dwordx4 v31, v[12:15], s[24:25] offset:16
	global_store_dwordx4 v31, v[16:19], s[24:25] offset:32
	;; [unrolled: 1-line block ×3, first 2 shown]
	s_and_saveexec_b64 s[24:25], s[4:5]
	s_cbranch_execz .LBB8_1260
; %bb.1253:                             ;   in Loop: Header=BB8_1189 Depth=1
	global_load_dwordx2 v[12:13], v28, s[6:7] offset:32 glc
	global_load_dwordx2 v[2:3], v28, s[6:7] offset:40
	v_mov_b32_e32 v10, s22
	v_mov_b32_e32 v11, s23
	s_waitcnt vmcnt(0)
	v_readfirstlane_b32 s26, v2
	v_readfirstlane_b32 s27, v3
	s_and_b64 s[26:27], s[26:27], s[22:23]
	s_mul_i32 s15, s27, 24
	s_mul_hi_u32 s27, s26, 24
	s_mul_i32 s26, s26, 24
	s_add_i32 s15, s27, s15
	v_mov_b32_e32 v2, s15
	v_add_co_u32_e32 v8, vcc, s26, v24
	v_addc_co_u32_e32 v9, vcc, v25, v2, vcc
	global_store_dwordx2 v[8:9], v[12:13], off
	s_waitcnt vmcnt(0)
	global_atomic_cmpswap_x2 v[4:5], v28, v[10:13], s[6:7] offset:32 glc
	s_waitcnt vmcnt(0)
	v_cmp_ne_u64_e32 vcc, v[4:5], v[12:13]
	s_and_saveexec_b64 s[26:27], vcc
	s_cbranch_execz .LBB8_1256
; %bb.1254:                             ;   in Loop: Header=BB8_1189 Depth=1
	s_mov_b64 s[28:29], 0
.LBB8_1255:                             ;   Parent Loop BB8_1189 Depth=1
                                        ; =>  This Inner Loop Header: Depth=2
	s_sleep 1
	global_store_dwordx2 v[8:9], v[4:5], off
	v_mov_b32_e32 v2, s22
	v_mov_b32_e32 v3, s23
	s_waitcnt vmcnt(0)
	global_atomic_cmpswap_x2 v[2:3], v28, v[2:5], s[6:7] offset:32 glc
	s_waitcnt vmcnt(0)
	v_cmp_eq_u64_e32 vcc, v[2:3], v[4:5]
	v_mov_b32_e32 v5, v3
	s_or_b64 s[28:29], vcc, s[28:29]
	v_mov_b32_e32 v4, v2
	s_andn2_b64 exec, exec, s[28:29]
	s_cbranch_execnz .LBB8_1255
.LBB8_1256:                             ;   in Loop: Header=BB8_1189 Depth=1
	s_or_b64 exec, exec, s[26:27]
	global_load_dwordx2 v[2:3], v28, s[6:7] offset:16
	s_mov_b64 s[28:29], exec
	v_mbcnt_lo_u32_b32 v4, s28, 0
	v_mbcnt_hi_u32_b32 v4, s29, v4
	v_cmp_eq_u32_e32 vcc, 0, v4
	s_and_saveexec_b64 s[26:27], vcc
	s_cbranch_execz .LBB8_1258
; %bb.1257:                             ;   in Loop: Header=BB8_1189 Depth=1
	s_bcnt1_i32_b64 s15, s[28:29]
	v_mov_b32_e32 v27, s15
	s_waitcnt vmcnt(0)
	global_atomic_add_x2 v[2:3], v[27:28], off offset:8
.LBB8_1258:                             ;   in Loop: Header=BB8_1189 Depth=1
	s_or_b64 exec, exec, s[26:27]
	s_waitcnt vmcnt(0)
	global_load_dwordx2 v[4:5], v[2:3], off offset:16
	s_waitcnt vmcnt(0)
	v_cmp_eq_u64_e32 vcc, 0, v[4:5]
	s_cbranch_vccnz .LBB8_1260
; %bb.1259:                             ;   in Loop: Header=BB8_1189 Depth=1
	global_load_dword v27, v[2:3], off offset:24
	s_waitcnt vmcnt(0)
	v_and_b32_e32 v2, 0xffffff, v27
	v_readfirstlane_b32 m0, v2
	global_store_dwordx2 v[4:5], v[27:28], off
	s_sendmsg sendmsg(MSG_INTERRUPT)
.LBB8_1260:                             ;   in Loop: Header=BB8_1189 Depth=1
	s_or_b64 exec, exec, s[24:25]
	v_add_co_u32_e32 v2, vcc, v26, v31
	v_addc_co_u32_e32 v3, vcc, 0, v34, vcc
	s_branch .LBB8_1264
.LBB8_1261:                             ;   in Loop: Header=BB8_1264 Depth=2
	s_or_b64 exec, exec, s[24:25]
	v_readfirstlane_b32 s15, v4
	s_cmp_eq_u32 s15, 0
	s_cbranch_scc1 .LBB8_1263
; %bb.1262:                             ;   in Loop: Header=BB8_1264 Depth=2
	s_sleep 1
	s_cbranch_execnz .LBB8_1264
	s_branch .LBB8_1266
.LBB8_1263:                             ;   in Loop: Header=BB8_1189 Depth=1
	s_branch .LBB8_1266
.LBB8_1264:                             ;   Parent Loop BB8_1189 Depth=1
                                        ; =>  This Inner Loop Header: Depth=2
	v_mov_b32_e32 v4, 1
	s_and_saveexec_b64 s[24:25], s[4:5]
	s_cbranch_execz .LBB8_1261
; %bb.1265:                             ;   in Loop: Header=BB8_1264 Depth=2
	global_load_dword v4, v[29:30], off offset:20 glc
	s_waitcnt vmcnt(0)
	buffer_wbinvl1_vol
	v_and_b32_e32 v4, 1, v4
	s_branch .LBB8_1261
.LBB8_1266:                             ;   in Loop: Header=BB8_1189 Depth=1
	global_load_dwordx4 v[2:5], v[2:3], off
	s_and_saveexec_b64 s[24:25], s[4:5]
	s_cbranch_execz .LBB8_1188
; %bb.1267:                             ;   in Loop: Header=BB8_1189 Depth=1
	global_load_dwordx2 v[4:5], v28, s[6:7] offset:40
	global_load_dwordx2 v[12:13], v28, s[6:7] offset:24 glc
	global_load_dwordx2 v[14:15], v28, s[6:7]
	v_mov_b32_e32 v9, s23
	s_waitcnt vmcnt(2)
	v_add_co_u32_e32 v10, vcc, 1, v4
	v_addc_co_u32_e32 v11, vcc, 0, v5, vcc
	v_add_co_u32_e32 v8, vcc, s22, v10
	v_addc_co_u32_e32 v9, vcc, v11, v9, vcc
	v_cmp_eq_u64_e32 vcc, 0, v[8:9]
	v_cndmask_b32_e32 v9, v9, v11, vcc
	v_cndmask_b32_e32 v8, v8, v10, vcc
	v_and_b32_e32 v5, v9, v5
	v_and_b32_e32 v4, v8, v4
	v_mul_lo_u32 v5, v5, 24
	v_mul_hi_u32 v11, v4, 24
	v_mul_lo_u32 v4, v4, 24
	s_waitcnt vmcnt(1)
	v_mov_b32_e32 v10, v12
	v_add_u32_e32 v5, v11, v5
	s_waitcnt vmcnt(0)
	v_add_co_u32_e32 v4, vcc, v14, v4
	v_addc_co_u32_e32 v5, vcc, v15, v5, vcc
	global_store_dwordx2 v[4:5], v[12:13], off
	v_mov_b32_e32 v11, v13
	s_waitcnt vmcnt(0)
	global_atomic_cmpswap_x2 v[10:11], v28, v[8:11], s[6:7] offset:24 glc
	s_waitcnt vmcnt(0)
	v_cmp_ne_u64_e32 vcc, v[10:11], v[12:13]
	s_and_b64 exec, exec, vcc
	s_cbranch_execz .LBB8_1188
; %bb.1268:                             ;   in Loop: Header=BB8_1189 Depth=1
	s_mov_b64 s[4:5], 0
.LBB8_1269:                             ;   Parent Loop BB8_1189 Depth=1
                                        ; =>  This Inner Loop Header: Depth=2
	s_sleep 1
	global_store_dwordx2 v[4:5], v[10:11], off
	s_waitcnt vmcnt(0)
	global_atomic_cmpswap_x2 v[12:13], v28, v[8:11], s[6:7] offset:24 glc
	s_waitcnt vmcnt(0)
	v_cmp_eq_u64_e32 vcc, v[12:13], v[10:11]
	v_mov_b32_e32 v10, v12
	s_or_b64 s[4:5], vcc, s[4:5]
	v_mov_b32_e32 v11, v13
	s_andn2_b64 exec, exec, s[4:5]
	s_cbranch_execnz .LBB8_1269
	s_branch .LBB8_1188
.LBB8_1270:
	s_branch .LBB8_1298
.LBB8_1271:
                                        ; implicit-def: $vgpr2_vgpr3
	s_cbranch_execz .LBB8_1298
; %bb.1272:
	v_readfirstlane_b32 s4, v32
	v_mov_b32_e32 v8, 0
	v_mov_b32_e32 v9, 0
	v_cmp_eq_u32_e64 s[4:5], s4, v32
	s_and_saveexec_b64 s[16:17], s[4:5]
	s_cbranch_execz .LBB8_1278
; %bb.1273:
	s_waitcnt vmcnt(0)
	v_mov_b32_e32 v2, 0
	global_load_dwordx2 v[5:6], v2, s[6:7] offset:24 glc
	s_waitcnt vmcnt(0)
	buffer_wbinvl1_vol
	global_load_dwordx2 v[3:4], v2, s[6:7] offset:40
	global_load_dwordx2 v[7:8], v2, s[6:7]
	s_waitcnt vmcnt(1)
	v_and_b32_e32 v3, v3, v5
	v_and_b32_e32 v4, v4, v6
	v_mul_lo_u32 v4, v4, 24
	v_mul_hi_u32 v9, v3, 24
	v_mul_lo_u32 v3, v3, 24
	v_add_u32_e32 v4, v9, v4
	s_waitcnt vmcnt(0)
	v_add_co_u32_e32 v3, vcc, v7, v3
	v_addc_co_u32_e32 v4, vcc, v8, v4, vcc
	global_load_dwordx2 v[3:4], v[3:4], off glc
	s_waitcnt vmcnt(0)
	global_atomic_cmpswap_x2 v[8:9], v2, v[3:6], s[6:7] offset:24 glc
	s_waitcnt vmcnt(0)
	buffer_wbinvl1_vol
	v_cmp_ne_u64_e32 vcc, v[8:9], v[5:6]
	s_and_saveexec_b64 s[18:19], vcc
	s_cbranch_execz .LBB8_1277
; %bb.1274:
	s_mov_b64 s[20:21], 0
.LBB8_1275:                             ; =>This Inner Loop Header: Depth=1
	s_sleep 1
	global_load_dwordx2 v[3:4], v2, s[6:7] offset:40
	global_load_dwordx2 v[10:11], v2, s[6:7]
	v_mov_b32_e32 v5, v8
	v_mov_b32_e32 v6, v9
	s_waitcnt vmcnt(1)
	v_and_b32_e32 v3, v3, v5
	s_waitcnt vmcnt(0)
	v_mad_u64_u32 v[7:8], s[22:23], v3, 24, v[10:11]
	v_and_b32_e32 v4, v4, v6
	v_mov_b32_e32 v3, v8
	v_mad_u64_u32 v[3:4], s[22:23], v4, 24, v[3:4]
	v_mov_b32_e32 v8, v3
	global_load_dwordx2 v[3:4], v[7:8], off glc
	s_waitcnt vmcnt(0)
	global_atomic_cmpswap_x2 v[8:9], v2, v[3:6], s[6:7] offset:24 glc
	s_waitcnt vmcnt(0)
	buffer_wbinvl1_vol
	v_cmp_eq_u64_e32 vcc, v[8:9], v[5:6]
	s_or_b64 s[20:21], vcc, s[20:21]
	s_andn2_b64 exec, exec, s[20:21]
	s_cbranch_execnz .LBB8_1275
; %bb.1276:
	s_or_b64 exec, exec, s[20:21]
.LBB8_1277:
	s_or_b64 exec, exec, s[18:19]
.LBB8_1278:
	s_or_b64 exec, exec, s[16:17]
	s_waitcnt vmcnt(0)
	v_mov_b32_e32 v2, 0
	global_load_dwordx2 v[10:11], v2, s[6:7] offset:40
	global_load_dwordx4 v[4:7], v2, s[6:7]
	v_readfirstlane_b32 s16, v8
	v_readfirstlane_b32 s17, v9
	s_mov_b64 s[18:19], exec
	s_waitcnt vmcnt(1)
	v_readfirstlane_b32 s20, v10
	v_readfirstlane_b32 s21, v11
	s_and_b64 s[20:21], s[16:17], s[20:21]
	s_mul_i32 s15, s21, 24
	s_mul_hi_u32 s22, s20, 24
	s_mul_i32 s23, s20, 24
	s_add_i32 s15, s22, s15
	v_mov_b32_e32 v3, s15
	s_waitcnt vmcnt(0)
	v_add_co_u32_e32 v8, vcc, s23, v4
	v_addc_co_u32_e32 v9, vcc, v5, v3, vcc
	s_and_saveexec_b64 s[22:23], s[4:5]
	s_cbranch_execz .LBB8_1280
; %bb.1279:
	v_mov_b32_e32 v10, s18
	v_mov_b32_e32 v11, s19
	;; [unrolled: 1-line block ×4, first 2 shown]
	global_store_dwordx4 v[8:9], v[10:13], off offset:8
.LBB8_1280:
	s_or_b64 exec, exec, s[22:23]
	s_lshl_b64 s[18:19], s[20:21], 12
	v_mov_b32_e32 v3, s19
	v_add_co_u32_e32 v10, vcc, s18, v6
	v_addc_co_u32_e32 v11, vcc, v7, v3, vcc
	s_movk_i32 s15, 0xff1f
	v_and_or_b32 v0, v0, s15, 32
	s_mov_b32 s20, 0
	v_mov_b32_e32 v3, v2
	v_readfirstlane_b32 s18, v10
	v_readfirstlane_b32 s19, v11
	v_add_co_u32_e32 v6, vcc, v10, v31
	s_mov_b32 s21, s20
	s_mov_b32 s22, s20
	;; [unrolled: 1-line block ×3, first 2 shown]
	s_nop 0
	global_store_dwordx4 v31, v[0:3], s[18:19]
	v_addc_co_u32_e32 v7, vcc, 0, v11, vcc
	v_mov_b32_e32 v0, s20
	v_mov_b32_e32 v1, s21
	;; [unrolled: 1-line block ×4, first 2 shown]
	global_store_dwordx4 v31, v[0:3], s[18:19] offset:16
	global_store_dwordx4 v31, v[0:3], s[18:19] offset:32
	;; [unrolled: 1-line block ×3, first 2 shown]
	s_and_saveexec_b64 s[18:19], s[4:5]
	s_cbranch_execz .LBB8_1288
; %bb.1281:
	v_mov_b32_e32 v10, 0
	global_load_dwordx2 v[13:14], v10, s[6:7] offset:32 glc
	global_load_dwordx2 v[0:1], v10, s[6:7] offset:40
	v_mov_b32_e32 v11, s16
	v_mov_b32_e32 v12, s17
	s_waitcnt vmcnt(0)
	v_readfirstlane_b32 s20, v0
	v_readfirstlane_b32 s21, v1
	s_and_b64 s[20:21], s[20:21], s[16:17]
	s_mul_i32 s15, s21, 24
	s_mul_hi_u32 s21, s20, 24
	s_mul_i32 s20, s20, 24
	s_add_i32 s15, s21, s15
	v_mov_b32_e32 v0, s15
	v_add_co_u32_e32 v4, vcc, s20, v4
	v_addc_co_u32_e32 v5, vcc, v5, v0, vcc
	global_store_dwordx2 v[4:5], v[13:14], off
	s_waitcnt vmcnt(0)
	global_atomic_cmpswap_x2 v[2:3], v10, v[11:14], s[6:7] offset:32 glc
	s_waitcnt vmcnt(0)
	v_cmp_ne_u64_e32 vcc, v[2:3], v[13:14]
	s_and_saveexec_b64 s[20:21], vcc
	s_cbranch_execz .LBB8_1284
; %bb.1282:
	s_mov_b64 s[22:23], 0
.LBB8_1283:                             ; =>This Inner Loop Header: Depth=1
	s_sleep 1
	global_store_dwordx2 v[4:5], v[2:3], off
	v_mov_b32_e32 v0, s16
	v_mov_b32_e32 v1, s17
	s_waitcnt vmcnt(0)
	global_atomic_cmpswap_x2 v[0:1], v10, v[0:3], s[6:7] offset:32 glc
	s_waitcnt vmcnt(0)
	v_cmp_eq_u64_e32 vcc, v[0:1], v[2:3]
	v_mov_b32_e32 v3, v1
	s_or_b64 s[22:23], vcc, s[22:23]
	v_mov_b32_e32 v2, v0
	s_andn2_b64 exec, exec, s[22:23]
	s_cbranch_execnz .LBB8_1283
.LBB8_1284:
	s_or_b64 exec, exec, s[20:21]
	v_mov_b32_e32 v3, 0
	global_load_dwordx2 v[0:1], v3, s[6:7] offset:16
	s_mov_b64 s[20:21], exec
	v_mbcnt_lo_u32_b32 v2, s20, 0
	v_mbcnt_hi_u32_b32 v2, s21, v2
	v_cmp_eq_u32_e32 vcc, 0, v2
	s_and_saveexec_b64 s[22:23], vcc
	s_cbranch_execz .LBB8_1286
; %bb.1285:
	s_bcnt1_i32_b64 s15, s[20:21]
	v_mov_b32_e32 v2, s15
	s_waitcnt vmcnt(0)
	global_atomic_add_x2 v[0:1], v[2:3], off offset:8
.LBB8_1286:
	s_or_b64 exec, exec, s[22:23]
	s_waitcnt vmcnt(0)
	global_load_dwordx2 v[2:3], v[0:1], off offset:16
	s_waitcnt vmcnt(0)
	v_cmp_eq_u64_e32 vcc, 0, v[2:3]
	s_cbranch_vccnz .LBB8_1288
; %bb.1287:
	global_load_dword v0, v[0:1], off offset:24
	v_mov_b32_e32 v1, 0
	s_waitcnt vmcnt(0)
	global_store_dwordx2 v[2:3], v[0:1], off
	v_and_b32_e32 v0, 0xffffff, v0
	v_readfirstlane_b32 m0, v0
	s_sendmsg sendmsg(MSG_INTERRUPT)
.LBB8_1288:
	s_or_b64 exec, exec, s[18:19]
	s_branch .LBB8_1292
.LBB8_1289:                             ;   in Loop: Header=BB8_1292 Depth=1
	s_or_b64 exec, exec, s[18:19]
	v_readfirstlane_b32 s15, v0
	s_cmp_eq_u32 s15, 0
	s_cbranch_scc1 .LBB8_1291
; %bb.1290:                             ;   in Loop: Header=BB8_1292 Depth=1
	s_sleep 1
	s_cbranch_execnz .LBB8_1292
	s_branch .LBB8_1294
.LBB8_1291:
	s_branch .LBB8_1294
.LBB8_1292:                             ; =>This Inner Loop Header: Depth=1
	v_mov_b32_e32 v0, 1
	s_and_saveexec_b64 s[18:19], s[4:5]
	s_cbranch_execz .LBB8_1289
; %bb.1293:                             ;   in Loop: Header=BB8_1292 Depth=1
	global_load_dword v0, v[8:9], off offset:20 glc
	s_waitcnt vmcnt(0)
	buffer_wbinvl1_vol
	v_and_b32_e32 v0, 1, v0
	s_branch .LBB8_1289
.LBB8_1294:
	global_load_dwordx2 v[2:3], v[6:7], off
	s_and_saveexec_b64 s[18:19], s[4:5]
	s_cbranch_execz .LBB8_1297
; %bb.1295:
	v_mov_b32_e32 v8, 0
	global_load_dwordx2 v[0:1], v8, s[6:7] offset:40
	global_load_dwordx2 v[9:10], v8, s[6:7] offset:24 glc
	global_load_dwordx2 v[11:12], v8, s[6:7]
	v_mov_b32_e32 v5, s17
	s_mov_b64 s[4:5], 0
	s_waitcnt vmcnt(2)
	v_add_co_u32_e32 v6, vcc, 1, v0
	v_addc_co_u32_e32 v7, vcc, 0, v1, vcc
	v_add_co_u32_e32 v4, vcc, s16, v6
	v_addc_co_u32_e32 v5, vcc, v7, v5, vcc
	v_cmp_eq_u64_e32 vcc, 0, v[4:5]
	v_cndmask_b32_e32 v5, v5, v7, vcc
	v_cndmask_b32_e32 v4, v4, v6, vcc
	v_and_b32_e32 v1, v5, v1
	v_and_b32_e32 v0, v4, v0
	v_mul_lo_u32 v1, v1, 24
	v_mul_hi_u32 v7, v0, 24
	v_mul_lo_u32 v0, v0, 24
	s_waitcnt vmcnt(1)
	v_mov_b32_e32 v6, v9
	v_add_u32_e32 v1, v7, v1
	s_waitcnt vmcnt(0)
	v_add_co_u32_e32 v0, vcc, v11, v0
	v_addc_co_u32_e32 v1, vcc, v12, v1, vcc
	global_store_dwordx2 v[0:1], v[9:10], off
	v_mov_b32_e32 v7, v10
	s_waitcnt vmcnt(0)
	global_atomic_cmpswap_x2 v[6:7], v8, v[4:7], s[6:7] offset:24 glc
	s_waitcnt vmcnt(0)
	v_cmp_ne_u64_e32 vcc, v[6:7], v[9:10]
	s_and_b64 exec, exec, vcc
	s_cbranch_execz .LBB8_1297
.LBB8_1296:                             ; =>This Inner Loop Header: Depth=1
	s_sleep 1
	global_store_dwordx2 v[0:1], v[6:7], off
	s_waitcnt vmcnt(0)
	global_atomic_cmpswap_x2 v[9:10], v8, v[4:7], s[6:7] offset:24 glc
	s_waitcnt vmcnt(0)
	v_cmp_eq_u64_e32 vcc, v[9:10], v[6:7]
	v_mov_b32_e32 v6, v9
	s_or_b64 s[4:5], vcc, s[4:5]
	v_mov_b32_e32 v7, v10
	s_andn2_b64 exec, exec, s[4:5]
	s_cbranch_execnz .LBB8_1296
.LBB8_1297:
	s_or_b64 exec, exec, s[18:19]
.LBB8_1298:
	v_readfirstlane_b32 s4, v32
	s_waitcnt vmcnt(0)
	v_mov_b32_e32 v0, 0
	v_mov_b32_e32 v1, 0
	v_cmp_eq_u32_e64 s[4:5], s4, v32
	s_and_saveexec_b64 s[16:17], s[4:5]
	s_cbranch_execz .LBB8_1304
; %bb.1299:
	v_mov_b32_e32 v4, 0
	global_load_dwordx2 v[7:8], v4, s[6:7] offset:24 glc
	s_waitcnt vmcnt(0)
	buffer_wbinvl1_vol
	global_load_dwordx2 v[0:1], v4, s[6:7] offset:40
	global_load_dwordx2 v[5:6], v4, s[6:7]
	s_waitcnt vmcnt(1)
	v_and_b32_e32 v0, v0, v7
	v_and_b32_e32 v1, v1, v8
	v_mul_lo_u32 v1, v1, 24
	v_mul_hi_u32 v9, v0, 24
	v_mul_lo_u32 v0, v0, 24
	v_add_u32_e32 v1, v9, v1
	s_waitcnt vmcnt(0)
	v_add_co_u32_e32 v0, vcc, v5, v0
	v_addc_co_u32_e32 v1, vcc, v6, v1, vcc
	global_load_dwordx2 v[5:6], v[0:1], off glc
	s_waitcnt vmcnt(0)
	global_atomic_cmpswap_x2 v[0:1], v4, v[5:8], s[6:7] offset:24 glc
	s_waitcnt vmcnt(0)
	buffer_wbinvl1_vol
	v_cmp_ne_u64_e32 vcc, v[0:1], v[7:8]
	s_and_saveexec_b64 s[18:19], vcc
	s_cbranch_execz .LBB8_1303
; %bb.1300:
	s_mov_b64 s[20:21], 0
.LBB8_1301:                             ; =>This Inner Loop Header: Depth=1
	s_sleep 1
	global_load_dwordx2 v[5:6], v4, s[6:7] offset:40
	global_load_dwordx2 v[9:10], v4, s[6:7]
	v_mov_b32_e32 v8, v1
	v_mov_b32_e32 v7, v0
	s_waitcnt vmcnt(1)
	v_and_b32_e32 v0, v5, v7
	s_waitcnt vmcnt(0)
	v_mad_u64_u32 v[0:1], s[22:23], v0, 24, v[9:10]
	v_and_b32_e32 v5, v6, v8
	v_mad_u64_u32 v[5:6], s[22:23], v5, 24, v[1:2]
	v_mov_b32_e32 v1, v5
	global_load_dwordx2 v[5:6], v[0:1], off glc
	s_waitcnt vmcnt(0)
	global_atomic_cmpswap_x2 v[0:1], v4, v[5:8], s[6:7] offset:24 glc
	s_waitcnt vmcnt(0)
	buffer_wbinvl1_vol
	v_cmp_eq_u64_e32 vcc, v[0:1], v[7:8]
	s_or_b64 s[20:21], vcc, s[20:21]
	s_andn2_b64 exec, exec, s[20:21]
	s_cbranch_execnz .LBB8_1301
; %bb.1302:
	s_or_b64 exec, exec, s[20:21]
.LBB8_1303:
	s_or_b64 exec, exec, s[18:19]
.LBB8_1304:
	s_or_b64 exec, exec, s[16:17]
	v_mov_b32_e32 v5, 0
	global_load_dwordx2 v[10:11], v5, s[6:7] offset:40
	global_load_dwordx4 v[6:9], v5, s[6:7]
	v_readfirstlane_b32 s16, v0
	v_readfirstlane_b32 s17, v1
	s_mov_b64 s[18:19], exec
	s_waitcnt vmcnt(1)
	v_readfirstlane_b32 s20, v10
	v_readfirstlane_b32 s21, v11
	s_and_b64 s[20:21], s[16:17], s[20:21]
	s_mul_i32 s15, s21, 24
	s_mul_hi_u32 s22, s20, 24
	s_mul_i32 s23, s20, 24
	s_add_i32 s15, s22, s15
	v_mov_b32_e32 v0, s15
	s_waitcnt vmcnt(0)
	v_add_co_u32_e32 v10, vcc, s23, v6
	v_addc_co_u32_e32 v11, vcc, v7, v0, vcc
	s_and_saveexec_b64 s[22:23], s[4:5]
	s_cbranch_execz .LBB8_1306
; %bb.1305:
	v_mov_b32_e32 v12, s18
	v_mov_b32_e32 v13, s19
	;; [unrolled: 1-line block ×4, first 2 shown]
	global_store_dwordx4 v[10:11], v[12:15], off offset:8
.LBB8_1306:
	s_or_b64 exec, exec, s[22:23]
	s_lshl_b64 s[18:19], s[20:21], 12
	v_mov_b32_e32 v0, s19
	v_add_co_u32_e32 v1, vcc, s18, v8
	v_addc_co_u32_e32 v0, vcc, v9, v0, vcc
	s_movk_i32 s15, 0xff1d
	v_and_or_b32 v2, v2, s15, 34
	s_mov_b32 s20, 0
	v_mov_b32_e32 v4, 10
	v_readfirstlane_b32 s18, v1
	v_readfirstlane_b32 s19, v0
	s_mov_b32 s21, s20
	s_mov_b32 s22, s20
	s_mov_b32 s23, s20
	s_nop 1
	global_store_dwordx4 v31, v[2:5], s[18:19]
	v_mov_b32_e32 v0, s20
	v_mov_b32_e32 v1, s21
	;; [unrolled: 1-line block ×4, first 2 shown]
	global_store_dwordx4 v31, v[0:3], s[18:19] offset:16
	global_store_dwordx4 v31, v[0:3], s[18:19] offset:32
	;; [unrolled: 1-line block ×3, first 2 shown]
	s_and_saveexec_b64 s[18:19], s[4:5]
	s_cbranch_execz .LBB8_1314
; %bb.1307:
	v_mov_b32_e32 v8, 0
	global_load_dwordx2 v[14:15], v8, s[6:7] offset:32 glc
	global_load_dwordx2 v[0:1], v8, s[6:7] offset:40
	v_mov_b32_e32 v12, s16
	v_mov_b32_e32 v13, s17
	s_waitcnt vmcnt(0)
	v_readfirstlane_b32 s20, v0
	v_readfirstlane_b32 s21, v1
	s_and_b64 s[20:21], s[20:21], s[16:17]
	s_mul_i32 s15, s21, 24
	s_mul_hi_u32 s21, s20, 24
	s_mul_i32 s20, s20, 24
	s_add_i32 s15, s21, s15
	v_mov_b32_e32 v0, s15
	v_add_co_u32_e32 v4, vcc, s20, v6
	v_addc_co_u32_e32 v5, vcc, v7, v0, vcc
	global_store_dwordx2 v[4:5], v[14:15], off
	s_waitcnt vmcnt(0)
	global_atomic_cmpswap_x2 v[2:3], v8, v[12:15], s[6:7] offset:32 glc
	s_waitcnt vmcnt(0)
	v_cmp_ne_u64_e32 vcc, v[2:3], v[14:15]
	s_and_saveexec_b64 s[20:21], vcc
	s_cbranch_execz .LBB8_1310
; %bb.1308:
	s_mov_b64 s[22:23], 0
.LBB8_1309:                             ; =>This Inner Loop Header: Depth=1
	s_sleep 1
	global_store_dwordx2 v[4:5], v[2:3], off
	v_mov_b32_e32 v0, s16
	v_mov_b32_e32 v1, s17
	s_waitcnt vmcnt(0)
	global_atomic_cmpswap_x2 v[0:1], v8, v[0:3], s[6:7] offset:32 glc
	s_waitcnt vmcnt(0)
	v_cmp_eq_u64_e32 vcc, v[0:1], v[2:3]
	v_mov_b32_e32 v3, v1
	s_or_b64 s[22:23], vcc, s[22:23]
	v_mov_b32_e32 v2, v0
	s_andn2_b64 exec, exec, s[22:23]
	s_cbranch_execnz .LBB8_1309
.LBB8_1310:
	s_or_b64 exec, exec, s[20:21]
	v_mov_b32_e32 v3, 0
	global_load_dwordx2 v[0:1], v3, s[6:7] offset:16
	s_mov_b64 s[20:21], exec
	v_mbcnt_lo_u32_b32 v2, s20, 0
	v_mbcnt_hi_u32_b32 v2, s21, v2
	v_cmp_eq_u32_e32 vcc, 0, v2
	s_and_saveexec_b64 s[22:23], vcc
	s_cbranch_execz .LBB8_1312
; %bb.1311:
	s_bcnt1_i32_b64 s15, s[20:21]
	v_mov_b32_e32 v2, s15
	s_waitcnt vmcnt(0)
	global_atomic_add_x2 v[0:1], v[2:3], off offset:8
.LBB8_1312:
	s_or_b64 exec, exec, s[22:23]
	s_waitcnt vmcnt(0)
	global_load_dwordx2 v[2:3], v[0:1], off offset:16
	s_waitcnt vmcnt(0)
	v_cmp_eq_u64_e32 vcc, 0, v[2:3]
	s_cbranch_vccnz .LBB8_1314
; %bb.1313:
	global_load_dword v0, v[0:1], off offset:24
	v_mov_b32_e32 v1, 0
	s_waitcnt vmcnt(0)
	global_store_dwordx2 v[2:3], v[0:1], off
	v_and_b32_e32 v0, 0xffffff, v0
	v_readfirstlane_b32 m0, v0
	s_sendmsg sendmsg(MSG_INTERRUPT)
.LBB8_1314:
	s_or_b64 exec, exec, s[18:19]
	s_branch .LBB8_1318
.LBB8_1315:                             ;   in Loop: Header=BB8_1318 Depth=1
	s_or_b64 exec, exec, s[18:19]
	v_readfirstlane_b32 s15, v0
	s_cmp_eq_u32 s15, 0
	s_cbranch_scc1 .LBB8_1317
; %bb.1316:                             ;   in Loop: Header=BB8_1318 Depth=1
	s_sleep 1
	s_cbranch_execnz .LBB8_1318
	s_branch .LBB8_1320
.LBB8_1317:
	s_branch .LBB8_1320
.LBB8_1318:                             ; =>This Inner Loop Header: Depth=1
	v_mov_b32_e32 v0, 1
	s_and_saveexec_b64 s[18:19], s[4:5]
	s_cbranch_execz .LBB8_1315
; %bb.1319:                             ;   in Loop: Header=BB8_1318 Depth=1
	global_load_dword v0, v[10:11], off offset:20 glc
	s_waitcnt vmcnt(0)
	buffer_wbinvl1_vol
	v_and_b32_e32 v0, 1, v0
	s_branch .LBB8_1315
.LBB8_1320:
	s_and_saveexec_b64 s[18:19], s[4:5]
	s_cbranch_execz .LBB8_1323
; %bb.1321:
	v_mov_b32_e32 v6, 0
	global_load_dwordx2 v[2:3], v6, s[6:7] offset:40
	global_load_dwordx2 v[7:8], v6, s[6:7] offset:24 glc
	global_load_dwordx2 v[4:5], v6, s[6:7]
	v_mov_b32_e32 v1, s17
	s_mov_b64 s[4:5], 0
	s_waitcnt vmcnt(2)
	v_add_co_u32_e32 v9, vcc, 1, v2
	v_addc_co_u32_e32 v10, vcc, 0, v3, vcc
	v_add_co_u32_e32 v0, vcc, s16, v9
	v_addc_co_u32_e32 v1, vcc, v10, v1, vcc
	v_cmp_eq_u64_e32 vcc, 0, v[0:1]
	v_cndmask_b32_e32 v1, v1, v10, vcc
	v_cndmask_b32_e32 v0, v0, v9, vcc
	v_and_b32_e32 v3, v1, v3
	v_and_b32_e32 v2, v0, v2
	v_mul_lo_u32 v3, v3, 24
	v_mul_hi_u32 v9, v2, 24
	v_mul_lo_u32 v10, v2, 24
	s_waitcnt vmcnt(1)
	v_mov_b32_e32 v2, v7
	v_add_u32_e32 v3, v9, v3
	s_waitcnt vmcnt(0)
	v_add_co_u32_e32 v4, vcc, v4, v10
	v_addc_co_u32_e32 v5, vcc, v5, v3, vcc
	global_store_dwordx2 v[4:5], v[7:8], off
	v_mov_b32_e32 v3, v8
	s_waitcnt vmcnt(0)
	global_atomic_cmpswap_x2 v[2:3], v6, v[0:3], s[6:7] offset:24 glc
	s_waitcnt vmcnt(0)
	v_cmp_ne_u64_e32 vcc, v[2:3], v[7:8]
	s_and_b64 exec, exec, vcc
	s_cbranch_execz .LBB8_1323
.LBB8_1322:                             ; =>This Inner Loop Header: Depth=1
	s_sleep 1
	global_store_dwordx2 v[4:5], v[2:3], off
	s_waitcnt vmcnt(0)
	global_atomic_cmpswap_x2 v[7:8], v6, v[0:3], s[6:7] offset:24 glc
	s_waitcnt vmcnt(0)
	v_cmp_eq_u64_e32 vcc, v[7:8], v[2:3]
	v_mov_b32_e32 v2, v7
	s_or_b64 s[4:5], vcc, s[4:5]
	v_mov_b32_e32 v3, v8
	s_andn2_b64 exec, exec, s[4:5]
	s_cbranch_execnz .LBB8_1322
.LBB8_1323:
	s_or_b64 exec, exec, s[18:19]
	v_readfirstlane_b32 s4, v32
	v_mov_b32_e32 v5, 0
	v_mov_b32_e32 v6, 0
	v_cmp_eq_u32_e64 s[4:5], s4, v32
	s_and_saveexec_b64 s[16:17], s[4:5]
	s_cbranch_execz .LBB8_1329
; %bb.1324:
	v_mov_b32_e32 v0, 0
	global_load_dwordx2 v[3:4], v0, s[6:7] offset:24 glc
	s_waitcnt vmcnt(0)
	buffer_wbinvl1_vol
	global_load_dwordx2 v[1:2], v0, s[6:7] offset:40
	global_load_dwordx2 v[5:6], v0, s[6:7]
	s_waitcnt vmcnt(1)
	v_and_b32_e32 v1, v1, v3
	v_and_b32_e32 v2, v2, v4
	v_mul_lo_u32 v2, v2, 24
	v_mul_hi_u32 v7, v1, 24
	v_mul_lo_u32 v1, v1, 24
	v_add_u32_e32 v2, v7, v2
	s_waitcnt vmcnt(0)
	v_add_co_u32_e32 v1, vcc, v5, v1
	v_addc_co_u32_e32 v2, vcc, v6, v2, vcc
	global_load_dwordx2 v[1:2], v[1:2], off glc
	s_waitcnt vmcnt(0)
	global_atomic_cmpswap_x2 v[5:6], v0, v[1:4], s[6:7] offset:24 glc
	s_waitcnt vmcnt(0)
	buffer_wbinvl1_vol
	v_cmp_ne_u64_e32 vcc, v[5:6], v[3:4]
	s_and_saveexec_b64 s[18:19], vcc
	s_cbranch_execz .LBB8_1328
; %bb.1325:
	s_mov_b64 s[20:21], 0
.LBB8_1326:                             ; =>This Inner Loop Header: Depth=1
	s_sleep 1
	global_load_dwordx2 v[1:2], v0, s[6:7] offset:40
	global_load_dwordx2 v[7:8], v0, s[6:7]
	v_mov_b32_e32 v3, v5
	v_mov_b32_e32 v4, v6
	s_waitcnt vmcnt(1)
	v_and_b32_e32 v1, v1, v3
	s_waitcnt vmcnt(0)
	v_mad_u64_u32 v[5:6], s[22:23], v1, 24, v[7:8]
	v_and_b32_e32 v2, v2, v4
	v_mov_b32_e32 v1, v6
	v_mad_u64_u32 v[1:2], s[22:23], v2, 24, v[1:2]
	v_mov_b32_e32 v6, v1
	global_load_dwordx2 v[1:2], v[5:6], off glc
	s_waitcnt vmcnt(0)
	global_atomic_cmpswap_x2 v[5:6], v0, v[1:4], s[6:7] offset:24 glc
	s_waitcnt vmcnt(0)
	buffer_wbinvl1_vol
	v_cmp_eq_u64_e32 vcc, v[5:6], v[3:4]
	s_or_b64 s[20:21], vcc, s[20:21]
	s_andn2_b64 exec, exec, s[20:21]
	s_cbranch_execnz .LBB8_1326
; %bb.1327:
	s_or_b64 exec, exec, s[20:21]
.LBB8_1328:
	s_or_b64 exec, exec, s[18:19]
.LBB8_1329:
	s_or_b64 exec, exec, s[16:17]
	v_mov_b32_e32 v4, 0
	global_load_dwordx2 v[7:8], v4, s[6:7] offset:40
	global_load_dwordx4 v[0:3], v4, s[6:7]
	v_readfirstlane_b32 s16, v5
	v_readfirstlane_b32 s17, v6
	s_mov_b64 s[18:19], exec
	s_waitcnt vmcnt(1)
	v_readfirstlane_b32 s20, v7
	v_readfirstlane_b32 s21, v8
	s_and_b64 s[20:21], s[16:17], s[20:21]
	s_mul_i32 s15, s21, 24
	s_mul_hi_u32 s22, s20, 24
	s_mul_i32 s23, s20, 24
	s_add_i32 s15, s22, s15
	v_mov_b32_e32 v5, s15
	s_waitcnt vmcnt(0)
	v_add_co_u32_e32 v7, vcc, s23, v0
	v_addc_co_u32_e32 v8, vcc, v1, v5, vcc
	s_and_saveexec_b64 s[22:23], s[4:5]
	s_cbranch_execz .LBB8_1331
; %bb.1330:
	v_mov_b32_e32 v9, s18
	v_mov_b32_e32 v10, s19
	;; [unrolled: 1-line block ×4, first 2 shown]
	global_store_dwordx4 v[7:8], v[9:12], off offset:8
.LBB8_1331:
	s_or_b64 exec, exec, s[22:23]
	s_lshl_b64 s[18:19], s[20:21], 12
	v_mov_b32_e32 v5, s19
	v_add_co_u32_e32 v2, vcc, s18, v2
	v_addc_co_u32_e32 v11, vcc, v3, v5, vcc
	s_mov_b32 s20, 0
	v_mov_b32_e32 v3, 33
	v_mov_b32_e32 v5, v4
	v_mov_b32_e32 v6, v4
	v_readfirstlane_b32 s18, v2
	v_readfirstlane_b32 s19, v11
	v_add_co_u32_e32 v9, vcc, v2, v31
	s_mov_b32 s21, s20
	s_mov_b32 s22, s20
	;; [unrolled: 1-line block ×3, first 2 shown]
	s_nop 0
	global_store_dwordx4 v31, v[3:6], s[18:19]
	v_mov_b32_e32 v2, s20
	v_addc_co_u32_e32 v10, vcc, 0, v11, vcc
	v_mov_b32_e32 v3, s21
	v_mov_b32_e32 v4, s22
	;; [unrolled: 1-line block ×3, first 2 shown]
	global_store_dwordx4 v31, v[2:5], s[18:19] offset:16
	global_store_dwordx4 v31, v[2:5], s[18:19] offset:32
	;; [unrolled: 1-line block ×3, first 2 shown]
	s_and_saveexec_b64 s[18:19], s[4:5]
	s_cbranch_execz .LBB8_1339
; %bb.1332:
	v_mov_b32_e32 v6, 0
	global_load_dwordx2 v[13:14], v6, s[6:7] offset:32 glc
	global_load_dwordx2 v[2:3], v6, s[6:7] offset:40
	v_mov_b32_e32 v11, s16
	v_mov_b32_e32 v12, s17
	s_waitcnt vmcnt(0)
	v_readfirstlane_b32 s20, v2
	v_readfirstlane_b32 s21, v3
	s_and_b64 s[20:21], s[20:21], s[16:17]
	s_mul_i32 s15, s21, 24
	s_mul_hi_u32 s21, s20, 24
	s_mul_i32 s20, s20, 24
	s_add_i32 s15, s21, s15
	v_mov_b32_e32 v2, s15
	v_add_co_u32_e32 v4, vcc, s20, v0
	v_addc_co_u32_e32 v5, vcc, v1, v2, vcc
	global_store_dwordx2 v[4:5], v[13:14], off
	s_waitcnt vmcnt(0)
	global_atomic_cmpswap_x2 v[2:3], v6, v[11:14], s[6:7] offset:32 glc
	s_waitcnt vmcnt(0)
	v_cmp_ne_u64_e32 vcc, v[2:3], v[13:14]
	s_and_saveexec_b64 s[20:21], vcc
	s_cbranch_execz .LBB8_1335
; %bb.1333:
	s_mov_b64 s[22:23], 0
.LBB8_1334:                             ; =>This Inner Loop Header: Depth=1
	s_sleep 1
	global_store_dwordx2 v[4:5], v[2:3], off
	v_mov_b32_e32 v0, s16
	v_mov_b32_e32 v1, s17
	s_waitcnt vmcnt(0)
	global_atomic_cmpswap_x2 v[0:1], v6, v[0:3], s[6:7] offset:32 glc
	s_waitcnt vmcnt(0)
	v_cmp_eq_u64_e32 vcc, v[0:1], v[2:3]
	v_mov_b32_e32 v3, v1
	s_or_b64 s[22:23], vcc, s[22:23]
	v_mov_b32_e32 v2, v0
	s_andn2_b64 exec, exec, s[22:23]
	s_cbranch_execnz .LBB8_1334
.LBB8_1335:
	s_or_b64 exec, exec, s[20:21]
	v_mov_b32_e32 v3, 0
	global_load_dwordx2 v[0:1], v3, s[6:7] offset:16
	s_mov_b64 s[20:21], exec
	v_mbcnt_lo_u32_b32 v2, s20, 0
	v_mbcnt_hi_u32_b32 v2, s21, v2
	v_cmp_eq_u32_e32 vcc, 0, v2
	s_and_saveexec_b64 s[22:23], vcc
	s_cbranch_execz .LBB8_1337
; %bb.1336:
	s_bcnt1_i32_b64 s15, s[20:21]
	v_mov_b32_e32 v2, s15
	s_waitcnt vmcnt(0)
	global_atomic_add_x2 v[0:1], v[2:3], off offset:8
.LBB8_1337:
	s_or_b64 exec, exec, s[22:23]
	s_waitcnt vmcnt(0)
	global_load_dwordx2 v[2:3], v[0:1], off offset:16
	s_waitcnt vmcnt(0)
	v_cmp_eq_u64_e32 vcc, 0, v[2:3]
	s_cbranch_vccnz .LBB8_1339
; %bb.1338:
	global_load_dword v0, v[0:1], off offset:24
	v_mov_b32_e32 v1, 0
	s_waitcnt vmcnt(0)
	global_store_dwordx2 v[2:3], v[0:1], off
	v_and_b32_e32 v0, 0xffffff, v0
	v_readfirstlane_b32 m0, v0
	s_sendmsg sendmsg(MSG_INTERRUPT)
.LBB8_1339:
	s_or_b64 exec, exec, s[18:19]
	s_branch .LBB8_1343
.LBB8_1340:                             ;   in Loop: Header=BB8_1343 Depth=1
	s_or_b64 exec, exec, s[18:19]
	v_readfirstlane_b32 s15, v0
	s_cmp_eq_u32 s15, 0
	s_cbranch_scc1 .LBB8_1342
; %bb.1341:                             ;   in Loop: Header=BB8_1343 Depth=1
	s_sleep 1
	s_cbranch_execnz .LBB8_1343
	s_branch .LBB8_1345
.LBB8_1342:
	s_branch .LBB8_1345
.LBB8_1343:                             ; =>This Inner Loop Header: Depth=1
	v_mov_b32_e32 v0, 1
	s_and_saveexec_b64 s[18:19], s[4:5]
	s_cbranch_execz .LBB8_1340
; %bb.1344:                             ;   in Loop: Header=BB8_1343 Depth=1
	global_load_dword v0, v[7:8], off offset:20 glc
	s_waitcnt vmcnt(0)
	buffer_wbinvl1_vol
	v_and_b32_e32 v0, 1, v0
	s_branch .LBB8_1340
.LBB8_1345:
	global_load_dwordx2 v[4:5], v[9:10], off
	s_and_saveexec_b64 s[18:19], s[4:5]
	s_cbranch_execz .LBB8_1348
; %bb.1346:
	v_mov_b32_e32 v8, 0
	global_load_dwordx2 v[2:3], v8, s[6:7] offset:40
	global_load_dwordx2 v[9:10], v8, s[6:7] offset:24 glc
	global_load_dwordx2 v[6:7], v8, s[6:7]
	v_mov_b32_e32 v1, s17
	s_mov_b64 s[4:5], 0
	s_waitcnt vmcnt(2)
	v_add_co_u32_e32 v11, vcc, 1, v2
	v_addc_co_u32_e32 v12, vcc, 0, v3, vcc
	v_add_co_u32_e32 v0, vcc, s16, v11
	v_addc_co_u32_e32 v1, vcc, v12, v1, vcc
	v_cmp_eq_u64_e32 vcc, 0, v[0:1]
	v_cndmask_b32_e32 v1, v1, v12, vcc
	v_cndmask_b32_e32 v0, v0, v11, vcc
	v_and_b32_e32 v3, v1, v3
	v_and_b32_e32 v2, v0, v2
	v_mul_lo_u32 v3, v3, 24
	v_mul_hi_u32 v11, v2, 24
	v_mul_lo_u32 v12, v2, 24
	s_waitcnt vmcnt(1)
	v_mov_b32_e32 v2, v9
	v_add_u32_e32 v3, v11, v3
	s_waitcnt vmcnt(0)
	v_add_co_u32_e32 v6, vcc, v6, v12
	v_addc_co_u32_e32 v7, vcc, v7, v3, vcc
	global_store_dwordx2 v[6:7], v[9:10], off
	v_mov_b32_e32 v3, v10
	s_waitcnt vmcnt(0)
	global_atomic_cmpswap_x2 v[2:3], v8, v[0:3], s[6:7] offset:24 glc
	s_waitcnt vmcnt(0)
	v_cmp_ne_u64_e32 vcc, v[2:3], v[9:10]
	s_and_b64 exec, exec, vcc
	s_cbranch_execz .LBB8_1348
.LBB8_1347:                             ; =>This Inner Loop Header: Depth=1
	s_sleep 1
	global_store_dwordx2 v[6:7], v[2:3], off
	s_waitcnt vmcnt(0)
	global_atomic_cmpswap_x2 v[9:10], v8, v[0:3], s[6:7] offset:24 glc
	s_waitcnt vmcnt(0)
	v_cmp_eq_u64_e32 vcc, v[9:10], v[2:3]
	v_mov_b32_e32 v2, v9
	s_or_b64 s[4:5], vcc, s[4:5]
	v_mov_b32_e32 v3, v10
	s_andn2_b64 exec, exec, s[4:5]
	s_cbranch_execnz .LBB8_1347
.LBB8_1348:
	s_or_b64 exec, exec, s[18:19]
	s_and_b64 vcc, exec, s[10:11]
	s_cbranch_vccz .LBB8_1433
; %bb.1349:
	s_waitcnt vmcnt(0)
	v_and_b32_e32 v29, 2, v4
	v_mov_b32_e32 v26, 0
	v_and_b32_e32 v0, -3, v4
	v_mov_b32_e32 v1, v5
	s_mov_b64 s[16:17], 3
	v_mov_b32_e32 v8, 2
	v_mov_b32_e32 v9, 1
	s_getpc_b64 s[10:11]
	s_add_u32 s10, s10, .str.5@rel32@lo+4
	s_addc_u32 s11, s11, .str.5@rel32@hi+12
	s_branch .LBB8_1351
.LBB8_1350:                             ;   in Loop: Header=BB8_1351 Depth=1
	s_or_b64 exec, exec, s[22:23]
	s_sub_u32 s16, s16, s18
	s_subb_u32 s17, s17, s19
	s_add_u32 s10, s10, s18
	s_addc_u32 s11, s11, s19
	s_cmp_lg_u64 s[16:17], 0
	s_cbranch_scc0 .LBB8_1432
.LBB8_1351:                             ; =>This Loop Header: Depth=1
                                        ;     Child Loop BB8_1354 Depth 2
                                        ;     Child Loop BB8_1361 Depth 2
	;; [unrolled: 1-line block ×11, first 2 shown]
	v_cmp_lt_u64_e64 s[4:5], s[16:17], 56
	v_cmp_gt_u64_e64 s[20:21], s[16:17], 7
	s_and_b64 s[4:5], s[4:5], exec
	s_cselect_b32 s19, s17, 0
	s_cselect_b32 s18, s16, 56
	s_and_b64 vcc, exec, s[20:21]
	s_cbranch_vccnz .LBB8_1356
; %bb.1352:                             ;   in Loop: Header=BB8_1351 Depth=1
	s_waitcnt vmcnt(0)
	v_mov_b32_e32 v2, 0
	s_cmp_eq_u64 s[16:17], 0
	v_mov_b32_e32 v3, 0
	s_mov_b64 s[4:5], 0
	s_cbranch_scc1 .LBB8_1355
; %bb.1353:                             ;   in Loop: Header=BB8_1351 Depth=1
	v_mov_b32_e32 v2, 0
	s_lshl_b64 s[20:21], s[18:19], 3
	s_mov_b64 s[22:23], 0
	v_mov_b32_e32 v3, 0
	s_mov_b64 s[24:25], s[10:11]
.LBB8_1354:                             ;   Parent Loop BB8_1351 Depth=1
                                        ; =>  This Inner Loop Header: Depth=2
	global_load_ubyte v6, v26, s[24:25]
	s_waitcnt vmcnt(0)
	v_and_b32_e32 v25, 0xffff, v6
	v_lshlrev_b64 v[6:7], s22, v[25:26]
	s_add_u32 s22, s22, 8
	s_addc_u32 s23, s23, 0
	s_add_u32 s24, s24, 1
	s_addc_u32 s25, s25, 0
	v_or_b32_e32 v2, v6, v2
	s_cmp_lg_u32 s20, s22
	v_or_b32_e32 v3, v7, v3
	s_cbranch_scc1 .LBB8_1354
.LBB8_1355:                             ;   in Loop: Header=BB8_1351 Depth=1
	s_mov_b32 s15, 0
	s_andn2_b64 vcc, exec, s[4:5]
	s_mov_b64 s[4:5], s[10:11]
	s_cbranch_vccz .LBB8_1357
	s_branch .LBB8_1358
.LBB8_1356:                             ;   in Loop: Header=BB8_1351 Depth=1
                                        ; implicit-def: $vgpr2_vgpr3
                                        ; implicit-def: $sgpr15
	s_mov_b64 s[4:5], s[10:11]
.LBB8_1357:                             ;   in Loop: Header=BB8_1351 Depth=1
	global_load_dwordx2 v[2:3], v26, s[10:11]
	s_add_i32 s15, s18, -8
	s_add_u32 s4, s10, 8
	s_addc_u32 s5, s11, 0
.LBB8_1358:                             ;   in Loop: Header=BB8_1351 Depth=1
	s_cmp_gt_u32 s15, 7
	s_cbranch_scc1 .LBB8_1362
; %bb.1359:                             ;   in Loop: Header=BB8_1351 Depth=1
	s_cmp_eq_u32 s15, 0
	s_cbranch_scc1 .LBB8_1363
; %bb.1360:                             ;   in Loop: Header=BB8_1351 Depth=1
	v_mov_b32_e32 v10, 0
	s_mov_b64 s[20:21], 0
	v_mov_b32_e32 v11, 0
	s_mov_b64 s[22:23], 0
.LBB8_1361:                             ;   Parent Loop BB8_1351 Depth=1
                                        ; =>  This Inner Loop Header: Depth=2
	s_add_u32 s24, s4, s22
	s_addc_u32 s25, s5, s23
	global_load_ubyte v6, v26, s[24:25]
	s_add_u32 s22, s22, 1
	s_addc_u32 s23, s23, 0
	s_waitcnt vmcnt(0)
	v_and_b32_e32 v25, 0xffff, v6
	v_lshlrev_b64 v[6:7], s20, v[25:26]
	s_add_u32 s20, s20, 8
	s_addc_u32 s21, s21, 0
	v_or_b32_e32 v10, v6, v10
	s_cmp_lg_u32 s15, s22
	v_or_b32_e32 v11, v7, v11
	s_cbranch_scc1 .LBB8_1361
	s_branch .LBB8_1364
.LBB8_1362:                             ;   in Loop: Header=BB8_1351 Depth=1
                                        ; implicit-def: $vgpr10_vgpr11
                                        ; implicit-def: $sgpr24
	s_branch .LBB8_1365
.LBB8_1363:                             ;   in Loop: Header=BB8_1351 Depth=1
	v_mov_b32_e32 v10, 0
	v_mov_b32_e32 v11, 0
.LBB8_1364:                             ;   in Loop: Header=BB8_1351 Depth=1
	s_mov_b32 s24, 0
	s_cbranch_execnz .LBB8_1366
.LBB8_1365:                             ;   in Loop: Header=BB8_1351 Depth=1
	global_load_dwordx2 v[10:11], v26, s[4:5]
	s_add_i32 s24, s15, -8
	s_add_u32 s4, s4, 8
	s_addc_u32 s5, s5, 0
.LBB8_1366:                             ;   in Loop: Header=BB8_1351 Depth=1
	s_cmp_gt_u32 s24, 7
	s_cbranch_scc1 .LBB8_1370
; %bb.1367:                             ;   in Loop: Header=BB8_1351 Depth=1
	s_cmp_eq_u32 s24, 0
	s_cbranch_scc1 .LBB8_1371
; %bb.1368:                             ;   in Loop: Header=BB8_1351 Depth=1
	v_mov_b32_e32 v12, 0
	s_mov_b64 s[20:21], 0
	v_mov_b32_e32 v13, 0
	s_mov_b64 s[22:23], 0
.LBB8_1369:                             ;   Parent Loop BB8_1351 Depth=1
                                        ; =>  This Inner Loop Header: Depth=2
	s_add_u32 s26, s4, s22
	s_addc_u32 s27, s5, s23
	global_load_ubyte v6, v26, s[26:27]
	s_add_u32 s22, s22, 1
	s_addc_u32 s23, s23, 0
	s_waitcnt vmcnt(0)
	v_and_b32_e32 v25, 0xffff, v6
	v_lshlrev_b64 v[6:7], s20, v[25:26]
	s_add_u32 s20, s20, 8
	s_addc_u32 s21, s21, 0
	v_or_b32_e32 v12, v6, v12
	s_cmp_lg_u32 s24, s22
	v_or_b32_e32 v13, v7, v13
	s_cbranch_scc1 .LBB8_1369
	s_branch .LBB8_1372
.LBB8_1370:                             ;   in Loop: Header=BB8_1351 Depth=1
                                        ; implicit-def: $sgpr15
	s_branch .LBB8_1373
.LBB8_1371:                             ;   in Loop: Header=BB8_1351 Depth=1
	v_mov_b32_e32 v12, 0
	v_mov_b32_e32 v13, 0
.LBB8_1372:                             ;   in Loop: Header=BB8_1351 Depth=1
	s_mov_b32 s15, 0
	s_cbranch_execnz .LBB8_1374
.LBB8_1373:                             ;   in Loop: Header=BB8_1351 Depth=1
	global_load_dwordx2 v[12:13], v26, s[4:5]
	s_add_i32 s15, s24, -8
	s_add_u32 s4, s4, 8
	s_addc_u32 s5, s5, 0
.LBB8_1374:                             ;   in Loop: Header=BB8_1351 Depth=1
	s_cmp_gt_u32 s15, 7
	s_cbranch_scc1 .LBB8_1378
; %bb.1375:                             ;   in Loop: Header=BB8_1351 Depth=1
	s_cmp_eq_u32 s15, 0
	s_cbranch_scc1 .LBB8_1379
; %bb.1376:                             ;   in Loop: Header=BB8_1351 Depth=1
	v_mov_b32_e32 v14, 0
	s_mov_b64 s[20:21], 0
	v_mov_b32_e32 v15, 0
	s_mov_b64 s[22:23], 0
.LBB8_1377:                             ;   Parent Loop BB8_1351 Depth=1
                                        ; =>  This Inner Loop Header: Depth=2
	s_add_u32 s24, s4, s22
	s_addc_u32 s25, s5, s23
	global_load_ubyte v6, v26, s[24:25]
	s_add_u32 s22, s22, 1
	s_addc_u32 s23, s23, 0
	s_waitcnt vmcnt(0)
	v_and_b32_e32 v25, 0xffff, v6
	v_lshlrev_b64 v[6:7], s20, v[25:26]
	s_add_u32 s20, s20, 8
	s_addc_u32 s21, s21, 0
	v_or_b32_e32 v14, v6, v14
	s_cmp_lg_u32 s15, s22
	v_or_b32_e32 v15, v7, v15
	s_cbranch_scc1 .LBB8_1377
	s_branch .LBB8_1380
.LBB8_1378:                             ;   in Loop: Header=BB8_1351 Depth=1
                                        ; implicit-def: $vgpr14_vgpr15
                                        ; implicit-def: $sgpr24
	s_branch .LBB8_1381
.LBB8_1379:                             ;   in Loop: Header=BB8_1351 Depth=1
	v_mov_b32_e32 v14, 0
	v_mov_b32_e32 v15, 0
.LBB8_1380:                             ;   in Loop: Header=BB8_1351 Depth=1
	s_mov_b32 s24, 0
	s_cbranch_execnz .LBB8_1382
.LBB8_1381:                             ;   in Loop: Header=BB8_1351 Depth=1
	global_load_dwordx2 v[14:15], v26, s[4:5]
	s_add_i32 s24, s15, -8
	s_add_u32 s4, s4, 8
	s_addc_u32 s5, s5, 0
.LBB8_1382:                             ;   in Loop: Header=BB8_1351 Depth=1
	s_cmp_gt_u32 s24, 7
	s_cbranch_scc1 .LBB8_1386
; %bb.1383:                             ;   in Loop: Header=BB8_1351 Depth=1
	s_cmp_eq_u32 s24, 0
	s_cbranch_scc1 .LBB8_1387
; %bb.1384:                             ;   in Loop: Header=BB8_1351 Depth=1
	v_mov_b32_e32 v16, 0
	s_mov_b64 s[20:21], 0
	v_mov_b32_e32 v17, 0
	s_mov_b64 s[22:23], 0
.LBB8_1385:                             ;   Parent Loop BB8_1351 Depth=1
                                        ; =>  This Inner Loop Header: Depth=2
	s_add_u32 s26, s4, s22
	s_addc_u32 s27, s5, s23
	global_load_ubyte v6, v26, s[26:27]
	s_add_u32 s22, s22, 1
	s_addc_u32 s23, s23, 0
	s_waitcnt vmcnt(0)
	v_and_b32_e32 v25, 0xffff, v6
	v_lshlrev_b64 v[6:7], s20, v[25:26]
	s_add_u32 s20, s20, 8
	s_addc_u32 s21, s21, 0
	v_or_b32_e32 v16, v6, v16
	s_cmp_lg_u32 s24, s22
	v_or_b32_e32 v17, v7, v17
	s_cbranch_scc1 .LBB8_1385
	s_branch .LBB8_1388
.LBB8_1386:                             ;   in Loop: Header=BB8_1351 Depth=1
                                        ; implicit-def: $sgpr15
	s_branch .LBB8_1389
.LBB8_1387:                             ;   in Loop: Header=BB8_1351 Depth=1
	v_mov_b32_e32 v16, 0
	v_mov_b32_e32 v17, 0
.LBB8_1388:                             ;   in Loop: Header=BB8_1351 Depth=1
	s_mov_b32 s15, 0
	s_cbranch_execnz .LBB8_1390
.LBB8_1389:                             ;   in Loop: Header=BB8_1351 Depth=1
	global_load_dwordx2 v[16:17], v26, s[4:5]
	s_add_i32 s15, s24, -8
	s_add_u32 s4, s4, 8
	s_addc_u32 s5, s5, 0
.LBB8_1390:                             ;   in Loop: Header=BB8_1351 Depth=1
	s_cmp_gt_u32 s15, 7
	s_cbranch_scc1 .LBB8_1394
; %bb.1391:                             ;   in Loop: Header=BB8_1351 Depth=1
	s_cmp_eq_u32 s15, 0
	s_cbranch_scc1 .LBB8_1395
; %bb.1392:                             ;   in Loop: Header=BB8_1351 Depth=1
	v_mov_b32_e32 v18, 0
	s_mov_b64 s[20:21], 0
	v_mov_b32_e32 v19, 0
	s_mov_b64 s[22:23], 0
.LBB8_1393:                             ;   Parent Loop BB8_1351 Depth=1
                                        ; =>  This Inner Loop Header: Depth=2
	s_add_u32 s24, s4, s22
	s_addc_u32 s25, s5, s23
	global_load_ubyte v6, v26, s[24:25]
	s_add_u32 s22, s22, 1
	s_addc_u32 s23, s23, 0
	s_waitcnt vmcnt(0)
	v_and_b32_e32 v25, 0xffff, v6
	v_lshlrev_b64 v[6:7], s20, v[25:26]
	s_add_u32 s20, s20, 8
	s_addc_u32 s21, s21, 0
	v_or_b32_e32 v18, v6, v18
	s_cmp_lg_u32 s15, s22
	v_or_b32_e32 v19, v7, v19
	s_cbranch_scc1 .LBB8_1393
	s_branch .LBB8_1396
.LBB8_1394:                             ;   in Loop: Header=BB8_1351 Depth=1
                                        ; implicit-def: $vgpr18_vgpr19
                                        ; implicit-def: $sgpr24
	s_branch .LBB8_1397
.LBB8_1395:                             ;   in Loop: Header=BB8_1351 Depth=1
	v_mov_b32_e32 v18, 0
	v_mov_b32_e32 v19, 0
.LBB8_1396:                             ;   in Loop: Header=BB8_1351 Depth=1
	s_mov_b32 s24, 0
	s_cbranch_execnz .LBB8_1398
.LBB8_1397:                             ;   in Loop: Header=BB8_1351 Depth=1
	global_load_dwordx2 v[18:19], v26, s[4:5]
	s_add_i32 s24, s15, -8
	s_add_u32 s4, s4, 8
	s_addc_u32 s5, s5, 0
.LBB8_1398:                             ;   in Loop: Header=BB8_1351 Depth=1
	s_cmp_gt_u32 s24, 7
	s_cbranch_scc1 .LBB8_1402
; %bb.1399:                             ;   in Loop: Header=BB8_1351 Depth=1
	s_cmp_eq_u32 s24, 0
	s_cbranch_scc1 .LBB8_1403
; %bb.1400:                             ;   in Loop: Header=BB8_1351 Depth=1
	v_mov_b32_e32 v20, 0
	s_mov_b64 s[20:21], 0
	v_mov_b32_e32 v21, 0
	s_mov_b64 s[22:23], s[4:5]
.LBB8_1401:                             ;   Parent Loop BB8_1351 Depth=1
                                        ; =>  This Inner Loop Header: Depth=2
	global_load_ubyte v6, v26, s[22:23]
	s_add_i32 s24, s24, -1
	s_waitcnt vmcnt(0)
	v_and_b32_e32 v25, 0xffff, v6
	v_lshlrev_b64 v[6:7], s20, v[25:26]
	s_add_u32 s20, s20, 8
	s_addc_u32 s21, s21, 0
	s_add_u32 s22, s22, 1
	s_addc_u32 s23, s23, 0
	v_or_b32_e32 v20, v6, v20
	s_cmp_lg_u32 s24, 0
	v_or_b32_e32 v21, v7, v21
	s_cbranch_scc1 .LBB8_1401
	s_branch .LBB8_1404
.LBB8_1402:                             ;   in Loop: Header=BB8_1351 Depth=1
	s_branch .LBB8_1405
.LBB8_1403:                             ;   in Loop: Header=BB8_1351 Depth=1
	v_mov_b32_e32 v20, 0
	v_mov_b32_e32 v21, 0
.LBB8_1404:                             ;   in Loop: Header=BB8_1351 Depth=1
	s_cbranch_execnz .LBB8_1406
.LBB8_1405:                             ;   in Loop: Header=BB8_1351 Depth=1
	global_load_dwordx2 v[20:21], v26, s[4:5]
.LBB8_1406:                             ;   in Loop: Header=BB8_1351 Depth=1
	v_readfirstlane_b32 s4, v32
	v_mov_b32_e32 v6, 0
	v_mov_b32_e32 v7, 0
	v_cmp_eq_u32_e64 s[4:5], s4, v32
	s_and_saveexec_b64 s[20:21], s[4:5]
	s_cbranch_execz .LBB8_1412
; %bb.1407:                             ;   in Loop: Header=BB8_1351 Depth=1
	global_load_dwordx2 v[24:25], v26, s[6:7] offset:24 glc
	s_waitcnt vmcnt(0)
	buffer_wbinvl1_vol
	global_load_dwordx2 v[6:7], v26, s[6:7] offset:40
	global_load_dwordx2 v[22:23], v26, s[6:7]
	s_waitcnt vmcnt(1)
	v_and_b32_e32 v6, v6, v24
	v_and_b32_e32 v7, v7, v25
	v_mul_lo_u32 v7, v7, 24
	v_mul_hi_u32 v27, v6, 24
	v_mul_lo_u32 v6, v6, 24
	v_add_u32_e32 v7, v27, v7
	s_waitcnt vmcnt(0)
	v_add_co_u32_e32 v6, vcc, v22, v6
	v_addc_co_u32_e32 v7, vcc, v23, v7, vcc
	global_load_dwordx2 v[22:23], v[6:7], off glc
	s_waitcnt vmcnt(0)
	global_atomic_cmpswap_x2 v[6:7], v26, v[22:25], s[6:7] offset:24 glc
	s_waitcnt vmcnt(0)
	buffer_wbinvl1_vol
	v_cmp_ne_u64_e32 vcc, v[6:7], v[24:25]
	s_and_saveexec_b64 s[22:23], vcc
	s_cbranch_execz .LBB8_1411
; %bb.1408:                             ;   in Loop: Header=BB8_1351 Depth=1
	s_mov_b64 s[24:25], 0
.LBB8_1409:                             ;   Parent Loop BB8_1351 Depth=1
                                        ; =>  This Inner Loop Header: Depth=2
	s_sleep 1
	global_load_dwordx2 v[22:23], v26, s[6:7] offset:40
	global_load_dwordx2 v[27:28], v26, s[6:7]
	v_mov_b32_e32 v25, v7
	v_mov_b32_e32 v24, v6
	s_waitcnt vmcnt(1)
	v_and_b32_e32 v6, v22, v24
	s_waitcnt vmcnt(0)
	v_mad_u64_u32 v[6:7], s[26:27], v6, 24, v[27:28]
	v_and_b32_e32 v22, v23, v25
	v_mad_u64_u32 v[22:23], s[26:27], v22, 24, v[7:8]
	v_mov_b32_e32 v7, v22
	global_load_dwordx2 v[22:23], v[6:7], off glc
	s_waitcnt vmcnt(0)
	global_atomic_cmpswap_x2 v[6:7], v26, v[22:25], s[6:7] offset:24 glc
	s_waitcnt vmcnt(0)
	buffer_wbinvl1_vol
	v_cmp_eq_u64_e32 vcc, v[6:7], v[24:25]
	s_or_b64 s[24:25], vcc, s[24:25]
	s_andn2_b64 exec, exec, s[24:25]
	s_cbranch_execnz .LBB8_1409
; %bb.1410:                             ;   in Loop: Header=BB8_1351 Depth=1
	s_or_b64 exec, exec, s[24:25]
.LBB8_1411:                             ;   in Loop: Header=BB8_1351 Depth=1
	s_or_b64 exec, exec, s[22:23]
.LBB8_1412:                             ;   in Loop: Header=BB8_1351 Depth=1
	s_or_b64 exec, exec, s[20:21]
	global_load_dwordx2 v[27:28], v26, s[6:7] offset:40
	global_load_dwordx4 v[22:25], v26, s[6:7]
	v_readfirstlane_b32 s20, v6
	v_readfirstlane_b32 s21, v7
	s_mov_b64 s[22:23], exec
	s_waitcnt vmcnt(1)
	v_readfirstlane_b32 s24, v27
	v_readfirstlane_b32 s25, v28
	s_and_b64 s[24:25], s[20:21], s[24:25]
	s_mul_i32 s15, s25, 24
	s_mul_hi_u32 s26, s24, 24
	s_mul_i32 s27, s24, 24
	s_add_i32 s15, s26, s15
	v_mov_b32_e32 v6, s15
	s_waitcnt vmcnt(0)
	v_add_co_u32_e32 v27, vcc, s27, v22
	v_addc_co_u32_e32 v28, vcc, v23, v6, vcc
	s_and_saveexec_b64 s[26:27], s[4:5]
	s_cbranch_execz .LBB8_1414
; %bb.1413:                             ;   in Loop: Header=BB8_1351 Depth=1
	v_mov_b32_e32 v6, s22
	v_mov_b32_e32 v7, s23
	global_store_dwordx4 v[27:28], v[6:9], off offset:8
.LBB8_1414:                             ;   in Loop: Header=BB8_1351 Depth=1
	s_or_b64 exec, exec, s[26:27]
	s_lshl_b64 s[22:23], s[24:25], 12
	v_mov_b32_e32 v6, s23
	v_add_co_u32_e32 v24, vcc, s22, v24
	v_addc_co_u32_e32 v30, vcc, v25, v6, vcc
	v_cmp_gt_u64_e64 vcc, s[16:17], 56
	v_or_b32_e32 v7, v0, v29
	s_lshl_b32 s15, s18, 2
	v_cndmask_b32_e32 v0, v7, v0, vcc
	s_add_i32 s15, s15, 28
	v_or_b32_e32 v6, 0, v1
	s_and_b32 s15, s15, 0x1e0
	v_and_b32_e32 v0, 0xffffff1f, v0
	v_cndmask_b32_e32 v1, v6, v1, vcc
	v_or_b32_e32 v0, s15, v0
	v_readfirstlane_b32 s22, v24
	v_readfirstlane_b32 s23, v30
	s_nop 4
	global_store_dwordx4 v31, v[0:3], s[22:23]
	global_store_dwordx4 v31, v[10:13], s[22:23] offset:16
	global_store_dwordx4 v31, v[14:17], s[22:23] offset:32
	;; [unrolled: 1-line block ×3, first 2 shown]
	s_and_saveexec_b64 s[22:23], s[4:5]
	s_cbranch_execz .LBB8_1422
; %bb.1415:                             ;   in Loop: Header=BB8_1351 Depth=1
	global_load_dwordx2 v[12:13], v26, s[6:7] offset:32 glc
	global_load_dwordx2 v[0:1], v26, s[6:7] offset:40
	v_mov_b32_e32 v10, s20
	v_mov_b32_e32 v11, s21
	s_waitcnt vmcnt(0)
	v_readfirstlane_b32 s24, v0
	v_readfirstlane_b32 s25, v1
	s_and_b64 s[24:25], s[24:25], s[20:21]
	s_mul_i32 s15, s25, 24
	s_mul_hi_u32 s25, s24, 24
	s_mul_i32 s24, s24, 24
	s_add_i32 s15, s25, s15
	v_mov_b32_e32 v0, s15
	v_add_co_u32_e32 v6, vcc, s24, v22
	v_addc_co_u32_e32 v7, vcc, v23, v0, vcc
	global_store_dwordx2 v[6:7], v[12:13], off
	s_waitcnt vmcnt(0)
	global_atomic_cmpswap_x2 v[2:3], v26, v[10:13], s[6:7] offset:32 glc
	s_waitcnt vmcnt(0)
	v_cmp_ne_u64_e32 vcc, v[2:3], v[12:13]
	s_and_saveexec_b64 s[24:25], vcc
	s_cbranch_execz .LBB8_1418
; %bb.1416:                             ;   in Loop: Header=BB8_1351 Depth=1
	s_mov_b64 s[26:27], 0
.LBB8_1417:                             ;   Parent Loop BB8_1351 Depth=1
                                        ; =>  This Inner Loop Header: Depth=2
	s_sleep 1
	global_store_dwordx2 v[6:7], v[2:3], off
	v_mov_b32_e32 v0, s20
	v_mov_b32_e32 v1, s21
	s_waitcnt vmcnt(0)
	global_atomic_cmpswap_x2 v[0:1], v26, v[0:3], s[6:7] offset:32 glc
	s_waitcnt vmcnt(0)
	v_cmp_eq_u64_e32 vcc, v[0:1], v[2:3]
	v_mov_b32_e32 v3, v1
	s_or_b64 s[26:27], vcc, s[26:27]
	v_mov_b32_e32 v2, v0
	s_andn2_b64 exec, exec, s[26:27]
	s_cbranch_execnz .LBB8_1417
.LBB8_1418:                             ;   in Loop: Header=BB8_1351 Depth=1
	s_or_b64 exec, exec, s[24:25]
	global_load_dwordx2 v[0:1], v26, s[6:7] offset:16
	s_mov_b64 s[26:27], exec
	v_mbcnt_lo_u32_b32 v2, s26, 0
	v_mbcnt_hi_u32_b32 v2, s27, v2
	v_cmp_eq_u32_e32 vcc, 0, v2
	s_and_saveexec_b64 s[24:25], vcc
	s_cbranch_execz .LBB8_1420
; %bb.1419:                             ;   in Loop: Header=BB8_1351 Depth=1
	s_bcnt1_i32_b64 s15, s[26:27]
	v_mov_b32_e32 v25, s15
	s_waitcnt vmcnt(0)
	global_atomic_add_x2 v[0:1], v[25:26], off offset:8
.LBB8_1420:                             ;   in Loop: Header=BB8_1351 Depth=1
	s_or_b64 exec, exec, s[24:25]
	s_waitcnt vmcnt(0)
	global_load_dwordx2 v[2:3], v[0:1], off offset:16
	s_waitcnt vmcnt(0)
	v_cmp_eq_u64_e32 vcc, 0, v[2:3]
	s_cbranch_vccnz .LBB8_1422
; %bb.1421:                             ;   in Loop: Header=BB8_1351 Depth=1
	global_load_dword v25, v[0:1], off offset:24
	s_waitcnt vmcnt(0)
	v_and_b32_e32 v0, 0xffffff, v25
	v_readfirstlane_b32 m0, v0
	global_store_dwordx2 v[2:3], v[25:26], off
	s_sendmsg sendmsg(MSG_INTERRUPT)
.LBB8_1422:                             ;   in Loop: Header=BB8_1351 Depth=1
	s_or_b64 exec, exec, s[22:23]
	v_add_co_u32_e32 v0, vcc, v24, v31
	v_addc_co_u32_e32 v1, vcc, 0, v30, vcc
	s_branch .LBB8_1426
.LBB8_1423:                             ;   in Loop: Header=BB8_1426 Depth=2
	s_or_b64 exec, exec, s[22:23]
	v_readfirstlane_b32 s15, v2
	s_cmp_eq_u32 s15, 0
	s_cbranch_scc1 .LBB8_1425
; %bb.1424:                             ;   in Loop: Header=BB8_1426 Depth=2
	s_sleep 1
	s_cbranch_execnz .LBB8_1426
	s_branch .LBB8_1428
.LBB8_1425:                             ;   in Loop: Header=BB8_1351 Depth=1
	s_branch .LBB8_1428
.LBB8_1426:                             ;   Parent Loop BB8_1351 Depth=1
                                        ; =>  This Inner Loop Header: Depth=2
	v_mov_b32_e32 v2, 1
	s_and_saveexec_b64 s[22:23], s[4:5]
	s_cbranch_execz .LBB8_1423
; %bb.1427:                             ;   in Loop: Header=BB8_1426 Depth=2
	global_load_dword v2, v[27:28], off offset:20 glc
	s_waitcnt vmcnt(0)
	buffer_wbinvl1_vol
	v_and_b32_e32 v2, 1, v2
	s_branch .LBB8_1423
.LBB8_1428:                             ;   in Loop: Header=BB8_1351 Depth=1
	global_load_dwordx4 v[0:3], v[0:1], off
	s_and_saveexec_b64 s[22:23], s[4:5]
	s_cbranch_execz .LBB8_1350
; %bb.1429:                             ;   in Loop: Header=BB8_1351 Depth=1
	global_load_dwordx2 v[2:3], v26, s[6:7] offset:40
	global_load_dwordx2 v[6:7], v26, s[6:7] offset:24 glc
	global_load_dwordx2 v[13:14], v26, s[6:7]
	v_mov_b32_e32 v11, s21
	s_waitcnt vmcnt(2)
	v_add_co_u32_e32 v12, vcc, 1, v2
	v_addc_co_u32_e32 v15, vcc, 0, v3, vcc
	v_add_co_u32_e32 v10, vcc, s20, v12
	v_addc_co_u32_e32 v11, vcc, v15, v11, vcc
	v_cmp_eq_u64_e32 vcc, 0, v[10:11]
	v_cndmask_b32_e32 v11, v11, v15, vcc
	v_cndmask_b32_e32 v10, v10, v12, vcc
	v_and_b32_e32 v3, v11, v3
	v_and_b32_e32 v2, v10, v2
	v_mul_lo_u32 v3, v3, 24
	v_mul_hi_u32 v15, v2, 24
	v_mul_lo_u32 v2, v2, 24
	s_waitcnt vmcnt(1)
	v_mov_b32_e32 v12, v6
	v_add_u32_e32 v3, v15, v3
	s_waitcnt vmcnt(0)
	v_add_co_u32_e32 v2, vcc, v13, v2
	v_addc_co_u32_e32 v3, vcc, v14, v3, vcc
	global_store_dwordx2 v[2:3], v[6:7], off
	v_mov_b32_e32 v13, v7
	s_waitcnt vmcnt(0)
	global_atomic_cmpswap_x2 v[12:13], v26, v[10:13], s[6:7] offset:24 glc
	s_waitcnt vmcnt(0)
	v_cmp_ne_u64_e32 vcc, v[12:13], v[6:7]
	s_and_b64 exec, exec, vcc
	s_cbranch_execz .LBB8_1350
; %bb.1430:                             ;   in Loop: Header=BB8_1351 Depth=1
	s_mov_b64 s[4:5], 0
.LBB8_1431:                             ;   Parent Loop BB8_1351 Depth=1
                                        ; =>  This Inner Loop Header: Depth=2
	s_sleep 1
	global_store_dwordx2 v[2:3], v[12:13], off
	s_waitcnt vmcnt(0)
	global_atomic_cmpswap_x2 v[6:7], v26, v[10:13], s[6:7] offset:24 glc
	s_waitcnt vmcnt(0)
	v_cmp_eq_u64_e32 vcc, v[6:7], v[12:13]
	v_mov_b32_e32 v13, v7
	s_or_b64 s[4:5], vcc, s[4:5]
	v_mov_b32_e32 v12, v6
	s_andn2_b64 exec, exec, s[4:5]
	s_cbranch_execnz .LBB8_1431
	s_branch .LBB8_1350
.LBB8_1432:
	s_branch .LBB8_1460
.LBB8_1433:
                                        ; implicit-def: $vgpr0_vgpr1
	s_cbranch_execz .LBB8_1460
; %bb.1434:
	v_readfirstlane_b32 s4, v32
	v_mov_b32_e32 v7, 0
	v_mov_b32_e32 v8, 0
	v_cmp_eq_u32_e64 s[4:5], s4, v32
	s_and_saveexec_b64 s[10:11], s[4:5]
	s_cbranch_execz .LBB8_1440
; %bb.1435:
	s_waitcnt vmcnt(0)
	v_mov_b32_e32 v0, 0
	global_load_dwordx2 v[9:10], v0, s[6:7] offset:24 glc
	s_waitcnt vmcnt(0)
	buffer_wbinvl1_vol
	global_load_dwordx2 v[1:2], v0, s[6:7] offset:40
	global_load_dwordx2 v[6:7], v0, s[6:7]
	s_waitcnt vmcnt(1)
	v_and_b32_e32 v1, v1, v9
	v_and_b32_e32 v2, v2, v10
	v_mul_lo_u32 v2, v2, 24
	v_mul_hi_u32 v3, v1, 24
	v_mul_lo_u32 v1, v1, 24
	v_add_u32_e32 v2, v3, v2
	s_waitcnt vmcnt(0)
	v_add_co_u32_e32 v1, vcc, v6, v1
	v_addc_co_u32_e32 v2, vcc, v7, v2, vcc
	global_load_dwordx2 v[7:8], v[1:2], off glc
	s_waitcnt vmcnt(0)
	global_atomic_cmpswap_x2 v[7:8], v0, v[7:10], s[6:7] offset:24 glc
	s_waitcnt vmcnt(0)
	buffer_wbinvl1_vol
	v_cmp_ne_u64_e32 vcc, v[7:8], v[9:10]
	s_and_saveexec_b64 s[16:17], vcc
	s_cbranch_execz .LBB8_1439
; %bb.1436:
	s_mov_b64 s[18:19], 0
.LBB8_1437:                             ; =>This Inner Loop Header: Depth=1
	s_sleep 1
	global_load_dwordx2 v[1:2], v0, s[6:7] offset:40
	global_load_dwordx2 v[11:12], v0, s[6:7]
	v_mov_b32_e32 v10, v8
	v_mov_b32_e32 v9, v7
	s_waitcnt vmcnt(1)
	v_and_b32_e32 v1, v1, v9
	s_waitcnt vmcnt(0)
	v_mad_u64_u32 v[6:7], s[20:21], v1, 24, v[11:12]
	v_and_b32_e32 v2, v2, v10
	v_mov_b32_e32 v1, v7
	v_mad_u64_u32 v[1:2], s[20:21], v2, 24, v[1:2]
	v_mov_b32_e32 v7, v1
	global_load_dwordx2 v[7:8], v[6:7], off glc
	s_waitcnt vmcnt(0)
	global_atomic_cmpswap_x2 v[7:8], v0, v[7:10], s[6:7] offset:24 glc
	s_waitcnt vmcnt(0)
	buffer_wbinvl1_vol
	v_cmp_eq_u64_e32 vcc, v[7:8], v[9:10]
	s_or_b64 s[18:19], vcc, s[18:19]
	s_andn2_b64 exec, exec, s[18:19]
	s_cbranch_execnz .LBB8_1437
; %bb.1438:
	s_or_b64 exec, exec, s[18:19]
.LBB8_1439:
	s_or_b64 exec, exec, s[16:17]
.LBB8_1440:
	s_or_b64 exec, exec, s[10:11]
	v_mov_b32_e32 v6, 0
	global_load_dwordx2 v[9:10], v6, s[6:7] offset:40
	global_load_dwordx4 v[0:3], v6, s[6:7]
	v_readfirstlane_b32 s10, v7
	v_readfirstlane_b32 s11, v8
	s_mov_b64 s[16:17], exec
	s_waitcnt vmcnt(1)
	v_readfirstlane_b32 s18, v9
	v_readfirstlane_b32 s19, v10
	s_and_b64 s[18:19], s[10:11], s[18:19]
	s_mul_i32 s15, s19, 24
	s_mul_hi_u32 s20, s18, 24
	s_mul_i32 s21, s18, 24
	s_add_i32 s15, s20, s15
	v_mov_b32_e32 v7, s15
	s_waitcnt vmcnt(0)
	v_add_co_u32_e32 v8, vcc, s21, v0
	v_addc_co_u32_e32 v9, vcc, v1, v7, vcc
	s_and_saveexec_b64 s[20:21], s[4:5]
	s_cbranch_execz .LBB8_1442
; %bb.1441:
	v_mov_b32_e32 v10, s16
	v_mov_b32_e32 v11, s17
	;; [unrolled: 1-line block ×4, first 2 shown]
	global_store_dwordx4 v[8:9], v[10:13], off offset:8
.LBB8_1442:
	s_or_b64 exec, exec, s[20:21]
	s_lshl_b64 s[16:17], s[18:19], 12
	v_mov_b32_e32 v7, s17
	v_add_co_u32_e32 v2, vcc, s16, v2
	v_addc_co_u32_e32 v3, vcc, v3, v7, vcc
	s_movk_i32 s15, 0xff1f
	v_and_or_b32 v4, v4, s15, 32
	v_add_co_u32_e32 v10, vcc, v2, v31
	s_mov_b32 s16, 0
	v_mov_b32_e32 v7, v6
	v_readfirstlane_b32 s20, v2
	v_readfirstlane_b32 s21, v3
	v_addc_co_u32_e32 v11, vcc, 0, v3, vcc
	s_mov_b32 s17, s16
	s_mov_b32 s18, s16
	;; [unrolled: 1-line block ×3, first 2 shown]
	s_nop 0
	global_store_dwordx4 v31, v[4:7], s[20:21]
	v_mov_b32_e32 v2, s16
	v_mov_b32_e32 v3, s17
	;; [unrolled: 1-line block ×4, first 2 shown]
	global_store_dwordx4 v31, v[2:5], s[20:21] offset:16
	global_store_dwordx4 v31, v[2:5], s[20:21] offset:32
	;; [unrolled: 1-line block ×3, first 2 shown]
	s_and_saveexec_b64 s[16:17], s[4:5]
	s_cbranch_execz .LBB8_1450
; %bb.1443:
	v_mov_b32_e32 v6, 0
	global_load_dwordx2 v[14:15], v6, s[6:7] offset:32 glc
	global_load_dwordx2 v[2:3], v6, s[6:7] offset:40
	v_mov_b32_e32 v12, s10
	v_mov_b32_e32 v13, s11
	s_waitcnt vmcnt(0)
	v_readfirstlane_b32 s18, v2
	v_readfirstlane_b32 s19, v3
	s_and_b64 s[18:19], s[18:19], s[10:11]
	s_mul_i32 s15, s19, 24
	s_mul_hi_u32 s19, s18, 24
	s_mul_i32 s18, s18, 24
	s_add_i32 s15, s19, s15
	v_mov_b32_e32 v2, s15
	v_add_co_u32_e32 v4, vcc, s18, v0
	v_addc_co_u32_e32 v5, vcc, v1, v2, vcc
	global_store_dwordx2 v[4:5], v[14:15], off
	s_waitcnt vmcnt(0)
	global_atomic_cmpswap_x2 v[2:3], v6, v[12:15], s[6:7] offset:32 glc
	s_waitcnt vmcnt(0)
	v_cmp_ne_u64_e32 vcc, v[2:3], v[14:15]
	s_and_saveexec_b64 s[18:19], vcc
	s_cbranch_execz .LBB8_1446
; %bb.1444:
	s_mov_b64 s[20:21], 0
.LBB8_1445:                             ; =>This Inner Loop Header: Depth=1
	s_sleep 1
	global_store_dwordx2 v[4:5], v[2:3], off
	v_mov_b32_e32 v0, s10
	v_mov_b32_e32 v1, s11
	s_waitcnt vmcnt(0)
	global_atomic_cmpswap_x2 v[0:1], v6, v[0:3], s[6:7] offset:32 glc
	s_waitcnt vmcnt(0)
	v_cmp_eq_u64_e32 vcc, v[0:1], v[2:3]
	v_mov_b32_e32 v3, v1
	s_or_b64 s[20:21], vcc, s[20:21]
	v_mov_b32_e32 v2, v0
	s_andn2_b64 exec, exec, s[20:21]
	s_cbranch_execnz .LBB8_1445
.LBB8_1446:
	s_or_b64 exec, exec, s[18:19]
	v_mov_b32_e32 v3, 0
	global_load_dwordx2 v[0:1], v3, s[6:7] offset:16
	s_mov_b64 s[18:19], exec
	v_mbcnt_lo_u32_b32 v2, s18, 0
	v_mbcnt_hi_u32_b32 v2, s19, v2
	v_cmp_eq_u32_e32 vcc, 0, v2
	s_and_saveexec_b64 s[20:21], vcc
	s_cbranch_execz .LBB8_1448
; %bb.1447:
	s_bcnt1_i32_b64 s15, s[18:19]
	v_mov_b32_e32 v2, s15
	s_waitcnt vmcnt(0)
	global_atomic_add_x2 v[0:1], v[2:3], off offset:8
.LBB8_1448:
	s_or_b64 exec, exec, s[20:21]
	s_waitcnt vmcnt(0)
	global_load_dwordx2 v[2:3], v[0:1], off offset:16
	s_waitcnt vmcnt(0)
	v_cmp_eq_u64_e32 vcc, 0, v[2:3]
	s_cbranch_vccnz .LBB8_1450
; %bb.1449:
	global_load_dword v0, v[0:1], off offset:24
	v_mov_b32_e32 v1, 0
	s_waitcnt vmcnt(0)
	global_store_dwordx2 v[2:3], v[0:1], off
	v_and_b32_e32 v0, 0xffffff, v0
	v_readfirstlane_b32 m0, v0
	s_sendmsg sendmsg(MSG_INTERRUPT)
.LBB8_1450:
	s_or_b64 exec, exec, s[16:17]
	s_branch .LBB8_1454
.LBB8_1451:                             ;   in Loop: Header=BB8_1454 Depth=1
	s_or_b64 exec, exec, s[16:17]
	v_readfirstlane_b32 s15, v0
	s_cmp_eq_u32 s15, 0
	s_cbranch_scc1 .LBB8_1453
; %bb.1452:                             ;   in Loop: Header=BB8_1454 Depth=1
	s_sleep 1
	s_cbranch_execnz .LBB8_1454
	s_branch .LBB8_1456
.LBB8_1453:
	s_branch .LBB8_1456
.LBB8_1454:                             ; =>This Inner Loop Header: Depth=1
	v_mov_b32_e32 v0, 1
	s_and_saveexec_b64 s[16:17], s[4:5]
	s_cbranch_execz .LBB8_1451
; %bb.1455:                             ;   in Loop: Header=BB8_1454 Depth=1
	global_load_dword v0, v[8:9], off offset:20 glc
	s_waitcnt vmcnt(0)
	buffer_wbinvl1_vol
	v_and_b32_e32 v0, 1, v0
	s_branch .LBB8_1451
.LBB8_1456:
	global_load_dwordx2 v[0:1], v[10:11], off
	s_and_saveexec_b64 s[16:17], s[4:5]
	s_cbranch_execz .LBB8_1459
; %bb.1457:
	v_mov_b32_e32 v8, 0
	global_load_dwordx2 v[4:5], v8, s[6:7] offset:40
	global_load_dwordx2 v[9:10], v8, s[6:7] offset:24 glc
	global_load_dwordx2 v[6:7], v8, s[6:7]
	v_mov_b32_e32 v3, s11
	s_mov_b64 s[4:5], 0
	s_waitcnt vmcnt(2)
	v_add_co_u32_e32 v11, vcc, 1, v4
	v_addc_co_u32_e32 v12, vcc, 0, v5, vcc
	v_add_co_u32_e32 v2, vcc, s10, v11
	v_addc_co_u32_e32 v3, vcc, v12, v3, vcc
	v_cmp_eq_u64_e32 vcc, 0, v[2:3]
	v_cndmask_b32_e32 v3, v3, v12, vcc
	v_cndmask_b32_e32 v2, v2, v11, vcc
	v_and_b32_e32 v5, v3, v5
	v_and_b32_e32 v4, v2, v4
	v_mul_lo_u32 v5, v5, 24
	v_mul_hi_u32 v11, v4, 24
	v_mul_lo_u32 v12, v4, 24
	s_waitcnt vmcnt(1)
	v_mov_b32_e32 v4, v9
	v_add_u32_e32 v5, v11, v5
	s_waitcnt vmcnt(0)
	v_add_co_u32_e32 v6, vcc, v6, v12
	v_addc_co_u32_e32 v7, vcc, v7, v5, vcc
	global_store_dwordx2 v[6:7], v[9:10], off
	v_mov_b32_e32 v5, v10
	s_waitcnt vmcnt(0)
	global_atomic_cmpswap_x2 v[4:5], v8, v[2:5], s[6:7] offset:24 glc
	s_waitcnt vmcnt(0)
	v_cmp_ne_u64_e32 vcc, v[4:5], v[9:10]
	s_and_b64 exec, exec, vcc
	s_cbranch_execz .LBB8_1459
.LBB8_1458:                             ; =>This Inner Loop Header: Depth=1
	s_sleep 1
	global_store_dwordx2 v[6:7], v[4:5], off
	s_waitcnt vmcnt(0)
	global_atomic_cmpswap_x2 v[9:10], v8, v[2:5], s[6:7] offset:24 glc
	s_waitcnt vmcnt(0)
	v_cmp_eq_u64_e32 vcc, v[9:10], v[4:5]
	v_mov_b32_e32 v4, v9
	s_or_b64 s[4:5], vcc, s[4:5]
	v_mov_b32_e32 v5, v10
	s_andn2_b64 exec, exec, s[4:5]
	s_cbranch_execnz .LBB8_1458
.LBB8_1459:
	s_or_b64 exec, exec, s[16:17]
.LBB8_1460:
	s_getpc_b64 s[10:11]
	s_add_u32 s10, s10, .str.2@rel32@lo+4
	s_addc_u32 s11, s11, .str.2@rel32@hi+12
	s_cmp_lg_u64 s[10:11], 0
	s_cbranch_scc0 .LBB8_1545
; %bb.1461:
	s_waitcnt vmcnt(0)
	v_and_b32_e32 v6, -3, v0
	v_mov_b32_e32 v7, v1
	s_mov_b64 s[16:17], 13
	v_mov_b32_e32 v26, 0
	v_mov_b32_e32 v4, 2
	;; [unrolled: 1-line block ×3, first 2 shown]
	s_branch .LBB8_1463
.LBB8_1462:                             ;   in Loop: Header=BB8_1463 Depth=1
	s_or_b64 exec, exec, s[22:23]
	s_sub_u32 s16, s16, s18
	s_subb_u32 s17, s17, s19
	s_add_u32 s10, s10, s18
	s_addc_u32 s11, s11, s19
	s_cmp_lg_u64 s[16:17], 0
	s_cbranch_scc0 .LBB8_1544
.LBB8_1463:                             ; =>This Loop Header: Depth=1
                                        ;     Child Loop BB8_1466 Depth 2
                                        ;     Child Loop BB8_1473 Depth 2
	;; [unrolled: 1-line block ×11, first 2 shown]
	v_cmp_lt_u64_e64 s[4:5], s[16:17], 56
	v_cmp_gt_u64_e64 s[20:21], s[16:17], 7
	s_and_b64 s[4:5], s[4:5], exec
	s_cselect_b32 s19, s17, 0
	s_cselect_b32 s18, s16, 56
	s_and_b64 vcc, exec, s[20:21]
	s_cbranch_vccnz .LBB8_1468
; %bb.1464:                             ;   in Loop: Header=BB8_1463 Depth=1
	s_waitcnt vmcnt(0)
	v_mov_b32_e32 v8, 0
	s_cmp_eq_u64 s[16:17], 0
	v_mov_b32_e32 v9, 0
	s_mov_b64 s[4:5], 0
	s_cbranch_scc1 .LBB8_1467
; %bb.1465:                             ;   in Loop: Header=BB8_1463 Depth=1
	v_mov_b32_e32 v8, 0
	s_lshl_b64 s[20:21], s[18:19], 3
	s_mov_b64 s[22:23], 0
	v_mov_b32_e32 v9, 0
	s_mov_b64 s[24:25], s[10:11]
.LBB8_1466:                             ;   Parent Loop BB8_1463 Depth=1
                                        ; =>  This Inner Loop Header: Depth=2
	global_load_ubyte v2, v26, s[24:25]
	s_waitcnt vmcnt(0)
	v_and_b32_e32 v25, 0xffff, v2
	v_lshlrev_b64 v[2:3], s22, v[25:26]
	s_add_u32 s22, s22, 8
	s_addc_u32 s23, s23, 0
	s_add_u32 s24, s24, 1
	s_addc_u32 s25, s25, 0
	v_or_b32_e32 v8, v2, v8
	s_cmp_lg_u32 s20, s22
	v_or_b32_e32 v9, v3, v9
	s_cbranch_scc1 .LBB8_1466
.LBB8_1467:                             ;   in Loop: Header=BB8_1463 Depth=1
	s_mov_b32 s15, 0
	s_andn2_b64 vcc, exec, s[4:5]
	s_mov_b64 s[4:5], s[10:11]
	s_cbranch_vccz .LBB8_1469
	s_branch .LBB8_1470
.LBB8_1468:                             ;   in Loop: Header=BB8_1463 Depth=1
                                        ; implicit-def: $sgpr15
	s_mov_b64 s[4:5], s[10:11]
.LBB8_1469:                             ;   in Loop: Header=BB8_1463 Depth=1
	global_load_dwordx2 v[8:9], v26, s[10:11]
	s_add_i32 s15, s18, -8
	s_add_u32 s4, s10, 8
	s_addc_u32 s5, s11, 0
.LBB8_1470:                             ;   in Loop: Header=BB8_1463 Depth=1
	s_cmp_gt_u32 s15, 7
	s_cbranch_scc1 .LBB8_1474
; %bb.1471:                             ;   in Loop: Header=BB8_1463 Depth=1
	s_cmp_eq_u32 s15, 0
	s_cbranch_scc1 .LBB8_1475
; %bb.1472:                             ;   in Loop: Header=BB8_1463 Depth=1
	v_mov_b32_e32 v10, 0
	s_mov_b64 s[20:21], 0
	v_mov_b32_e32 v11, 0
	s_mov_b64 s[22:23], 0
.LBB8_1473:                             ;   Parent Loop BB8_1463 Depth=1
                                        ; =>  This Inner Loop Header: Depth=2
	s_add_u32 s24, s4, s22
	s_addc_u32 s25, s5, s23
	global_load_ubyte v2, v26, s[24:25]
	s_add_u32 s22, s22, 1
	s_addc_u32 s23, s23, 0
	s_waitcnt vmcnt(0)
	v_and_b32_e32 v25, 0xffff, v2
	v_lshlrev_b64 v[2:3], s20, v[25:26]
	s_add_u32 s20, s20, 8
	s_addc_u32 s21, s21, 0
	v_or_b32_e32 v10, v2, v10
	s_cmp_lg_u32 s15, s22
	v_or_b32_e32 v11, v3, v11
	s_cbranch_scc1 .LBB8_1473
	s_branch .LBB8_1476
.LBB8_1474:                             ;   in Loop: Header=BB8_1463 Depth=1
                                        ; implicit-def: $vgpr10_vgpr11
                                        ; implicit-def: $sgpr24
	s_branch .LBB8_1477
.LBB8_1475:                             ;   in Loop: Header=BB8_1463 Depth=1
	v_mov_b32_e32 v10, 0
	v_mov_b32_e32 v11, 0
.LBB8_1476:                             ;   in Loop: Header=BB8_1463 Depth=1
	s_mov_b32 s24, 0
	s_cbranch_execnz .LBB8_1478
.LBB8_1477:                             ;   in Loop: Header=BB8_1463 Depth=1
	global_load_dwordx2 v[10:11], v26, s[4:5]
	s_add_i32 s24, s15, -8
	s_add_u32 s4, s4, 8
	s_addc_u32 s5, s5, 0
.LBB8_1478:                             ;   in Loop: Header=BB8_1463 Depth=1
	s_cmp_gt_u32 s24, 7
	s_cbranch_scc1 .LBB8_1482
; %bb.1479:                             ;   in Loop: Header=BB8_1463 Depth=1
	s_cmp_eq_u32 s24, 0
	s_cbranch_scc1 .LBB8_1483
; %bb.1480:                             ;   in Loop: Header=BB8_1463 Depth=1
	v_mov_b32_e32 v12, 0
	s_mov_b64 s[20:21], 0
	v_mov_b32_e32 v13, 0
	s_mov_b64 s[22:23], 0
.LBB8_1481:                             ;   Parent Loop BB8_1463 Depth=1
                                        ; =>  This Inner Loop Header: Depth=2
	s_add_u32 s26, s4, s22
	s_addc_u32 s27, s5, s23
	global_load_ubyte v2, v26, s[26:27]
	s_add_u32 s22, s22, 1
	s_addc_u32 s23, s23, 0
	s_waitcnt vmcnt(0)
	v_and_b32_e32 v25, 0xffff, v2
	v_lshlrev_b64 v[2:3], s20, v[25:26]
	s_add_u32 s20, s20, 8
	s_addc_u32 s21, s21, 0
	v_or_b32_e32 v12, v2, v12
	s_cmp_lg_u32 s24, s22
	v_or_b32_e32 v13, v3, v13
	s_cbranch_scc1 .LBB8_1481
	s_branch .LBB8_1484
.LBB8_1482:                             ;   in Loop: Header=BB8_1463 Depth=1
                                        ; implicit-def: $sgpr15
	s_branch .LBB8_1485
.LBB8_1483:                             ;   in Loop: Header=BB8_1463 Depth=1
	v_mov_b32_e32 v12, 0
	v_mov_b32_e32 v13, 0
.LBB8_1484:                             ;   in Loop: Header=BB8_1463 Depth=1
	s_mov_b32 s15, 0
	s_cbranch_execnz .LBB8_1486
.LBB8_1485:                             ;   in Loop: Header=BB8_1463 Depth=1
	global_load_dwordx2 v[12:13], v26, s[4:5]
	s_add_i32 s15, s24, -8
	s_add_u32 s4, s4, 8
	s_addc_u32 s5, s5, 0
.LBB8_1486:                             ;   in Loop: Header=BB8_1463 Depth=1
	s_cmp_gt_u32 s15, 7
	s_cbranch_scc1 .LBB8_1490
; %bb.1487:                             ;   in Loop: Header=BB8_1463 Depth=1
	s_cmp_eq_u32 s15, 0
	s_cbranch_scc1 .LBB8_1491
; %bb.1488:                             ;   in Loop: Header=BB8_1463 Depth=1
	v_mov_b32_e32 v14, 0
	s_mov_b64 s[20:21], 0
	v_mov_b32_e32 v15, 0
	s_mov_b64 s[22:23], 0
.LBB8_1489:                             ;   Parent Loop BB8_1463 Depth=1
                                        ; =>  This Inner Loop Header: Depth=2
	s_add_u32 s24, s4, s22
	s_addc_u32 s25, s5, s23
	global_load_ubyte v2, v26, s[24:25]
	s_add_u32 s22, s22, 1
	s_addc_u32 s23, s23, 0
	s_waitcnt vmcnt(0)
	v_and_b32_e32 v25, 0xffff, v2
	v_lshlrev_b64 v[2:3], s20, v[25:26]
	s_add_u32 s20, s20, 8
	s_addc_u32 s21, s21, 0
	v_or_b32_e32 v14, v2, v14
	s_cmp_lg_u32 s15, s22
	v_or_b32_e32 v15, v3, v15
	s_cbranch_scc1 .LBB8_1489
	s_branch .LBB8_1492
.LBB8_1490:                             ;   in Loop: Header=BB8_1463 Depth=1
                                        ; implicit-def: $vgpr14_vgpr15
                                        ; implicit-def: $sgpr24
	s_branch .LBB8_1493
.LBB8_1491:                             ;   in Loop: Header=BB8_1463 Depth=1
	v_mov_b32_e32 v14, 0
	v_mov_b32_e32 v15, 0
.LBB8_1492:                             ;   in Loop: Header=BB8_1463 Depth=1
	s_mov_b32 s24, 0
	s_cbranch_execnz .LBB8_1494
.LBB8_1493:                             ;   in Loop: Header=BB8_1463 Depth=1
	global_load_dwordx2 v[14:15], v26, s[4:5]
	s_add_i32 s24, s15, -8
	s_add_u32 s4, s4, 8
	s_addc_u32 s5, s5, 0
.LBB8_1494:                             ;   in Loop: Header=BB8_1463 Depth=1
	s_cmp_gt_u32 s24, 7
	s_cbranch_scc1 .LBB8_1498
; %bb.1495:                             ;   in Loop: Header=BB8_1463 Depth=1
	s_cmp_eq_u32 s24, 0
	s_cbranch_scc1 .LBB8_1499
; %bb.1496:                             ;   in Loop: Header=BB8_1463 Depth=1
	v_mov_b32_e32 v16, 0
	s_mov_b64 s[20:21], 0
	v_mov_b32_e32 v17, 0
	s_mov_b64 s[22:23], 0
.LBB8_1497:                             ;   Parent Loop BB8_1463 Depth=1
                                        ; =>  This Inner Loop Header: Depth=2
	s_add_u32 s26, s4, s22
	s_addc_u32 s27, s5, s23
	global_load_ubyte v2, v26, s[26:27]
	s_add_u32 s22, s22, 1
	s_addc_u32 s23, s23, 0
	s_waitcnt vmcnt(0)
	v_and_b32_e32 v25, 0xffff, v2
	v_lshlrev_b64 v[2:3], s20, v[25:26]
	s_add_u32 s20, s20, 8
	s_addc_u32 s21, s21, 0
	v_or_b32_e32 v16, v2, v16
	s_cmp_lg_u32 s24, s22
	v_or_b32_e32 v17, v3, v17
	s_cbranch_scc1 .LBB8_1497
	s_branch .LBB8_1500
.LBB8_1498:                             ;   in Loop: Header=BB8_1463 Depth=1
                                        ; implicit-def: $sgpr15
	s_branch .LBB8_1501
.LBB8_1499:                             ;   in Loop: Header=BB8_1463 Depth=1
	v_mov_b32_e32 v16, 0
	v_mov_b32_e32 v17, 0
.LBB8_1500:                             ;   in Loop: Header=BB8_1463 Depth=1
	s_mov_b32 s15, 0
	s_cbranch_execnz .LBB8_1502
.LBB8_1501:                             ;   in Loop: Header=BB8_1463 Depth=1
	global_load_dwordx2 v[16:17], v26, s[4:5]
	s_add_i32 s15, s24, -8
	s_add_u32 s4, s4, 8
	s_addc_u32 s5, s5, 0
.LBB8_1502:                             ;   in Loop: Header=BB8_1463 Depth=1
	s_cmp_gt_u32 s15, 7
	s_cbranch_scc1 .LBB8_1506
; %bb.1503:                             ;   in Loop: Header=BB8_1463 Depth=1
	s_cmp_eq_u32 s15, 0
	s_cbranch_scc1 .LBB8_1507
; %bb.1504:                             ;   in Loop: Header=BB8_1463 Depth=1
	v_mov_b32_e32 v18, 0
	s_mov_b64 s[20:21], 0
	v_mov_b32_e32 v19, 0
	s_mov_b64 s[22:23], 0
.LBB8_1505:                             ;   Parent Loop BB8_1463 Depth=1
                                        ; =>  This Inner Loop Header: Depth=2
	s_add_u32 s24, s4, s22
	s_addc_u32 s25, s5, s23
	global_load_ubyte v2, v26, s[24:25]
	s_add_u32 s22, s22, 1
	s_addc_u32 s23, s23, 0
	s_waitcnt vmcnt(0)
	v_and_b32_e32 v25, 0xffff, v2
	v_lshlrev_b64 v[2:3], s20, v[25:26]
	s_add_u32 s20, s20, 8
	s_addc_u32 s21, s21, 0
	v_or_b32_e32 v18, v2, v18
	s_cmp_lg_u32 s15, s22
	v_or_b32_e32 v19, v3, v19
	s_cbranch_scc1 .LBB8_1505
	s_branch .LBB8_1508
.LBB8_1506:                             ;   in Loop: Header=BB8_1463 Depth=1
                                        ; implicit-def: $vgpr18_vgpr19
                                        ; implicit-def: $sgpr24
	s_branch .LBB8_1509
.LBB8_1507:                             ;   in Loop: Header=BB8_1463 Depth=1
	v_mov_b32_e32 v18, 0
	v_mov_b32_e32 v19, 0
.LBB8_1508:                             ;   in Loop: Header=BB8_1463 Depth=1
	s_mov_b32 s24, 0
	s_cbranch_execnz .LBB8_1510
.LBB8_1509:                             ;   in Loop: Header=BB8_1463 Depth=1
	global_load_dwordx2 v[18:19], v26, s[4:5]
	s_add_i32 s24, s15, -8
	s_add_u32 s4, s4, 8
	s_addc_u32 s5, s5, 0
.LBB8_1510:                             ;   in Loop: Header=BB8_1463 Depth=1
	s_cmp_gt_u32 s24, 7
	s_cbranch_scc1 .LBB8_1514
; %bb.1511:                             ;   in Loop: Header=BB8_1463 Depth=1
	s_cmp_eq_u32 s24, 0
	s_cbranch_scc1 .LBB8_1515
; %bb.1512:                             ;   in Loop: Header=BB8_1463 Depth=1
	v_mov_b32_e32 v20, 0
	s_mov_b64 s[20:21], 0
	v_mov_b32_e32 v21, 0
	s_mov_b64 s[22:23], s[4:5]
.LBB8_1513:                             ;   Parent Loop BB8_1463 Depth=1
                                        ; =>  This Inner Loop Header: Depth=2
	global_load_ubyte v2, v26, s[22:23]
	s_add_i32 s24, s24, -1
	s_waitcnt vmcnt(0)
	v_and_b32_e32 v25, 0xffff, v2
	v_lshlrev_b64 v[2:3], s20, v[25:26]
	s_add_u32 s20, s20, 8
	s_addc_u32 s21, s21, 0
	s_add_u32 s22, s22, 1
	s_addc_u32 s23, s23, 0
	v_or_b32_e32 v20, v2, v20
	s_cmp_lg_u32 s24, 0
	v_or_b32_e32 v21, v3, v21
	s_cbranch_scc1 .LBB8_1513
	s_branch .LBB8_1516
.LBB8_1514:                             ;   in Loop: Header=BB8_1463 Depth=1
	s_branch .LBB8_1517
.LBB8_1515:                             ;   in Loop: Header=BB8_1463 Depth=1
	v_mov_b32_e32 v20, 0
	v_mov_b32_e32 v21, 0
.LBB8_1516:                             ;   in Loop: Header=BB8_1463 Depth=1
	s_cbranch_execnz .LBB8_1518
.LBB8_1517:                             ;   in Loop: Header=BB8_1463 Depth=1
	global_load_dwordx2 v[20:21], v26, s[4:5]
.LBB8_1518:                             ;   in Loop: Header=BB8_1463 Depth=1
	v_readfirstlane_b32 s4, v32
	v_mov_b32_e32 v2, 0
	v_mov_b32_e32 v3, 0
	v_cmp_eq_u32_e64 s[4:5], s4, v32
	s_and_saveexec_b64 s[20:21], s[4:5]
	s_cbranch_execz .LBB8_1524
; %bb.1519:                             ;   in Loop: Header=BB8_1463 Depth=1
	global_load_dwordx2 v[24:25], v26, s[6:7] offset:24 glc
	s_waitcnt vmcnt(0)
	buffer_wbinvl1_vol
	global_load_dwordx2 v[2:3], v26, s[6:7] offset:40
	global_load_dwordx2 v[22:23], v26, s[6:7]
	s_waitcnt vmcnt(1)
	v_and_b32_e32 v2, v2, v24
	v_and_b32_e32 v3, v3, v25
	v_mul_lo_u32 v3, v3, 24
	v_mul_hi_u32 v27, v2, 24
	v_mul_lo_u32 v2, v2, 24
	v_add_u32_e32 v3, v27, v3
	s_waitcnt vmcnt(0)
	v_add_co_u32_e32 v2, vcc, v22, v2
	v_addc_co_u32_e32 v3, vcc, v23, v3, vcc
	global_load_dwordx2 v[22:23], v[2:3], off glc
	s_waitcnt vmcnt(0)
	global_atomic_cmpswap_x2 v[2:3], v26, v[22:25], s[6:7] offset:24 glc
	s_waitcnt vmcnt(0)
	buffer_wbinvl1_vol
	v_cmp_ne_u64_e32 vcc, v[2:3], v[24:25]
	s_and_saveexec_b64 s[22:23], vcc
	s_cbranch_execz .LBB8_1523
; %bb.1520:                             ;   in Loop: Header=BB8_1463 Depth=1
	s_mov_b64 s[24:25], 0
.LBB8_1521:                             ;   Parent Loop BB8_1463 Depth=1
                                        ; =>  This Inner Loop Header: Depth=2
	s_sleep 1
	global_load_dwordx2 v[22:23], v26, s[6:7] offset:40
	global_load_dwordx2 v[27:28], v26, s[6:7]
	v_mov_b32_e32 v25, v3
	v_mov_b32_e32 v24, v2
	s_waitcnt vmcnt(1)
	v_and_b32_e32 v2, v22, v24
	s_waitcnt vmcnt(0)
	v_mad_u64_u32 v[2:3], s[26:27], v2, 24, v[27:28]
	v_and_b32_e32 v22, v23, v25
	v_mad_u64_u32 v[22:23], s[26:27], v22, 24, v[3:4]
	v_mov_b32_e32 v3, v22
	global_load_dwordx2 v[22:23], v[2:3], off glc
	s_waitcnt vmcnt(0)
	global_atomic_cmpswap_x2 v[2:3], v26, v[22:25], s[6:7] offset:24 glc
	s_waitcnt vmcnt(0)
	buffer_wbinvl1_vol
	v_cmp_eq_u64_e32 vcc, v[2:3], v[24:25]
	s_or_b64 s[24:25], vcc, s[24:25]
	s_andn2_b64 exec, exec, s[24:25]
	s_cbranch_execnz .LBB8_1521
; %bb.1522:                             ;   in Loop: Header=BB8_1463 Depth=1
	s_or_b64 exec, exec, s[24:25]
.LBB8_1523:                             ;   in Loop: Header=BB8_1463 Depth=1
	s_or_b64 exec, exec, s[22:23]
.LBB8_1524:                             ;   in Loop: Header=BB8_1463 Depth=1
	s_or_b64 exec, exec, s[20:21]
	global_load_dwordx2 v[27:28], v26, s[6:7] offset:40
	global_load_dwordx4 v[22:25], v26, s[6:7]
	v_readfirstlane_b32 s20, v2
	v_readfirstlane_b32 s21, v3
	s_mov_b64 s[22:23], exec
	s_waitcnt vmcnt(1)
	v_readfirstlane_b32 s24, v27
	v_readfirstlane_b32 s25, v28
	s_and_b64 s[24:25], s[20:21], s[24:25]
	s_mul_i32 s15, s25, 24
	s_mul_hi_u32 s26, s24, 24
	s_mul_i32 s27, s24, 24
	s_add_i32 s15, s26, s15
	v_mov_b32_e32 v2, s15
	s_waitcnt vmcnt(0)
	v_add_co_u32_e32 v27, vcc, s27, v22
	v_addc_co_u32_e32 v28, vcc, v23, v2, vcc
	s_and_saveexec_b64 s[26:27], s[4:5]
	s_cbranch_execz .LBB8_1526
; %bb.1525:                             ;   in Loop: Header=BB8_1463 Depth=1
	v_mov_b32_e32 v2, s22
	v_mov_b32_e32 v3, s23
	global_store_dwordx4 v[27:28], v[2:5], off offset:8
.LBB8_1526:                             ;   in Loop: Header=BB8_1463 Depth=1
	s_or_b64 exec, exec, s[26:27]
	s_lshl_b64 s[22:23], s[24:25], 12
	v_mov_b32_e32 v2, s23
	v_add_co_u32_e32 v24, vcc, s22, v24
	v_addc_co_u32_e32 v29, vcc, v25, v2, vcc
	v_cmp_gt_u64_e64 vcc, s[16:17], 56
	v_or_b32_e32 v2, 2, v6
	s_lshl_b32 s15, s18, 2
	v_cndmask_b32_e32 v2, v2, v6, vcc
	s_add_i32 s15, s15, 28
	s_and_b32 s15, s15, 0x1e0
	v_and_b32_e32 v2, 0xffffff1f, v2
	v_or_b32_e32 v6, s15, v2
	v_readfirstlane_b32 s22, v24
	v_readfirstlane_b32 s23, v29
	s_nop 4
	global_store_dwordx4 v31, v[6:9], s[22:23]
	global_store_dwordx4 v31, v[10:13], s[22:23] offset:16
	global_store_dwordx4 v31, v[14:17], s[22:23] offset:32
	;; [unrolled: 1-line block ×3, first 2 shown]
	s_and_saveexec_b64 s[22:23], s[4:5]
	s_cbranch_execz .LBB8_1534
; %bb.1527:                             ;   in Loop: Header=BB8_1463 Depth=1
	global_load_dwordx2 v[10:11], v26, s[6:7] offset:32 glc
	global_load_dwordx2 v[2:3], v26, s[6:7] offset:40
	v_mov_b32_e32 v8, s20
	v_mov_b32_e32 v9, s21
	s_waitcnt vmcnt(0)
	v_readfirstlane_b32 s24, v2
	v_readfirstlane_b32 s25, v3
	s_and_b64 s[24:25], s[24:25], s[20:21]
	s_mul_i32 s15, s25, 24
	s_mul_hi_u32 s25, s24, 24
	s_mul_i32 s24, s24, 24
	s_add_i32 s15, s25, s15
	v_mov_b32_e32 v3, s15
	v_add_co_u32_e32 v2, vcc, s24, v22
	v_addc_co_u32_e32 v3, vcc, v23, v3, vcc
	global_store_dwordx2 v[2:3], v[10:11], off
	s_waitcnt vmcnt(0)
	global_atomic_cmpswap_x2 v[8:9], v26, v[8:11], s[6:7] offset:32 glc
	s_waitcnt vmcnt(0)
	v_cmp_ne_u64_e32 vcc, v[8:9], v[10:11]
	s_and_saveexec_b64 s[24:25], vcc
	s_cbranch_execz .LBB8_1530
; %bb.1528:                             ;   in Loop: Header=BB8_1463 Depth=1
	s_mov_b64 s[26:27], 0
.LBB8_1529:                             ;   Parent Loop BB8_1463 Depth=1
                                        ; =>  This Inner Loop Header: Depth=2
	s_sleep 1
	global_store_dwordx2 v[2:3], v[8:9], off
	v_mov_b32_e32 v6, s20
	v_mov_b32_e32 v7, s21
	s_waitcnt vmcnt(0)
	global_atomic_cmpswap_x2 v[6:7], v26, v[6:9], s[6:7] offset:32 glc
	s_waitcnt vmcnt(0)
	v_cmp_eq_u64_e32 vcc, v[6:7], v[8:9]
	v_mov_b32_e32 v9, v7
	s_or_b64 s[26:27], vcc, s[26:27]
	v_mov_b32_e32 v8, v6
	s_andn2_b64 exec, exec, s[26:27]
	s_cbranch_execnz .LBB8_1529
.LBB8_1530:                             ;   in Loop: Header=BB8_1463 Depth=1
	s_or_b64 exec, exec, s[24:25]
	global_load_dwordx2 v[2:3], v26, s[6:7] offset:16
	s_mov_b64 s[26:27], exec
	v_mbcnt_lo_u32_b32 v6, s26, 0
	v_mbcnt_hi_u32_b32 v6, s27, v6
	v_cmp_eq_u32_e32 vcc, 0, v6
	s_and_saveexec_b64 s[24:25], vcc
	s_cbranch_execz .LBB8_1532
; %bb.1531:                             ;   in Loop: Header=BB8_1463 Depth=1
	s_bcnt1_i32_b64 s15, s[26:27]
	v_mov_b32_e32 v25, s15
	s_waitcnt vmcnt(0)
	global_atomic_add_x2 v[2:3], v[25:26], off offset:8
.LBB8_1532:                             ;   in Loop: Header=BB8_1463 Depth=1
	s_or_b64 exec, exec, s[24:25]
	s_waitcnt vmcnt(0)
	global_load_dwordx2 v[6:7], v[2:3], off offset:16
	s_waitcnt vmcnt(0)
	v_cmp_eq_u64_e32 vcc, 0, v[6:7]
	s_cbranch_vccnz .LBB8_1534
; %bb.1533:                             ;   in Loop: Header=BB8_1463 Depth=1
	global_load_dword v25, v[2:3], off offset:24
	s_waitcnt vmcnt(0)
	v_and_b32_e32 v2, 0xffffff, v25
	v_readfirstlane_b32 m0, v2
	global_store_dwordx2 v[6:7], v[25:26], off
	s_sendmsg sendmsg(MSG_INTERRUPT)
.LBB8_1534:                             ;   in Loop: Header=BB8_1463 Depth=1
	s_or_b64 exec, exec, s[22:23]
	v_add_co_u32_e32 v2, vcc, v24, v31
	v_addc_co_u32_e32 v3, vcc, 0, v29, vcc
	s_branch .LBB8_1538
.LBB8_1535:                             ;   in Loop: Header=BB8_1538 Depth=2
	s_or_b64 exec, exec, s[22:23]
	v_readfirstlane_b32 s15, v6
	s_cmp_eq_u32 s15, 0
	s_cbranch_scc1 .LBB8_1537
; %bb.1536:                             ;   in Loop: Header=BB8_1538 Depth=2
	s_sleep 1
	s_cbranch_execnz .LBB8_1538
	s_branch .LBB8_1540
.LBB8_1537:                             ;   in Loop: Header=BB8_1463 Depth=1
	s_branch .LBB8_1540
.LBB8_1538:                             ;   Parent Loop BB8_1463 Depth=1
                                        ; =>  This Inner Loop Header: Depth=2
	v_mov_b32_e32 v6, 1
	s_and_saveexec_b64 s[22:23], s[4:5]
	s_cbranch_execz .LBB8_1535
; %bb.1539:                             ;   in Loop: Header=BB8_1538 Depth=2
	global_load_dword v6, v[27:28], off offset:20 glc
	s_waitcnt vmcnt(0)
	buffer_wbinvl1_vol
	v_and_b32_e32 v6, 1, v6
	s_branch .LBB8_1535
.LBB8_1540:                             ;   in Loop: Header=BB8_1463 Depth=1
	global_load_dwordx4 v[6:9], v[2:3], off
	s_and_saveexec_b64 s[22:23], s[4:5]
	s_cbranch_execz .LBB8_1462
; %bb.1541:                             ;   in Loop: Header=BB8_1463 Depth=1
	global_load_dwordx2 v[2:3], v26, s[6:7] offset:40
	global_load_dwordx2 v[12:13], v26, s[6:7] offset:24 glc
	global_load_dwordx2 v[14:15], v26, s[6:7]
	s_waitcnt vmcnt(3)
	v_mov_b32_e32 v9, s21
	s_waitcnt vmcnt(2)
	v_add_co_u32_e32 v10, vcc, 1, v2
	v_addc_co_u32_e32 v11, vcc, 0, v3, vcc
	v_add_co_u32_e32 v8, vcc, s20, v10
	v_addc_co_u32_e32 v9, vcc, v11, v9, vcc
	v_cmp_eq_u64_e32 vcc, 0, v[8:9]
	v_cndmask_b32_e32 v9, v9, v11, vcc
	v_cndmask_b32_e32 v8, v8, v10, vcc
	v_and_b32_e32 v3, v9, v3
	v_and_b32_e32 v2, v8, v2
	v_mul_lo_u32 v3, v3, 24
	v_mul_hi_u32 v11, v2, 24
	v_mul_lo_u32 v2, v2, 24
	s_waitcnt vmcnt(1)
	v_mov_b32_e32 v10, v12
	v_add_u32_e32 v3, v11, v3
	s_waitcnt vmcnt(0)
	v_add_co_u32_e32 v2, vcc, v14, v2
	v_addc_co_u32_e32 v3, vcc, v15, v3, vcc
	global_store_dwordx2 v[2:3], v[12:13], off
	v_mov_b32_e32 v11, v13
	s_waitcnt vmcnt(0)
	global_atomic_cmpswap_x2 v[10:11], v26, v[8:11], s[6:7] offset:24 glc
	s_waitcnt vmcnt(0)
	v_cmp_ne_u64_e32 vcc, v[10:11], v[12:13]
	s_and_b64 exec, exec, vcc
	s_cbranch_execz .LBB8_1462
; %bb.1542:                             ;   in Loop: Header=BB8_1463 Depth=1
	s_mov_b64 s[4:5], 0
.LBB8_1543:                             ;   Parent Loop BB8_1463 Depth=1
                                        ; =>  This Inner Loop Header: Depth=2
	s_sleep 1
	global_store_dwordx2 v[2:3], v[10:11], off
	s_waitcnt vmcnt(0)
	global_atomic_cmpswap_x2 v[12:13], v26, v[8:11], s[6:7] offset:24 glc
	s_waitcnt vmcnt(0)
	v_cmp_eq_u64_e32 vcc, v[12:13], v[10:11]
	v_mov_b32_e32 v10, v12
	s_or_b64 s[4:5], vcc, s[4:5]
	v_mov_b32_e32 v11, v13
	s_andn2_b64 exec, exec, s[4:5]
	s_cbranch_execnz .LBB8_1543
	s_branch .LBB8_1462
.LBB8_1544:
	s_mov_b64 s[4:5], 0
	s_branch .LBB8_1546
.LBB8_1545:
	s_mov_b64 s[4:5], -1
.LBB8_1546:
	s_mov_b32 s41, s12
	s_mov_b32 s48, s13
	;; [unrolled: 1-line block ×3, first 2 shown]
	s_and_b64 vcc, exec, s[4:5]
	s_cbranch_vccz .LBB8_1573
; %bb.1547:
	v_readfirstlane_b32 s4, v32
	s_waitcnt vmcnt(0)
	v_mov_b32_e32 v8, 0
	v_mov_b32_e32 v9, 0
	v_cmp_eq_u32_e64 s[4:5], s4, v32
	s_and_saveexec_b64 s[10:11], s[4:5]
	s_cbranch_execz .LBB8_1553
; %bb.1548:
	v_mov_b32_e32 v2, 0
	global_load_dwordx2 v[5:6], v2, s[6:7] offset:24 glc
	s_waitcnt vmcnt(0)
	buffer_wbinvl1_vol
	global_load_dwordx2 v[3:4], v2, s[6:7] offset:40
	global_load_dwordx2 v[7:8], v2, s[6:7]
	s_waitcnt vmcnt(1)
	v_and_b32_e32 v3, v3, v5
	v_and_b32_e32 v4, v4, v6
	v_mul_lo_u32 v4, v4, 24
	v_mul_hi_u32 v9, v3, 24
	v_mul_lo_u32 v3, v3, 24
	v_add_u32_e32 v4, v9, v4
	s_waitcnt vmcnt(0)
	v_add_co_u32_e32 v3, vcc, v7, v3
	v_addc_co_u32_e32 v4, vcc, v8, v4, vcc
	global_load_dwordx2 v[3:4], v[3:4], off glc
	s_waitcnt vmcnt(0)
	global_atomic_cmpswap_x2 v[8:9], v2, v[3:6], s[6:7] offset:24 glc
	s_waitcnt vmcnt(0)
	buffer_wbinvl1_vol
	v_cmp_ne_u64_e32 vcc, v[8:9], v[5:6]
	s_and_saveexec_b64 s[12:13], vcc
	s_cbranch_execz .LBB8_1552
; %bb.1549:
	s_mov_b64 s[14:15], 0
.LBB8_1550:                             ; =>This Inner Loop Header: Depth=1
	s_sleep 1
	global_load_dwordx2 v[3:4], v2, s[6:7] offset:40
	global_load_dwordx2 v[10:11], v2, s[6:7]
	v_mov_b32_e32 v5, v8
	v_mov_b32_e32 v6, v9
	s_waitcnt vmcnt(1)
	v_and_b32_e32 v3, v3, v5
	s_waitcnt vmcnt(0)
	v_mad_u64_u32 v[7:8], s[16:17], v3, 24, v[10:11]
	v_and_b32_e32 v4, v4, v6
	v_mov_b32_e32 v3, v8
	v_mad_u64_u32 v[3:4], s[16:17], v4, 24, v[3:4]
	v_mov_b32_e32 v8, v3
	global_load_dwordx2 v[3:4], v[7:8], off glc
	s_waitcnt vmcnt(0)
	global_atomic_cmpswap_x2 v[8:9], v2, v[3:6], s[6:7] offset:24 glc
	s_waitcnt vmcnt(0)
	buffer_wbinvl1_vol
	v_cmp_eq_u64_e32 vcc, v[8:9], v[5:6]
	s_or_b64 s[14:15], vcc, s[14:15]
	s_andn2_b64 exec, exec, s[14:15]
	s_cbranch_execnz .LBB8_1550
; %bb.1551:
	s_or_b64 exec, exec, s[14:15]
.LBB8_1552:
	s_or_b64 exec, exec, s[12:13]
.LBB8_1553:
	s_or_b64 exec, exec, s[10:11]
	v_mov_b32_e32 v2, 0
	global_load_dwordx2 v[10:11], v2, s[6:7] offset:40
	global_load_dwordx4 v[4:7], v2, s[6:7]
	v_readfirstlane_b32 s10, v8
	v_readfirstlane_b32 s11, v9
	s_mov_b64 s[12:13], exec
	s_waitcnt vmcnt(1)
	v_readfirstlane_b32 s14, v10
	v_readfirstlane_b32 s15, v11
	s_and_b64 s[14:15], s[10:11], s[14:15]
	s_mul_i32 s16, s15, 24
	s_mul_hi_u32 s17, s14, 24
	s_mul_i32 s18, s14, 24
	s_add_i32 s16, s17, s16
	v_mov_b32_e32 v3, s16
	s_waitcnt vmcnt(0)
	v_add_co_u32_e32 v8, vcc, s18, v4
	v_addc_co_u32_e32 v9, vcc, v5, v3, vcc
	s_and_saveexec_b64 s[16:17], s[4:5]
	s_cbranch_execz .LBB8_1555
; %bb.1554:
	v_mov_b32_e32 v10, s12
	v_mov_b32_e32 v11, s13
	;; [unrolled: 1-line block ×4, first 2 shown]
	global_store_dwordx4 v[8:9], v[10:13], off offset:8
.LBB8_1555:
	s_or_b64 exec, exec, s[16:17]
	s_lshl_b64 s[12:13], s[14:15], 12
	v_mov_b32_e32 v3, s13
	v_add_co_u32_e32 v6, vcc, s12, v6
	v_addc_co_u32_e32 v7, vcc, v7, v3, vcc
	s_movk_i32 s12, 0xff1d
	v_and_or_b32 v0, v0, s12, 34
	s_mov_b32 s12, 0
	v_mov_b32_e32 v3, v2
	v_readfirstlane_b32 s16, v6
	v_readfirstlane_b32 s17, v7
	s_mov_b32 s13, s12
	s_mov_b32 s14, s12
	;; [unrolled: 1-line block ×3, first 2 shown]
	s_nop 1
	global_store_dwordx4 v31, v[0:3], s[16:17]
	s_nop 0
	v_mov_b32_e32 v0, s12
	v_mov_b32_e32 v1, s13
	;; [unrolled: 1-line block ×4, first 2 shown]
	global_store_dwordx4 v31, v[0:3], s[16:17] offset:16
	global_store_dwordx4 v31, v[0:3], s[16:17] offset:32
	global_store_dwordx4 v31, v[0:3], s[16:17] offset:48
	s_and_saveexec_b64 s[12:13], s[4:5]
	s_cbranch_execz .LBB8_1563
; %bb.1556:
	v_mov_b32_e32 v6, 0
	global_load_dwordx2 v[12:13], v6, s[6:7] offset:32 glc
	global_load_dwordx2 v[0:1], v6, s[6:7] offset:40
	v_mov_b32_e32 v10, s10
	v_mov_b32_e32 v11, s11
	s_waitcnt vmcnt(0)
	v_readfirstlane_b32 s14, v0
	v_readfirstlane_b32 s15, v1
	s_and_b64 s[14:15], s[14:15], s[10:11]
	s_mul_i32 s15, s15, 24
	s_mul_hi_u32 s16, s14, 24
	s_mul_i32 s14, s14, 24
	s_add_i32 s15, s16, s15
	v_mov_b32_e32 v0, s15
	v_add_co_u32_e32 v4, vcc, s14, v4
	v_addc_co_u32_e32 v5, vcc, v5, v0, vcc
	global_store_dwordx2 v[4:5], v[12:13], off
	s_waitcnt vmcnt(0)
	global_atomic_cmpswap_x2 v[2:3], v6, v[10:13], s[6:7] offset:32 glc
	s_waitcnt vmcnt(0)
	v_cmp_ne_u64_e32 vcc, v[2:3], v[12:13]
	s_and_saveexec_b64 s[14:15], vcc
	s_cbranch_execz .LBB8_1559
; %bb.1557:
	s_mov_b64 s[16:17], 0
.LBB8_1558:                             ; =>This Inner Loop Header: Depth=1
	s_sleep 1
	global_store_dwordx2 v[4:5], v[2:3], off
	v_mov_b32_e32 v0, s10
	v_mov_b32_e32 v1, s11
	s_waitcnt vmcnt(0)
	global_atomic_cmpswap_x2 v[0:1], v6, v[0:3], s[6:7] offset:32 glc
	s_waitcnt vmcnt(0)
	v_cmp_eq_u64_e32 vcc, v[0:1], v[2:3]
	v_mov_b32_e32 v3, v1
	s_or_b64 s[16:17], vcc, s[16:17]
	v_mov_b32_e32 v2, v0
	s_andn2_b64 exec, exec, s[16:17]
	s_cbranch_execnz .LBB8_1558
.LBB8_1559:
	s_or_b64 exec, exec, s[14:15]
	v_mov_b32_e32 v3, 0
	global_load_dwordx2 v[0:1], v3, s[6:7] offset:16
	s_mov_b64 s[14:15], exec
	v_mbcnt_lo_u32_b32 v2, s14, 0
	v_mbcnt_hi_u32_b32 v2, s15, v2
	v_cmp_eq_u32_e32 vcc, 0, v2
	s_and_saveexec_b64 s[16:17], vcc
	s_cbranch_execz .LBB8_1561
; %bb.1560:
	s_bcnt1_i32_b64 s14, s[14:15]
	v_mov_b32_e32 v2, s14
	s_waitcnt vmcnt(0)
	global_atomic_add_x2 v[0:1], v[2:3], off offset:8
.LBB8_1561:
	s_or_b64 exec, exec, s[16:17]
	s_waitcnt vmcnt(0)
	global_load_dwordx2 v[2:3], v[0:1], off offset:16
	s_waitcnt vmcnt(0)
	v_cmp_eq_u64_e32 vcc, 0, v[2:3]
	s_cbranch_vccnz .LBB8_1563
; %bb.1562:
	global_load_dword v0, v[0:1], off offset:24
	v_mov_b32_e32 v1, 0
	s_waitcnt vmcnt(0)
	global_store_dwordx2 v[2:3], v[0:1], off
	v_and_b32_e32 v0, 0xffffff, v0
	v_readfirstlane_b32 m0, v0
	s_sendmsg sendmsg(MSG_INTERRUPT)
.LBB8_1563:
	s_or_b64 exec, exec, s[12:13]
	s_branch .LBB8_1567
.LBB8_1564:                             ;   in Loop: Header=BB8_1567 Depth=1
	s_or_b64 exec, exec, s[12:13]
	v_readfirstlane_b32 s12, v0
	s_cmp_eq_u32 s12, 0
	s_cbranch_scc1 .LBB8_1566
; %bb.1565:                             ;   in Loop: Header=BB8_1567 Depth=1
	s_sleep 1
	s_cbranch_execnz .LBB8_1567
	s_branch .LBB8_1569
.LBB8_1566:
	s_branch .LBB8_1569
.LBB8_1567:                             ; =>This Inner Loop Header: Depth=1
	v_mov_b32_e32 v0, 1
	s_and_saveexec_b64 s[12:13], s[4:5]
	s_cbranch_execz .LBB8_1564
; %bb.1568:                             ;   in Loop: Header=BB8_1567 Depth=1
	global_load_dword v0, v[8:9], off offset:20 glc
	s_waitcnt vmcnt(0)
	buffer_wbinvl1_vol
	v_and_b32_e32 v0, 1, v0
	s_branch .LBB8_1564
.LBB8_1569:
	s_and_saveexec_b64 s[12:13], s[4:5]
	s_cbranch_execz .LBB8_1572
; %bb.1570:
	v_mov_b32_e32 v6, 0
	global_load_dwordx2 v[2:3], v6, s[6:7] offset:40
	global_load_dwordx2 v[7:8], v6, s[6:7] offset:24 glc
	global_load_dwordx2 v[4:5], v6, s[6:7]
	v_mov_b32_e32 v1, s11
	s_mov_b64 s[4:5], 0
	s_waitcnt vmcnt(2)
	v_add_co_u32_e32 v9, vcc, 1, v2
	v_addc_co_u32_e32 v10, vcc, 0, v3, vcc
	v_add_co_u32_e32 v0, vcc, s10, v9
	v_addc_co_u32_e32 v1, vcc, v10, v1, vcc
	v_cmp_eq_u64_e32 vcc, 0, v[0:1]
	v_cndmask_b32_e32 v1, v1, v10, vcc
	v_cndmask_b32_e32 v0, v0, v9, vcc
	v_and_b32_e32 v3, v1, v3
	v_and_b32_e32 v2, v0, v2
	v_mul_lo_u32 v3, v3, 24
	v_mul_hi_u32 v9, v2, 24
	v_mul_lo_u32 v10, v2, 24
	s_waitcnt vmcnt(1)
	v_mov_b32_e32 v2, v7
	v_add_u32_e32 v3, v9, v3
	s_waitcnt vmcnt(0)
	v_add_co_u32_e32 v4, vcc, v4, v10
	v_addc_co_u32_e32 v5, vcc, v5, v3, vcc
	global_store_dwordx2 v[4:5], v[7:8], off
	v_mov_b32_e32 v3, v8
	s_waitcnt vmcnt(0)
	global_atomic_cmpswap_x2 v[2:3], v6, v[0:3], s[6:7] offset:24 glc
	s_waitcnt vmcnt(0)
	v_cmp_ne_u64_e32 vcc, v[2:3], v[7:8]
	s_and_b64 exec, exec, vcc
	s_cbranch_execz .LBB8_1572
.LBB8_1571:                             ; =>This Inner Loop Header: Depth=1
	s_sleep 1
	global_store_dwordx2 v[4:5], v[2:3], off
	s_waitcnt vmcnt(0)
	global_atomic_cmpswap_x2 v[7:8], v6, v[0:3], s[6:7] offset:24 glc
	s_waitcnt vmcnt(0)
	v_cmp_eq_u64_e32 vcc, v[7:8], v[2:3]
	v_mov_b32_e32 v2, v7
	s_or_b64 s[4:5], vcc, s[4:5]
	v_mov_b32_e32 v3, v8
	s_andn2_b64 exec, exec, s[4:5]
	s_cbranch_execnz .LBB8_1571
.LBB8_1572:
	s_or_b64 exec, exec, s[12:13]
.LBB8_1573:
	s_getpc_b64 s[4:5]
	s_add_u32 s4, s4, .str@rel32@lo+4
	s_addc_u32 s5, s5, .str@rel32@hi+12
	s_waitcnt vmcnt(0)
	v_mov_b32_e32 v0, s4
	v_mov_b32_e32 v1, s5
	s_mov_b64 s[24:25], src_private_base
	s_getpc_b64 s[50:51]
	s_add_u32 s50, s50, _ZNK8migraphx13basic_printerIZNS_4coutEvEUlT_E_ElsEPKc@rel32@lo+4
	s_addc_u32 s51, s51, _ZNK8migraphx13basic_printerIZNS_4coutEvEUlT_E_ElsEPKc@rel32@hi+12
	s_mov_b64 s[42:43], s[8:9]
	s_swappc_b64 s[30:31], s[50:51]
	s_getpc_b64 s[4:5]
	s_add_u32 s4, s4, .str.3@rel32@lo+4
	s_addc_u32 s5, s5, .str.3@rel32@hi+12
	s_mov_b64 s[8:9], s[42:43]
	v_mov_b32_e32 v0, s4
	v_mov_b32_e32 v1, s5
	s_swappc_b64 s[30:31], s[50:51]
	v_lshrrev_b32_e64 v0, 6, s33
	s_mov_b64 s[8:9], s[42:43]
	v_add_u32_e32 v0, 0x60, v0
	v_mov_b32_e32 v1, s25
	s_getpc_b64 s[4:5]
	s_add_u32 s4, s4, _ZN8migraphx4testlsIKNS_13basic_printerIZNS_4coutEvEUlT_E_EEEERS3_S7_RKNS0_10expressionINS0_14lhs_expressionIRNS_5arrayIiLj5EEENS0_3nopEEESC_NS0_5equalEEE@rel32@lo+4
	s_addc_u32 s5, s5, _ZN8migraphx4testlsIKNS_13basic_printerIZNS_4coutEvEUlT_E_EEEERS3_S7_RKNS0_10expressionINS0_14lhs_expressionIRNS_5arrayIiLj5EEENS0_3nopEEESC_NS0_5equalEEE@rel32@hi+12
	s_swappc_b64 s[30:31], s[4:5]
	s_getpc_b64 s[4:5]
	s_add_u32 s4, s4, .str.4@rel32@lo+4
	s_addc_u32 s5, s5, .str.4@rel32@hi+12
	s_mov_b64 s[8:9], s[42:43]
	v_mov_b32_e32 v0, s4
	v_mov_b32_e32 v1, s5
	s_swappc_b64 s[30:31], s[50:51]
	s_mov_b64 s[8:9], s[42:43]
	v_mov_b32_e32 v0, 10
	s_getpc_b64 s[4:5]
	s_add_u32 s4, s4, _ZNK8migraphx13basic_printerIZNS_4coutEvEUlT_E_ElsEc@rel32@lo+4
	s_addc_u32 s5, s5, _ZNK8migraphx13basic_printerIZNS_4coutEvEUlT_E_ElsEc@rel32@hi+12
	s_swappc_b64 s[30:31], s[4:5]
	flat_load_dwordx2 v[0:1], v[42:43]
	s_mov_b64 s[8:9], s[42:43]
	s_mov_b32 s14, s49
	s_mov_b32 s13, s48
	;; [unrolled: 1-line block ×3, first 2 shown]
	s_waitcnt vmcnt(0) lgkmcnt(0)
	flat_load_dword v2, v[0:1]
	s_waitcnt vmcnt(0) lgkmcnt(0)
	v_add_u32_e32 v2, 1, v2
	flat_store_dword v[0:1], v2
.LBB8_1574:
	s_or_b64 exec, exec, s[46:47]
	s_getpc_b64 s[4:5]
	s_add_u32 s4, s4, _ZN8migraphx4test4failEv@rel32@lo+4
	s_addc_u32 s5, s5, _ZN8migraphx4test4failEv@rel32@hi+12
	s_swappc_b64 s[30:31], s[4:5]
	; divergent unreachable
.LBB8_1575:
	s_andn2_saveexec_b64 s[4:5], s[44:45]
	s_or_b64 exec, exec, s[4:5]
	v_readlane_b32 s30, v44, 0
	v_readlane_b32 s31, v44, 1
	;; [unrolled: 1-line block ×3, first 2 shown]
	s_or_saveexec_b64 s[6:7], -1
	buffer_load_dword v44, off, s[0:3], s33 offset:112 ; 4-byte Folded Reload
	s_mov_b64 exec, s[6:7]
	s_addk_i32 s32, 0xe000
	s_mov_b32 s33, s4
	s_waitcnt vmcnt(0)
	s_setpc_b64 s[30:31]
.Lfunc_end8:
	.size	_ZL20merge_partial_rangesRN8migraphx4test12test_managerE, .Lfunc_end8-_ZL20merge_partial_rangesRN8migraphx4test12test_managerE
                                        ; -- End function
	.section	.AMDGPU.csdata,"",@progbits
; Function info:
; codeLenInByte = 54020
; NumSgprs: 56
; NumVgprs: 56
; ScratchSize: 144
; MemoryBound: 0
	.text
	.p2align	2                               ; -- Begin function _ZN8migraphx4testlsIKNS_13basic_printerIZNS_4coutEvEUlT_E_EEEERS3_S7_RKNS0_10expressionINS0_14lhs_expressionIRNS_5arrayIiLj8EEENS0_3nopEEESC_NS0_5equalEEE
	.type	_ZN8migraphx4testlsIKNS_13basic_printerIZNS_4coutEvEUlT_E_EEEERS3_S7_RKNS0_10expressionINS0_14lhs_expressionIRNS_5arrayIiLj8EEENS0_3nopEEESC_NS0_5equalEEE,@function
_ZN8migraphx4testlsIKNS_13basic_printerIZNS_4coutEvEUlT_E_EEEERS3_S7_RKNS0_10expressionINS0_14lhs_expressionIRNS_5arrayIiLj8EEENS0_3nopEEESC_NS0_5equalEEE: ; @_ZN8migraphx4testlsIKNS_13basic_printerIZNS_4coutEvEUlT_E_EEEERS3_S7_RKNS0_10expressionINS0_14lhs_expressionIRNS_5arrayIiLj8EEENS0_3nopEEESC_NS0_5equalEEE
; %bb.0:
	s_waitcnt vmcnt(0) expcnt(0) lgkmcnt(0)
	s_mov_b32 s4, s33
	s_mov_b32 s33, s32
	s_or_saveexec_b64 s[6:7], -1
	buffer_store_dword v41, off, s[0:3], s33 ; 4-byte Folded Spill
	s_mov_b64 exec, s[6:7]
	v_writelane_b32 v41, s4, 2
	v_writelane_b32 v41, s30, 0
	s_addk_i32 s32, 0x400
	v_writelane_b32 v41, s31, 1
	v_mov_b32_e32 v37, v1
	v_mov_b32_e32 v36, v0
	flat_load_dwordx2 v[38:39], v[36:37]
	s_getpc_b64 s[4:5]
	s_add_u32 s4, s4, .str.7@rel32@lo+4
	s_addc_u32 s5, s5, .str.7@rel32@hi+12
	s_mov_b32 s35, 0
	s_cmp_lg_u64 s[4:5], 0
	v_mbcnt_lo_u32_b32 v0, -1, 0
	s_mov_b64 s[24:25], s[8:9]
	s_cselect_b64 s[26:27], -1, 0
	v_mbcnt_hi_u32_b32 v55, -1, v0
	v_mov_b32_e32 v50, 0
	s_mov_b32 s36, s35
	s_mov_b32 s37, s35
	;; [unrolled: 1-line block ×4, first 2 shown]
	s_movk_i32 s23, 0xff1f
	s_movk_i32 s40, 0xff1d
	v_mov_b32_e32 v53, 2
	v_mov_b32_e32 v54, 1
	;; [unrolled: 1-line block ×3, first 2 shown]
	s_mov_b32 s34, s35
	s_branch .LBB9_2
.LBB9_1:                                ;   in Loop: Header=BB9_2 Depth=1
	s_or_b64 exec, exec, s[8:9]
	s_add_i32 s34, s34, 1
	s_cmp_lg_u32 s34, 8
	s_cbranch_scc0 .LBB9_169
.LBB9_2:                                ; =>This Loop Header: Depth=1
                                        ;     Child Loop BB9_7 Depth 2
                                        ;     Child Loop BB9_15 Depth 2
	;; [unrolled: 1-line block ×9, first 2 shown]
                                        ;       Child Loop BB9_36 Depth 3
                                        ;       Child Loop BB9_43 Depth 3
	;; [unrolled: 1-line block ×11, first 2 shown]
                                        ;     Child Loop BB9_146 Depth 2
                                        ;     Child Loop BB9_154 Depth 2
	;; [unrolled: 1-line block ×4, first 2 shown]
	s_cmp_eq_u32 s34, 0
	s_cbranch_scc1 .LBB9_4
; %bb.3:                                ;   in Loop: Header=BB9_2 Depth=1
	s_getpc_b64 s[4:5]
	s_add_u32 s4, s4, .str.11@rel32@lo+4
	s_addc_u32 s5, s5, .str.11@rel32@hi+12
	s_mov_b64 s[8:9], s[24:25]
	v_mov_b32_e32 v0, s4
	v_mov_b32_e32 v1, s5
	s_getpc_b64 s[6:7]
	s_add_u32 s6, s6, _ZNK8migraphx13basic_printerIZNS_4coutEvEUlT_E_ElsEPKc@rel32@lo+4
	s_addc_u32 s7, s7, _ZNK8migraphx13basic_printerIZNS_4coutEvEUlT_E_ElsEPKc@rel32@hi+12
	s_swappc_b64 s[30:31], s[6:7]
.LBB9_4:                                ;   in Loop: Header=BB9_2 Depth=1
	s_lshl_b64 s[4:5], s[34:35], 2
	v_mov_b32_e32 v1, s5
	s_waitcnt vmcnt(0) lgkmcnt(0)
	v_add_co_u32_e32 v0, vcc, s4, v38
	v_addc_co_u32_e32 v1, vcc, v39, v1, vcc
	flat_load_dword v24, v[0:1]
	s_load_dwordx2 s[28:29], s[24:25], 0x50
	v_readfirstlane_b32 s4, v55
	v_mov_b32_e32 v4, 0
	v_mov_b32_e32 v5, 0
	v_cmp_eq_u32_e64 s[4:5], s4, v55
	s_and_saveexec_b64 s[6:7], s[4:5]
	s_cbranch_execz .LBB9_10
; %bb.5:                                ;   in Loop: Header=BB9_2 Depth=1
	s_waitcnt lgkmcnt(0)
	global_load_dwordx2 v[2:3], v50, s[28:29] offset:24 glc
	s_waitcnt vmcnt(0)
	buffer_wbinvl1_vol
	global_load_dwordx2 v[0:1], v50, s[28:29] offset:40
	global_load_dwordx2 v[4:5], v50, s[28:29]
	s_waitcnt vmcnt(1)
	v_and_b32_e32 v0, v0, v2
	v_and_b32_e32 v1, v1, v3
	v_mul_lo_u32 v1, v1, 24
	v_mul_hi_u32 v6, v0, 24
	v_mul_lo_u32 v0, v0, 24
	v_add_u32_e32 v1, v6, v1
	s_waitcnt vmcnt(0)
	v_add_co_u32_e32 v0, vcc, v4, v0
	v_addc_co_u32_e32 v1, vcc, v5, v1, vcc
	global_load_dwordx2 v[0:1], v[0:1], off glc
	s_waitcnt vmcnt(0)
	global_atomic_cmpswap_x2 v[4:5], v50, v[0:3], s[28:29] offset:24 glc
	s_waitcnt vmcnt(0)
	buffer_wbinvl1_vol
	v_cmp_ne_u64_e32 vcc, v[4:5], v[2:3]
	s_and_saveexec_b64 s[8:9], vcc
	s_cbranch_execz .LBB9_9
; %bb.6:                                ;   in Loop: Header=BB9_2 Depth=1
	s_mov_b64 s[10:11], 0
.LBB9_7:                                ;   Parent Loop BB9_2 Depth=1
                                        ; =>  This Inner Loop Header: Depth=2
	s_sleep 1
	global_load_dwordx2 v[0:1], v50, s[28:29] offset:40
	global_load_dwordx2 v[6:7], v50, s[28:29]
	v_mov_b32_e32 v2, v4
	v_mov_b32_e32 v3, v5
	s_waitcnt vmcnt(1)
	v_and_b32_e32 v0, v0, v2
	s_waitcnt vmcnt(0)
	v_mad_u64_u32 v[4:5], s[12:13], v0, 24, v[6:7]
	v_and_b32_e32 v1, v1, v3
	v_mov_b32_e32 v0, v5
	v_mad_u64_u32 v[0:1], s[12:13], v1, 24, v[0:1]
	v_mov_b32_e32 v5, v0
	global_load_dwordx2 v[0:1], v[4:5], off glc
	s_waitcnt vmcnt(0)
	global_atomic_cmpswap_x2 v[4:5], v50, v[0:3], s[28:29] offset:24 glc
	s_waitcnt vmcnt(0)
	buffer_wbinvl1_vol
	v_cmp_eq_u64_e32 vcc, v[4:5], v[2:3]
	s_or_b64 s[10:11], vcc, s[10:11]
	s_andn2_b64 exec, exec, s[10:11]
	s_cbranch_execnz .LBB9_7
; %bb.8:                                ;   in Loop: Header=BB9_2 Depth=1
	s_or_b64 exec, exec, s[10:11]
.LBB9_9:                                ;   in Loop: Header=BB9_2 Depth=1
	s_or_b64 exec, exec, s[8:9]
.LBB9_10:                               ;   in Loop: Header=BB9_2 Depth=1
	s_or_b64 exec, exec, s[6:7]
	s_waitcnt lgkmcnt(0)
	global_load_dwordx2 v[6:7], v50, s[28:29] offset:40
	global_load_dwordx4 v[0:3], v50, s[28:29]
	v_readfirstlane_b32 s6, v4
	v_readfirstlane_b32 s7, v5
	s_mov_b64 s[8:9], exec
	s_waitcnt vmcnt(0)
	v_readfirstlane_b32 s10, v6
	v_readfirstlane_b32 s11, v7
	s_and_b64 s[10:11], s[6:7], s[10:11]
	s_mul_i32 s12, s11, 24
	s_mul_hi_u32 s13, s10, 24
	s_mul_i32 s14, s10, 24
	s_add_i32 s12, s13, s12
	v_mov_b32_e32 v5, s12
	v_add_co_u32_e32 v4, vcc, s14, v0
	v_addc_co_u32_e32 v5, vcc, v1, v5, vcc
	s_and_saveexec_b64 s[12:13], s[4:5]
	s_cbranch_execz .LBB9_12
; %bb.11:                               ;   in Loop: Header=BB9_2 Depth=1
	v_mov_b32_e32 v52, s9
	v_mov_b32_e32 v51, s8
	global_store_dwordx4 v[4:5], v[51:54], off offset:8
.LBB9_12:                               ;   in Loop: Header=BB9_2 Depth=1
	s_or_b64 exec, exec, s[12:13]
	s_lshl_b64 s[8:9], s[10:11], 12
	v_mov_b32_e32 v6, s9
	v_add_co_u32_e32 v8, vcc, s8, v2
	v_addc_co_u32_e32 v9, vcc, v3, v6, vcc
	v_mov_b32_e32 v10, s36
	v_lshlrev_b32_e32 v40, 6, v55
	v_mov_b32_e32 v49, v50
	v_mov_b32_e32 v51, v50
	v_readfirstlane_b32 s8, v8
	v_readfirstlane_b32 s9, v9
	v_mov_b32_e32 v11, s37
	v_mov_b32_e32 v12, s38
	;; [unrolled: 1-line block ×3, first 2 shown]
	s_nop 1
	global_store_dwordx4 v40, v[48:51], s[8:9]
	global_store_dwordx4 v40, v[10:13], s[8:9] offset:16
	global_store_dwordx4 v40, v[10:13], s[8:9] offset:32
	;; [unrolled: 1-line block ×3, first 2 shown]
	s_and_saveexec_b64 s[8:9], s[4:5]
	s_cbranch_execz .LBB9_20
; %bb.13:                               ;   in Loop: Header=BB9_2 Depth=1
	global_load_dwordx2 v[12:13], v50, s[28:29] offset:32 glc
	global_load_dwordx2 v[2:3], v50, s[28:29] offset:40
	v_mov_b32_e32 v10, s6
	v_mov_b32_e32 v11, s7
	s_waitcnt vmcnt(0)
	v_and_b32_e32 v2, s6, v2
	v_and_b32_e32 v3, s7, v3
	v_mul_lo_u32 v3, v3, 24
	v_mul_hi_u32 v6, v2, 24
	v_mul_lo_u32 v2, v2, 24
	v_add_u32_e32 v3, v6, v3
	v_add_co_u32_e32 v6, vcc, v0, v2
	v_addc_co_u32_e32 v7, vcc, v1, v3, vcc
	global_store_dwordx2 v[6:7], v[12:13], off
	s_waitcnt vmcnt(0)
	global_atomic_cmpswap_x2 v[2:3], v50, v[10:13], s[28:29] offset:32 glc
	s_waitcnt vmcnt(0)
	v_cmp_ne_u64_e32 vcc, v[2:3], v[12:13]
	s_and_saveexec_b64 s[10:11], vcc
	s_cbranch_execz .LBB9_16
; %bb.14:                               ;   in Loop: Header=BB9_2 Depth=1
	s_mov_b64 s[12:13], 0
.LBB9_15:                               ;   Parent Loop BB9_2 Depth=1
                                        ; =>  This Inner Loop Header: Depth=2
	s_sleep 1
	global_store_dwordx2 v[6:7], v[2:3], off
	v_mov_b32_e32 v0, s6
	v_mov_b32_e32 v1, s7
	s_waitcnt vmcnt(0)
	global_atomic_cmpswap_x2 v[0:1], v50, v[0:3], s[28:29] offset:32 glc
	s_waitcnt vmcnt(0)
	v_cmp_eq_u64_e32 vcc, v[0:1], v[2:3]
	v_mov_b32_e32 v3, v1
	s_or_b64 s[12:13], vcc, s[12:13]
	v_mov_b32_e32 v2, v0
	s_andn2_b64 exec, exec, s[12:13]
	s_cbranch_execnz .LBB9_15
.LBB9_16:                               ;   in Loop: Header=BB9_2 Depth=1
	s_or_b64 exec, exec, s[10:11]
	global_load_dwordx2 v[0:1], v50, s[28:29] offset:16
	s_mov_b64 s[12:13], exec
	v_mbcnt_lo_u32_b32 v2, s12, 0
	v_mbcnt_hi_u32_b32 v2, s13, v2
	v_cmp_eq_u32_e32 vcc, 0, v2
	s_and_saveexec_b64 s[10:11], vcc
	s_cbranch_execz .LBB9_18
; %bb.17:                               ;   in Loop: Header=BB9_2 Depth=1
	s_bcnt1_i32_b64 s12, s[12:13]
	v_mov_b32_e32 v49, s12
	s_waitcnt vmcnt(0)
	global_atomic_add_x2 v[0:1], v[49:50], off offset:8
.LBB9_18:                               ;   in Loop: Header=BB9_2 Depth=1
	s_or_b64 exec, exec, s[10:11]
	s_waitcnt vmcnt(0)
	global_load_dwordx2 v[2:3], v[0:1], off offset:16
	s_waitcnt vmcnt(0)
	v_cmp_eq_u64_e32 vcc, 0, v[2:3]
	s_cbranch_vccnz .LBB9_20
; %bb.19:                               ;   in Loop: Header=BB9_2 Depth=1
	global_load_dword v49, v[0:1], off offset:24
	s_waitcnt vmcnt(0)
	v_and_b32_e32 v0, 0xffffff, v49
	v_readfirstlane_b32 m0, v0
	global_store_dwordx2 v[2:3], v[49:50], off
	s_sendmsg sendmsg(MSG_INTERRUPT)
.LBB9_20:                               ;   in Loop: Header=BB9_2 Depth=1
	s_or_b64 exec, exec, s[8:9]
	v_add_co_u32_e32 v0, vcc, v8, v40
	v_addc_co_u32_e32 v1, vcc, 0, v9, vcc
	s_branch .LBB9_24
.LBB9_21:                               ;   in Loop: Header=BB9_24 Depth=2
	s_or_b64 exec, exec, s[8:9]
	v_readfirstlane_b32 s8, v2
	s_cmp_eq_u32 s8, 0
	s_cbranch_scc1 .LBB9_23
; %bb.22:                               ;   in Loop: Header=BB9_24 Depth=2
	s_sleep 1
	s_cbranch_execnz .LBB9_24
	s_branch .LBB9_26
.LBB9_23:                               ;   in Loop: Header=BB9_2 Depth=1
	s_branch .LBB9_26
.LBB9_24:                               ;   Parent Loop BB9_2 Depth=1
                                        ; =>  This Inner Loop Header: Depth=2
	v_mov_b32_e32 v2, 1
	s_and_saveexec_b64 s[8:9], s[4:5]
	s_cbranch_execz .LBB9_21
; %bb.25:                               ;   in Loop: Header=BB9_24 Depth=2
	global_load_dword v2, v[4:5], off offset:20 glc
	s_waitcnt vmcnt(0)
	buffer_wbinvl1_vol
	v_and_b32_e32 v2, 1, v2
	s_branch .LBB9_21
.LBB9_26:                               ;   in Loop: Header=BB9_2 Depth=1
	global_load_dwordx2 v[0:1], v[0:1], off
	s_and_saveexec_b64 s[8:9], s[4:5]
	s_cbranch_execz .LBB9_30
; %bb.27:                               ;   in Loop: Header=BB9_2 Depth=1
	global_load_dwordx2 v[4:5], v50, s[28:29] offset:40
	global_load_dwordx2 v[8:9], v50, s[28:29] offset:24 glc
	global_load_dwordx2 v[6:7], v50, s[28:29]
	v_mov_b32_e32 v3, s7
	s_waitcnt vmcnt(2)
	v_add_co_u32_e32 v10, vcc, 1, v4
	v_addc_co_u32_e32 v11, vcc, 0, v5, vcc
	v_add_co_u32_e32 v2, vcc, s6, v10
	v_addc_co_u32_e32 v3, vcc, v11, v3, vcc
	v_cmp_eq_u64_e32 vcc, 0, v[2:3]
	v_cndmask_b32_e32 v3, v3, v11, vcc
	v_cndmask_b32_e32 v2, v2, v10, vcc
	v_and_b32_e32 v5, v3, v5
	v_and_b32_e32 v4, v2, v4
	v_mul_lo_u32 v5, v5, 24
	v_mul_hi_u32 v10, v4, 24
	v_mul_lo_u32 v11, v4, 24
	s_waitcnt vmcnt(1)
	v_mov_b32_e32 v4, v8
	v_add_u32_e32 v5, v10, v5
	s_waitcnt vmcnt(0)
	v_add_co_u32_e32 v6, vcc, v6, v11
	v_addc_co_u32_e32 v7, vcc, v7, v5, vcc
	global_store_dwordx2 v[6:7], v[8:9], off
	v_mov_b32_e32 v5, v9
	s_waitcnt vmcnt(0)
	global_atomic_cmpswap_x2 v[4:5], v50, v[2:5], s[28:29] offset:24 glc
	s_waitcnt vmcnt(0)
	v_cmp_ne_u64_e32 vcc, v[4:5], v[8:9]
	s_and_b64 exec, exec, vcc
	s_cbranch_execz .LBB9_30
; %bb.28:                               ;   in Loop: Header=BB9_2 Depth=1
	s_mov_b64 s[4:5], 0
.LBB9_29:                               ;   Parent Loop BB9_2 Depth=1
                                        ; =>  This Inner Loop Header: Depth=2
	s_sleep 1
	global_store_dwordx2 v[6:7], v[4:5], off
	s_waitcnt vmcnt(0)
	global_atomic_cmpswap_x2 v[8:9], v50, v[2:5], s[28:29] offset:24 glc
	s_waitcnt vmcnt(0)
	v_cmp_eq_u64_e32 vcc, v[8:9], v[4:5]
	v_mov_b32_e32 v4, v8
	s_or_b64 s[4:5], vcc, s[4:5]
	v_mov_b32_e32 v5, v9
	s_andn2_b64 exec, exec, s[4:5]
	s_cbranch_execnz .LBB9_29
.LBB9_30:                               ;   in Loop: Header=BB9_2 Depth=1
	s_or_b64 exec, exec, s[8:9]
	s_and_b64 vcc, exec, s[26:27]
	s_cbranch_vccz .LBB9_115
; %bb.31:                               ;   in Loop: Header=BB9_2 Depth=1
	s_waitcnt vmcnt(0)
	v_and_b32_e32 v25, 2, v0
	v_and_b32_e32 v2, -3, v0
	v_mov_b32_e32 v3, v1
	s_mov_b64 s[8:9], 4
	s_getpc_b64 s[6:7]
	s_add_u32 s6, s6, .str.7@rel32@lo+4
	s_addc_u32 s7, s7, .str.7@rel32@hi+12
	s_branch .LBB9_33
.LBB9_32:                               ;   in Loop: Header=BB9_33 Depth=2
	s_or_b64 exec, exec, s[14:15]
	s_sub_u32 s8, s8, s10
	s_subb_u32 s9, s9, s11
	s_add_u32 s6, s6, s10
	s_addc_u32 s7, s7, s11
	s_cmp_lg_u64 s[8:9], 0
	s_cbranch_scc0 .LBB9_114
.LBB9_33:                               ;   Parent Loop BB9_2 Depth=1
                                        ; =>  This Loop Header: Depth=2
                                        ;       Child Loop BB9_36 Depth 3
                                        ;       Child Loop BB9_43 Depth 3
	;; [unrolled: 1-line block ×11, first 2 shown]
	v_cmp_lt_u64_e64 s[4:5], s[8:9], 56
	v_cmp_gt_u64_e64 s[12:13], s[8:9], 7
	s_and_b64 s[4:5], s[4:5], exec
	s_cselect_b32 s11, s9, 0
	s_cselect_b32 s10, s8, 56
	s_and_b64 vcc, exec, s[12:13]
	s_cbranch_vccnz .LBB9_38
; %bb.34:                               ;   in Loop: Header=BB9_33 Depth=2
	s_waitcnt vmcnt(0)
	v_mov_b32_e32 v4, 0
	s_cmp_eq_u64 s[8:9], 0
	v_mov_b32_e32 v5, 0
	s_mov_b64 s[4:5], 0
	s_cbranch_scc1 .LBB9_37
; %bb.35:                               ;   in Loop: Header=BB9_33 Depth=2
	v_mov_b32_e32 v4, 0
	s_lshl_b64 s[12:13], s[10:11], 3
	s_mov_b64 s[14:15], 0
	v_mov_b32_e32 v5, 0
	s_mov_b64 s[16:17], s[6:7]
.LBB9_36:                               ;   Parent Loop BB9_2 Depth=1
                                        ;     Parent Loop BB9_33 Depth=2
                                        ; =>    This Inner Loop Header: Depth=3
	global_load_ubyte v6, v50, s[16:17]
	s_waitcnt vmcnt(0)
	v_and_b32_e32 v49, 0xffff, v6
	v_lshlrev_b64 v[6:7], s14, v[49:50]
	s_add_u32 s14, s14, 8
	s_addc_u32 s15, s15, 0
	s_add_u32 s16, s16, 1
	s_addc_u32 s17, s17, 0
	v_or_b32_e32 v4, v6, v4
	s_cmp_lg_u32 s12, s14
	v_or_b32_e32 v5, v7, v5
	s_cbranch_scc1 .LBB9_36
.LBB9_37:                               ;   in Loop: Header=BB9_33 Depth=2
	s_mov_b32 s16, 0
	s_andn2_b64 vcc, exec, s[4:5]
	s_mov_b64 s[4:5], s[6:7]
	s_cbranch_vccz .LBB9_39
	s_branch .LBB9_40
.LBB9_38:                               ;   in Loop: Header=BB9_33 Depth=2
                                        ; implicit-def: $vgpr4_vgpr5
                                        ; implicit-def: $sgpr16
	s_mov_b64 s[4:5], s[6:7]
.LBB9_39:                               ;   in Loop: Header=BB9_33 Depth=2
	global_load_dwordx2 v[4:5], v50, s[6:7]
	s_add_i32 s16, s10, -8
	s_add_u32 s4, s6, 8
	s_addc_u32 s5, s7, 0
.LBB9_40:                               ;   in Loop: Header=BB9_33 Depth=2
	s_cmp_gt_u32 s16, 7
	s_cbranch_scc1 .LBB9_44
; %bb.41:                               ;   in Loop: Header=BB9_33 Depth=2
	s_cmp_eq_u32 s16, 0
	s_cbranch_scc1 .LBB9_45
; %bb.42:                               ;   in Loop: Header=BB9_33 Depth=2
	v_mov_b32_e32 v6, 0
	s_mov_b64 s[12:13], 0
	v_mov_b32_e32 v7, 0
	s_mov_b64 s[14:15], 0
.LBB9_43:                               ;   Parent Loop BB9_2 Depth=1
                                        ;     Parent Loop BB9_33 Depth=2
                                        ; =>    This Inner Loop Header: Depth=3
	s_add_u32 s18, s4, s14
	s_addc_u32 s19, s5, s15
	global_load_ubyte v8, v50, s[18:19]
	s_add_u32 s14, s14, 1
	s_addc_u32 s15, s15, 0
	s_waitcnt vmcnt(0)
	v_and_b32_e32 v49, 0xffff, v8
	v_lshlrev_b64 v[8:9], s12, v[49:50]
	s_add_u32 s12, s12, 8
	s_addc_u32 s13, s13, 0
	v_or_b32_e32 v6, v8, v6
	s_cmp_lg_u32 s16, s14
	v_or_b32_e32 v7, v9, v7
	s_cbranch_scc1 .LBB9_43
	s_branch .LBB9_46
.LBB9_44:                               ;   in Loop: Header=BB9_33 Depth=2
                                        ; implicit-def: $vgpr6_vgpr7
                                        ; implicit-def: $sgpr17
	s_branch .LBB9_47
.LBB9_45:                               ;   in Loop: Header=BB9_33 Depth=2
	v_mov_b32_e32 v6, 0
	v_mov_b32_e32 v7, 0
.LBB9_46:                               ;   in Loop: Header=BB9_33 Depth=2
	s_mov_b32 s17, 0
	s_cbranch_execnz .LBB9_48
.LBB9_47:                               ;   in Loop: Header=BB9_33 Depth=2
	global_load_dwordx2 v[6:7], v50, s[4:5]
	s_add_i32 s17, s16, -8
	s_add_u32 s4, s4, 8
	s_addc_u32 s5, s5, 0
.LBB9_48:                               ;   in Loop: Header=BB9_33 Depth=2
	s_cmp_gt_u32 s17, 7
	s_cbranch_scc1 .LBB9_52
; %bb.49:                               ;   in Loop: Header=BB9_33 Depth=2
	s_cmp_eq_u32 s17, 0
	s_cbranch_scc1 .LBB9_53
; %bb.50:                               ;   in Loop: Header=BB9_33 Depth=2
	v_mov_b32_e32 v8, 0
	s_mov_b64 s[12:13], 0
	v_mov_b32_e32 v9, 0
	s_mov_b64 s[14:15], 0
.LBB9_51:                               ;   Parent Loop BB9_2 Depth=1
                                        ;     Parent Loop BB9_33 Depth=2
                                        ; =>    This Inner Loop Header: Depth=3
	s_add_u32 s18, s4, s14
	s_addc_u32 s19, s5, s15
	global_load_ubyte v10, v50, s[18:19]
	s_add_u32 s14, s14, 1
	s_addc_u32 s15, s15, 0
	s_waitcnt vmcnt(0)
	v_and_b32_e32 v49, 0xffff, v10
	v_lshlrev_b64 v[10:11], s12, v[49:50]
	s_add_u32 s12, s12, 8
	s_addc_u32 s13, s13, 0
	v_or_b32_e32 v8, v10, v8
	s_cmp_lg_u32 s17, s14
	v_or_b32_e32 v9, v11, v9
	s_cbranch_scc1 .LBB9_51
	s_branch .LBB9_54
.LBB9_52:                               ;   in Loop: Header=BB9_33 Depth=2
                                        ; implicit-def: $sgpr16
	s_branch .LBB9_55
.LBB9_53:                               ;   in Loop: Header=BB9_33 Depth=2
	v_mov_b32_e32 v8, 0
	v_mov_b32_e32 v9, 0
.LBB9_54:                               ;   in Loop: Header=BB9_33 Depth=2
	s_mov_b32 s16, 0
	s_cbranch_execnz .LBB9_56
.LBB9_55:                               ;   in Loop: Header=BB9_33 Depth=2
	global_load_dwordx2 v[8:9], v50, s[4:5]
	s_add_i32 s16, s17, -8
	s_add_u32 s4, s4, 8
	s_addc_u32 s5, s5, 0
.LBB9_56:                               ;   in Loop: Header=BB9_33 Depth=2
	s_cmp_gt_u32 s16, 7
	s_cbranch_scc1 .LBB9_60
; %bb.57:                               ;   in Loop: Header=BB9_33 Depth=2
	s_cmp_eq_u32 s16, 0
	s_cbranch_scc1 .LBB9_61
; %bb.58:                               ;   in Loop: Header=BB9_33 Depth=2
	v_mov_b32_e32 v10, 0
	s_mov_b64 s[12:13], 0
	v_mov_b32_e32 v11, 0
	s_mov_b64 s[14:15], 0
.LBB9_59:                               ;   Parent Loop BB9_2 Depth=1
                                        ;     Parent Loop BB9_33 Depth=2
                                        ; =>    This Inner Loop Header: Depth=3
	s_add_u32 s18, s4, s14
	s_addc_u32 s19, s5, s15
	global_load_ubyte v12, v50, s[18:19]
	s_add_u32 s14, s14, 1
	s_addc_u32 s15, s15, 0
	s_waitcnt vmcnt(0)
	v_and_b32_e32 v49, 0xffff, v12
	v_lshlrev_b64 v[12:13], s12, v[49:50]
	s_add_u32 s12, s12, 8
	s_addc_u32 s13, s13, 0
	v_or_b32_e32 v10, v12, v10
	s_cmp_lg_u32 s16, s14
	v_or_b32_e32 v11, v13, v11
	s_cbranch_scc1 .LBB9_59
	s_branch .LBB9_62
.LBB9_60:                               ;   in Loop: Header=BB9_33 Depth=2
                                        ; implicit-def: $vgpr10_vgpr11
                                        ; implicit-def: $sgpr17
	s_branch .LBB9_63
.LBB9_61:                               ;   in Loop: Header=BB9_33 Depth=2
	v_mov_b32_e32 v10, 0
	v_mov_b32_e32 v11, 0
.LBB9_62:                               ;   in Loop: Header=BB9_33 Depth=2
	s_mov_b32 s17, 0
	s_cbranch_execnz .LBB9_64
.LBB9_63:                               ;   in Loop: Header=BB9_33 Depth=2
	global_load_dwordx2 v[10:11], v50, s[4:5]
	s_add_i32 s17, s16, -8
	s_add_u32 s4, s4, 8
	s_addc_u32 s5, s5, 0
.LBB9_64:                               ;   in Loop: Header=BB9_33 Depth=2
	s_cmp_gt_u32 s17, 7
	s_cbranch_scc1 .LBB9_68
; %bb.65:                               ;   in Loop: Header=BB9_33 Depth=2
	s_cmp_eq_u32 s17, 0
	s_cbranch_scc1 .LBB9_69
; %bb.66:                               ;   in Loop: Header=BB9_33 Depth=2
	v_mov_b32_e32 v12, 0
	s_mov_b64 s[12:13], 0
	v_mov_b32_e32 v13, 0
	s_mov_b64 s[14:15], 0
.LBB9_67:                               ;   Parent Loop BB9_2 Depth=1
                                        ;     Parent Loop BB9_33 Depth=2
                                        ; =>    This Inner Loop Header: Depth=3
	s_add_u32 s18, s4, s14
	s_addc_u32 s19, s5, s15
	global_load_ubyte v14, v50, s[18:19]
	s_add_u32 s14, s14, 1
	s_addc_u32 s15, s15, 0
	s_waitcnt vmcnt(0)
	v_and_b32_e32 v49, 0xffff, v14
	v_lshlrev_b64 v[14:15], s12, v[49:50]
	s_add_u32 s12, s12, 8
	s_addc_u32 s13, s13, 0
	v_or_b32_e32 v12, v14, v12
	s_cmp_lg_u32 s17, s14
	v_or_b32_e32 v13, v15, v13
	s_cbranch_scc1 .LBB9_67
	s_branch .LBB9_70
.LBB9_68:                               ;   in Loop: Header=BB9_33 Depth=2
                                        ; implicit-def: $sgpr16
	s_branch .LBB9_71
.LBB9_69:                               ;   in Loop: Header=BB9_33 Depth=2
	v_mov_b32_e32 v12, 0
	v_mov_b32_e32 v13, 0
.LBB9_70:                               ;   in Loop: Header=BB9_33 Depth=2
	s_mov_b32 s16, 0
	s_cbranch_execnz .LBB9_72
.LBB9_71:                               ;   in Loop: Header=BB9_33 Depth=2
	global_load_dwordx2 v[12:13], v50, s[4:5]
	s_add_i32 s16, s17, -8
	s_add_u32 s4, s4, 8
	s_addc_u32 s5, s5, 0
.LBB9_72:                               ;   in Loop: Header=BB9_33 Depth=2
	s_cmp_gt_u32 s16, 7
	s_cbranch_scc1 .LBB9_76
; %bb.73:                               ;   in Loop: Header=BB9_33 Depth=2
	s_cmp_eq_u32 s16, 0
	s_cbranch_scc1 .LBB9_77
; %bb.74:                               ;   in Loop: Header=BB9_33 Depth=2
	v_mov_b32_e32 v14, 0
	s_mov_b64 s[12:13], 0
	v_mov_b32_e32 v15, 0
	s_mov_b64 s[14:15], 0
.LBB9_75:                               ;   Parent Loop BB9_2 Depth=1
                                        ;     Parent Loop BB9_33 Depth=2
                                        ; =>    This Inner Loop Header: Depth=3
	s_add_u32 s18, s4, s14
	s_addc_u32 s19, s5, s15
	global_load_ubyte v16, v50, s[18:19]
	s_add_u32 s14, s14, 1
	s_addc_u32 s15, s15, 0
	s_waitcnt vmcnt(0)
	v_and_b32_e32 v49, 0xffff, v16
	v_lshlrev_b64 v[16:17], s12, v[49:50]
	s_add_u32 s12, s12, 8
	s_addc_u32 s13, s13, 0
	v_or_b32_e32 v14, v16, v14
	s_cmp_lg_u32 s16, s14
	v_or_b32_e32 v15, v17, v15
	s_cbranch_scc1 .LBB9_75
	s_branch .LBB9_78
.LBB9_76:                               ;   in Loop: Header=BB9_33 Depth=2
                                        ; implicit-def: $vgpr14_vgpr15
                                        ; implicit-def: $sgpr17
	s_branch .LBB9_79
.LBB9_77:                               ;   in Loop: Header=BB9_33 Depth=2
	v_mov_b32_e32 v14, 0
	v_mov_b32_e32 v15, 0
.LBB9_78:                               ;   in Loop: Header=BB9_33 Depth=2
	s_mov_b32 s17, 0
	s_cbranch_execnz .LBB9_80
.LBB9_79:                               ;   in Loop: Header=BB9_33 Depth=2
	global_load_dwordx2 v[14:15], v50, s[4:5]
	s_add_i32 s17, s16, -8
	s_add_u32 s4, s4, 8
	s_addc_u32 s5, s5, 0
.LBB9_80:                               ;   in Loop: Header=BB9_33 Depth=2
	s_cmp_gt_u32 s17, 7
	s_cbranch_scc1 .LBB9_84
; %bb.81:                               ;   in Loop: Header=BB9_33 Depth=2
	s_cmp_eq_u32 s17, 0
	s_cbranch_scc1 .LBB9_85
; %bb.82:                               ;   in Loop: Header=BB9_33 Depth=2
	v_mov_b32_e32 v16, 0
	s_mov_b64 s[12:13], 0
	v_mov_b32_e32 v17, 0
	s_mov_b64 s[14:15], s[4:5]
.LBB9_83:                               ;   Parent Loop BB9_2 Depth=1
                                        ;     Parent Loop BB9_33 Depth=2
                                        ; =>    This Inner Loop Header: Depth=3
	global_load_ubyte v18, v50, s[14:15]
	s_add_i32 s17, s17, -1
	s_waitcnt vmcnt(0)
	v_and_b32_e32 v49, 0xffff, v18
	v_lshlrev_b64 v[18:19], s12, v[49:50]
	s_add_u32 s12, s12, 8
	s_addc_u32 s13, s13, 0
	s_add_u32 s14, s14, 1
	s_addc_u32 s15, s15, 0
	v_or_b32_e32 v16, v18, v16
	s_cmp_lg_u32 s17, 0
	v_or_b32_e32 v17, v19, v17
	s_cbranch_scc1 .LBB9_83
	s_branch .LBB9_86
.LBB9_84:                               ;   in Loop: Header=BB9_33 Depth=2
	s_branch .LBB9_87
.LBB9_85:                               ;   in Loop: Header=BB9_33 Depth=2
	v_mov_b32_e32 v16, 0
	v_mov_b32_e32 v17, 0
.LBB9_86:                               ;   in Loop: Header=BB9_33 Depth=2
	s_cbranch_execnz .LBB9_88
.LBB9_87:                               ;   in Loop: Header=BB9_33 Depth=2
	global_load_dwordx2 v[16:17], v50, s[4:5]
.LBB9_88:                               ;   in Loop: Header=BB9_33 Depth=2
	v_readfirstlane_b32 s4, v55
	v_mov_b32_e32 v22, 0
	v_mov_b32_e32 v23, 0
	v_cmp_eq_u32_e64 s[4:5], s4, v55
	s_and_saveexec_b64 s[12:13], s[4:5]
	s_cbranch_execz .LBB9_94
; %bb.89:                               ;   in Loop: Header=BB9_33 Depth=2
	global_load_dwordx2 v[20:21], v50, s[28:29] offset:24 glc
	s_waitcnt vmcnt(0)
	buffer_wbinvl1_vol
	global_load_dwordx2 v[18:19], v50, s[28:29] offset:40
	global_load_dwordx2 v[22:23], v50, s[28:29]
	s_waitcnt vmcnt(1)
	v_and_b32_e32 v18, v18, v20
	v_and_b32_e32 v19, v19, v21
	v_mul_lo_u32 v19, v19, 24
	v_mul_hi_u32 v26, v18, 24
	v_mul_lo_u32 v18, v18, 24
	v_add_u32_e32 v19, v26, v19
	s_waitcnt vmcnt(0)
	v_add_co_u32_e32 v18, vcc, v22, v18
	v_addc_co_u32_e32 v19, vcc, v23, v19, vcc
	global_load_dwordx2 v[18:19], v[18:19], off glc
	s_waitcnt vmcnt(0)
	global_atomic_cmpswap_x2 v[22:23], v50, v[18:21], s[28:29] offset:24 glc
	s_waitcnt vmcnt(0)
	buffer_wbinvl1_vol
	v_cmp_ne_u64_e32 vcc, v[22:23], v[20:21]
	s_and_saveexec_b64 s[14:15], vcc
	s_cbranch_execz .LBB9_93
; %bb.90:                               ;   in Loop: Header=BB9_33 Depth=2
	s_mov_b64 s[16:17], 0
.LBB9_91:                               ;   Parent Loop BB9_2 Depth=1
                                        ;     Parent Loop BB9_33 Depth=2
                                        ; =>    This Inner Loop Header: Depth=3
	s_sleep 1
	global_load_dwordx2 v[18:19], v50, s[28:29] offset:40
	global_load_dwordx2 v[26:27], v50, s[28:29]
	v_mov_b32_e32 v20, v22
	v_mov_b32_e32 v21, v23
	s_waitcnt vmcnt(1)
	v_and_b32_e32 v18, v18, v20
	s_waitcnt vmcnt(0)
	v_mad_u64_u32 v[22:23], s[18:19], v18, 24, v[26:27]
	v_and_b32_e32 v19, v19, v21
	v_mov_b32_e32 v18, v23
	v_mad_u64_u32 v[18:19], s[18:19], v19, 24, v[18:19]
	v_mov_b32_e32 v23, v18
	global_load_dwordx2 v[18:19], v[22:23], off glc
	s_waitcnt vmcnt(0)
	global_atomic_cmpswap_x2 v[22:23], v50, v[18:21], s[28:29] offset:24 glc
	s_waitcnt vmcnt(0)
	buffer_wbinvl1_vol
	v_cmp_eq_u64_e32 vcc, v[22:23], v[20:21]
	s_or_b64 s[16:17], vcc, s[16:17]
	s_andn2_b64 exec, exec, s[16:17]
	s_cbranch_execnz .LBB9_91
; %bb.92:                               ;   in Loop: Header=BB9_33 Depth=2
	s_or_b64 exec, exec, s[16:17]
.LBB9_93:                               ;   in Loop: Header=BB9_33 Depth=2
	s_or_b64 exec, exec, s[14:15]
.LBB9_94:                               ;   in Loop: Header=BB9_33 Depth=2
	s_or_b64 exec, exec, s[12:13]
	global_load_dwordx2 v[26:27], v50, s[28:29] offset:40
	global_load_dwordx4 v[18:21], v50, s[28:29]
	v_readfirstlane_b32 s12, v22
	v_readfirstlane_b32 s13, v23
	s_mov_b64 s[14:15], exec
	s_waitcnt vmcnt(1)
	v_readfirstlane_b32 s16, v26
	v_readfirstlane_b32 s17, v27
	s_and_b64 s[16:17], s[12:13], s[16:17]
	s_mul_i32 s18, s17, 24
	s_mul_hi_u32 s19, s16, 24
	s_mul_i32 s20, s16, 24
	s_add_i32 s18, s19, s18
	v_mov_b32_e32 v23, s18
	s_waitcnt vmcnt(0)
	v_add_co_u32_e32 v22, vcc, s20, v18
	v_addc_co_u32_e32 v23, vcc, v19, v23, vcc
	s_and_saveexec_b64 s[18:19], s[4:5]
	s_cbranch_execz .LBB9_96
; %bb.95:                               ;   in Loop: Header=BB9_33 Depth=2
	v_mov_b32_e32 v52, s15
	v_mov_b32_e32 v51, s14
	global_store_dwordx4 v[22:23], v[51:54], off offset:8
.LBB9_96:                               ;   in Loop: Header=BB9_33 Depth=2
	s_or_b64 exec, exec, s[18:19]
	s_lshl_b64 s[14:15], s[16:17], 12
	v_mov_b32_e32 v26, s15
	v_add_co_u32_e32 v20, vcc, s14, v20
	v_addc_co_u32_e32 v21, vcc, v21, v26, vcc
	v_cmp_gt_u64_e64 vcc, s[8:9], 56
	v_or_b32_e32 v27, v2, v25
	s_lshl_b32 s14, s10, 2
	v_cndmask_b32_e32 v2, v27, v2, vcc
	s_add_i32 s14, s14, 28
	v_or_b32_e32 v26, 0, v3
	s_and_b32 s14, s14, 0x1e0
	v_and_b32_e32 v2, 0xffffff1f, v2
	v_cndmask_b32_e32 v3, v26, v3, vcc
	v_or_b32_e32 v2, s14, v2
	v_lshlrev_b32_e32 v26, 6, v55
	v_readfirstlane_b32 s14, v20
	v_readfirstlane_b32 s15, v21
	s_nop 4
	global_store_dwordx4 v26, v[2:5], s[14:15]
	global_store_dwordx4 v26, v[6:9], s[14:15] offset:16
	global_store_dwordx4 v26, v[10:13], s[14:15] offset:32
	;; [unrolled: 1-line block ×3, first 2 shown]
	s_and_saveexec_b64 s[14:15], s[4:5]
	s_cbranch_execz .LBB9_104
; %bb.97:                               ;   in Loop: Header=BB9_33 Depth=2
	global_load_dwordx2 v[10:11], v50, s[28:29] offset:32 glc
	global_load_dwordx2 v[2:3], v50, s[28:29] offset:40
	v_mov_b32_e32 v8, s12
	v_mov_b32_e32 v9, s13
	s_waitcnt vmcnt(0)
	v_readfirstlane_b32 s16, v2
	v_readfirstlane_b32 s17, v3
	s_and_b64 s[16:17], s[16:17], s[12:13]
	s_mul_i32 s17, s17, 24
	s_mul_hi_u32 s18, s16, 24
	s_mul_i32 s16, s16, 24
	s_add_i32 s17, s18, s17
	v_mov_b32_e32 v2, s17
	v_add_co_u32_e32 v6, vcc, s16, v18
	v_addc_co_u32_e32 v7, vcc, v19, v2, vcc
	global_store_dwordx2 v[6:7], v[10:11], off
	s_waitcnt vmcnt(0)
	global_atomic_cmpswap_x2 v[4:5], v50, v[8:11], s[28:29] offset:32 glc
	s_waitcnt vmcnt(0)
	v_cmp_ne_u64_e32 vcc, v[4:5], v[10:11]
	s_and_saveexec_b64 s[16:17], vcc
	s_cbranch_execz .LBB9_100
; %bb.98:                               ;   in Loop: Header=BB9_33 Depth=2
	s_mov_b64 s[18:19], 0
.LBB9_99:                               ;   Parent Loop BB9_2 Depth=1
                                        ;     Parent Loop BB9_33 Depth=2
                                        ; =>    This Inner Loop Header: Depth=3
	s_sleep 1
	global_store_dwordx2 v[6:7], v[4:5], off
	v_mov_b32_e32 v2, s12
	v_mov_b32_e32 v3, s13
	s_waitcnt vmcnt(0)
	global_atomic_cmpswap_x2 v[2:3], v50, v[2:5], s[28:29] offset:32 glc
	s_waitcnt vmcnt(0)
	v_cmp_eq_u64_e32 vcc, v[2:3], v[4:5]
	v_mov_b32_e32 v5, v3
	s_or_b64 s[18:19], vcc, s[18:19]
	v_mov_b32_e32 v4, v2
	s_andn2_b64 exec, exec, s[18:19]
	s_cbranch_execnz .LBB9_99
.LBB9_100:                              ;   in Loop: Header=BB9_33 Depth=2
	s_or_b64 exec, exec, s[16:17]
	global_load_dwordx2 v[2:3], v50, s[28:29] offset:16
	s_mov_b64 s[18:19], exec
	v_mbcnt_lo_u32_b32 v4, s18, 0
	v_mbcnt_hi_u32_b32 v4, s19, v4
	v_cmp_eq_u32_e32 vcc, 0, v4
	s_and_saveexec_b64 s[16:17], vcc
	s_cbranch_execz .LBB9_102
; %bb.101:                              ;   in Loop: Header=BB9_33 Depth=2
	s_bcnt1_i32_b64 s18, s[18:19]
	v_mov_b32_e32 v49, s18
	s_waitcnt vmcnt(0)
	global_atomic_add_x2 v[2:3], v[49:50], off offset:8
.LBB9_102:                              ;   in Loop: Header=BB9_33 Depth=2
	s_or_b64 exec, exec, s[16:17]
	s_waitcnt vmcnt(0)
	global_load_dwordx2 v[4:5], v[2:3], off offset:16
	s_waitcnt vmcnt(0)
	v_cmp_eq_u64_e32 vcc, 0, v[4:5]
	s_cbranch_vccnz .LBB9_104
; %bb.103:                              ;   in Loop: Header=BB9_33 Depth=2
	global_load_dword v49, v[2:3], off offset:24
	s_waitcnt vmcnt(0)
	v_and_b32_e32 v2, 0xffffff, v49
	v_readfirstlane_b32 m0, v2
	global_store_dwordx2 v[4:5], v[49:50], off
	s_sendmsg sendmsg(MSG_INTERRUPT)
.LBB9_104:                              ;   in Loop: Header=BB9_33 Depth=2
	s_or_b64 exec, exec, s[14:15]
	v_add_co_u32_e32 v2, vcc, v20, v26
	v_addc_co_u32_e32 v3, vcc, 0, v21, vcc
	s_branch .LBB9_108
.LBB9_105:                              ;   in Loop: Header=BB9_108 Depth=3
	s_or_b64 exec, exec, s[14:15]
	v_readfirstlane_b32 s14, v4
	s_cmp_eq_u32 s14, 0
	s_cbranch_scc1 .LBB9_107
; %bb.106:                              ;   in Loop: Header=BB9_108 Depth=3
	s_sleep 1
	s_cbranch_execnz .LBB9_108
	s_branch .LBB9_110
.LBB9_107:                              ;   in Loop: Header=BB9_33 Depth=2
	s_branch .LBB9_110
.LBB9_108:                              ;   Parent Loop BB9_2 Depth=1
                                        ;     Parent Loop BB9_33 Depth=2
                                        ; =>    This Inner Loop Header: Depth=3
	v_mov_b32_e32 v4, 1
	s_and_saveexec_b64 s[14:15], s[4:5]
	s_cbranch_execz .LBB9_105
; %bb.109:                              ;   in Loop: Header=BB9_108 Depth=3
	global_load_dword v4, v[22:23], off offset:20 glc
	s_waitcnt vmcnt(0)
	buffer_wbinvl1_vol
	v_and_b32_e32 v4, 1, v4
	s_branch .LBB9_105
.LBB9_110:                              ;   in Loop: Header=BB9_33 Depth=2
	global_load_dwordx4 v[2:5], v[2:3], off
	s_and_saveexec_b64 s[14:15], s[4:5]
	s_cbranch_execz .LBB9_32
; %bb.111:                              ;   in Loop: Header=BB9_33 Depth=2
	global_load_dwordx2 v[6:7], v50, s[28:29] offset:40
	global_load_dwordx2 v[10:11], v50, s[28:29] offset:24 glc
	global_load_dwordx2 v[8:9], v50, s[28:29]
	s_waitcnt vmcnt(3)
	v_mov_b32_e32 v5, s13
	s_waitcnt vmcnt(2)
	v_add_co_u32_e32 v12, vcc, 1, v6
	v_addc_co_u32_e32 v13, vcc, 0, v7, vcc
	v_add_co_u32_e32 v4, vcc, s12, v12
	v_addc_co_u32_e32 v5, vcc, v13, v5, vcc
	v_cmp_eq_u64_e32 vcc, 0, v[4:5]
	v_cndmask_b32_e32 v5, v5, v13, vcc
	v_cndmask_b32_e32 v4, v4, v12, vcc
	v_and_b32_e32 v7, v5, v7
	v_and_b32_e32 v6, v4, v6
	v_mul_lo_u32 v7, v7, 24
	v_mul_hi_u32 v12, v6, 24
	v_mul_lo_u32 v13, v6, 24
	s_waitcnt vmcnt(1)
	v_mov_b32_e32 v6, v10
	v_add_u32_e32 v7, v12, v7
	s_waitcnt vmcnt(0)
	v_add_co_u32_e32 v8, vcc, v8, v13
	v_addc_co_u32_e32 v9, vcc, v9, v7, vcc
	global_store_dwordx2 v[8:9], v[10:11], off
	v_mov_b32_e32 v7, v11
	s_waitcnt vmcnt(0)
	global_atomic_cmpswap_x2 v[6:7], v50, v[4:7], s[28:29] offset:24 glc
	s_waitcnt vmcnt(0)
	v_cmp_ne_u64_e32 vcc, v[6:7], v[10:11]
	s_and_b64 exec, exec, vcc
	s_cbranch_execz .LBB9_32
; %bb.112:                              ;   in Loop: Header=BB9_33 Depth=2
	s_mov_b64 s[4:5], 0
.LBB9_113:                              ;   Parent Loop BB9_2 Depth=1
                                        ;     Parent Loop BB9_33 Depth=2
                                        ; =>    This Inner Loop Header: Depth=3
	s_sleep 1
	global_store_dwordx2 v[8:9], v[6:7], off
	s_waitcnt vmcnt(0)
	global_atomic_cmpswap_x2 v[10:11], v50, v[4:7], s[28:29] offset:24 glc
	s_waitcnt vmcnt(0)
	v_cmp_eq_u64_e32 vcc, v[10:11], v[6:7]
	v_mov_b32_e32 v6, v10
	s_or_b64 s[4:5], vcc, s[4:5]
	v_mov_b32_e32 v7, v11
	s_andn2_b64 exec, exec, s[4:5]
	s_cbranch_execnz .LBB9_113
	s_branch .LBB9_32
.LBB9_114:                              ;   in Loop: Header=BB9_2 Depth=1
	s_branch .LBB9_143
.LBB9_115:                              ;   in Loop: Header=BB9_2 Depth=1
                                        ; implicit-def: $vgpr2_vgpr3
	s_cbranch_execz .LBB9_143
; %bb.116:                              ;   in Loop: Header=BB9_2 Depth=1
	v_readfirstlane_b32 s4, v55
	s_waitcnt vmcnt(0)
	v_mov_b32_e32 v2, 0
	v_mov_b32_e32 v3, 0
	v_cmp_eq_u32_e64 s[4:5], s4, v55
	s_and_saveexec_b64 s[6:7], s[4:5]
	s_cbranch_execz .LBB9_122
; %bb.117:                              ;   in Loop: Header=BB9_2 Depth=1
	global_load_dwordx2 v[4:5], v50, s[28:29] offset:24 glc
	s_waitcnt vmcnt(0)
	buffer_wbinvl1_vol
	global_load_dwordx2 v[2:3], v50, s[28:29] offset:40
	global_load_dwordx2 v[6:7], v50, s[28:29]
	s_waitcnt vmcnt(1)
	v_and_b32_e32 v2, v2, v4
	v_and_b32_e32 v3, v3, v5
	v_mul_lo_u32 v3, v3, 24
	v_mul_hi_u32 v8, v2, 24
	v_mul_lo_u32 v2, v2, 24
	v_add_u32_e32 v3, v8, v3
	s_waitcnt vmcnt(0)
	v_add_co_u32_e32 v2, vcc, v6, v2
	v_addc_co_u32_e32 v3, vcc, v7, v3, vcc
	global_load_dwordx2 v[2:3], v[2:3], off glc
	s_waitcnt vmcnt(0)
	global_atomic_cmpswap_x2 v[2:3], v50, v[2:5], s[28:29] offset:24 glc
	s_waitcnt vmcnt(0)
	buffer_wbinvl1_vol
	v_cmp_ne_u64_e32 vcc, v[2:3], v[4:5]
	s_and_saveexec_b64 s[8:9], vcc
	s_cbranch_execz .LBB9_121
; %bb.118:                              ;   in Loop: Header=BB9_2 Depth=1
	s_mov_b64 s[10:11], 0
.LBB9_119:                              ;   Parent Loop BB9_2 Depth=1
                                        ; =>  This Inner Loop Header: Depth=2
	s_sleep 1
	global_load_dwordx2 v[6:7], v50, s[28:29] offset:40
	global_load_dwordx2 v[8:9], v50, s[28:29]
	v_mov_b32_e32 v5, v3
	v_mov_b32_e32 v4, v2
	s_waitcnt vmcnt(1)
	v_and_b32_e32 v2, v6, v4
	s_waitcnt vmcnt(0)
	v_mad_u64_u32 v[2:3], s[12:13], v2, 24, v[8:9]
	v_and_b32_e32 v6, v7, v5
	v_mad_u64_u32 v[6:7], s[12:13], v6, 24, v[3:4]
	v_mov_b32_e32 v3, v6
	global_load_dwordx2 v[2:3], v[2:3], off glc
	s_waitcnt vmcnt(0)
	global_atomic_cmpswap_x2 v[2:3], v50, v[2:5], s[28:29] offset:24 glc
	s_waitcnt vmcnt(0)
	buffer_wbinvl1_vol
	v_cmp_eq_u64_e32 vcc, v[2:3], v[4:5]
	s_or_b64 s[10:11], vcc, s[10:11]
	s_andn2_b64 exec, exec, s[10:11]
	s_cbranch_execnz .LBB9_119
; %bb.120:                              ;   in Loop: Header=BB9_2 Depth=1
	s_or_b64 exec, exec, s[10:11]
.LBB9_121:                              ;   in Loop: Header=BB9_2 Depth=1
	s_or_b64 exec, exec, s[8:9]
.LBB9_122:                              ;   in Loop: Header=BB9_2 Depth=1
	s_or_b64 exec, exec, s[6:7]
	global_load_dwordx2 v[8:9], v50, s[28:29] offset:40
	global_load_dwordx4 v[4:7], v50, s[28:29]
	v_readfirstlane_b32 s6, v2
	v_readfirstlane_b32 s7, v3
	s_mov_b64 s[8:9], exec
	s_waitcnt vmcnt(1)
	v_readfirstlane_b32 s10, v8
	v_readfirstlane_b32 s11, v9
	s_and_b64 s[10:11], s[6:7], s[10:11]
	s_mul_i32 s12, s11, 24
	s_mul_hi_u32 s13, s10, 24
	s_mul_i32 s14, s10, 24
	s_add_i32 s12, s13, s12
	v_mov_b32_e32 v2, s12
	s_waitcnt vmcnt(0)
	v_add_co_u32_e32 v8, vcc, s14, v4
	v_addc_co_u32_e32 v9, vcc, v5, v2, vcc
	s_and_saveexec_b64 s[12:13], s[4:5]
	s_cbranch_execz .LBB9_124
; %bb.123:                              ;   in Loop: Header=BB9_2 Depth=1
	v_mov_b32_e32 v52, s9
	v_mov_b32_e32 v51, s8
	global_store_dwordx4 v[8:9], v[51:54], off offset:8
.LBB9_124:                              ;   in Loop: Header=BB9_2 Depth=1
	s_or_b64 exec, exec, s[12:13]
	s_lshl_b64 s[8:9], s[10:11], 12
	v_mov_b32_e32 v2, s9
	v_add_co_u32_e32 v6, vcc, s8, v6
	v_addc_co_u32_e32 v7, vcc, v7, v2, vcc
	v_and_or_b32 v0, v0, s23, 32
	v_lshlrev_b32_e32 v10, 6, v55
	v_mov_b32_e32 v2, v50
	v_mov_b32_e32 v3, v50
	v_readfirstlane_b32 s8, v6
	v_readfirstlane_b32 s9, v7
	s_nop 4
	global_store_dwordx4 v10, v[0:3], s[8:9]
	s_nop 0
	v_mov_b32_e32 v0, s36
	v_mov_b32_e32 v1, s37
	;; [unrolled: 1-line block ×4, first 2 shown]
	global_store_dwordx4 v10, v[0:3], s[8:9] offset:16
	global_store_dwordx4 v10, v[0:3], s[8:9] offset:32
	;; [unrolled: 1-line block ×3, first 2 shown]
	s_and_saveexec_b64 s[8:9], s[4:5]
	s_cbranch_execz .LBB9_132
; %bb.125:                              ;   in Loop: Header=BB9_2 Depth=1
	global_load_dwordx2 v[13:14], v50, s[28:29] offset:32 glc
	global_load_dwordx2 v[0:1], v50, s[28:29] offset:40
	v_mov_b32_e32 v11, s6
	v_mov_b32_e32 v12, s7
	s_waitcnt vmcnt(0)
	v_readfirstlane_b32 s10, v0
	v_readfirstlane_b32 s11, v1
	s_and_b64 s[10:11], s[10:11], s[6:7]
	s_mul_i32 s11, s11, 24
	s_mul_hi_u32 s12, s10, 24
	s_mul_i32 s10, s10, 24
	s_add_i32 s11, s12, s11
	v_mov_b32_e32 v0, s11
	v_add_co_u32_e32 v4, vcc, s10, v4
	v_addc_co_u32_e32 v5, vcc, v5, v0, vcc
	global_store_dwordx2 v[4:5], v[13:14], off
	s_waitcnt vmcnt(0)
	global_atomic_cmpswap_x2 v[2:3], v50, v[11:14], s[28:29] offset:32 glc
	s_waitcnt vmcnt(0)
	v_cmp_ne_u64_e32 vcc, v[2:3], v[13:14]
	s_and_saveexec_b64 s[10:11], vcc
	s_cbranch_execz .LBB9_128
; %bb.126:                              ;   in Loop: Header=BB9_2 Depth=1
	s_mov_b64 s[12:13], 0
.LBB9_127:                              ;   Parent Loop BB9_2 Depth=1
                                        ; =>  This Inner Loop Header: Depth=2
	s_sleep 1
	global_store_dwordx2 v[4:5], v[2:3], off
	v_mov_b32_e32 v0, s6
	v_mov_b32_e32 v1, s7
	s_waitcnt vmcnt(0)
	global_atomic_cmpswap_x2 v[0:1], v50, v[0:3], s[28:29] offset:32 glc
	s_waitcnt vmcnt(0)
	v_cmp_eq_u64_e32 vcc, v[0:1], v[2:3]
	v_mov_b32_e32 v3, v1
	s_or_b64 s[12:13], vcc, s[12:13]
	v_mov_b32_e32 v2, v0
	s_andn2_b64 exec, exec, s[12:13]
	s_cbranch_execnz .LBB9_127
.LBB9_128:                              ;   in Loop: Header=BB9_2 Depth=1
	s_or_b64 exec, exec, s[10:11]
	global_load_dwordx2 v[0:1], v50, s[28:29] offset:16
	s_mov_b64 s[12:13], exec
	v_mbcnt_lo_u32_b32 v2, s12, 0
	v_mbcnt_hi_u32_b32 v2, s13, v2
	v_cmp_eq_u32_e32 vcc, 0, v2
	s_and_saveexec_b64 s[10:11], vcc
	s_cbranch_execz .LBB9_130
; %bb.129:                              ;   in Loop: Header=BB9_2 Depth=1
	s_bcnt1_i32_b64 s12, s[12:13]
	v_mov_b32_e32 v49, s12
	s_waitcnt vmcnt(0)
	global_atomic_add_x2 v[0:1], v[49:50], off offset:8
.LBB9_130:                              ;   in Loop: Header=BB9_2 Depth=1
	s_or_b64 exec, exec, s[10:11]
	s_waitcnt vmcnt(0)
	global_load_dwordx2 v[2:3], v[0:1], off offset:16
	s_waitcnt vmcnt(0)
	v_cmp_eq_u64_e32 vcc, 0, v[2:3]
	s_cbranch_vccnz .LBB9_132
; %bb.131:                              ;   in Loop: Header=BB9_2 Depth=1
	global_load_dword v49, v[0:1], off offset:24
	s_waitcnt vmcnt(0)
	v_and_b32_e32 v0, 0xffffff, v49
	v_readfirstlane_b32 m0, v0
	global_store_dwordx2 v[2:3], v[49:50], off
	s_sendmsg sendmsg(MSG_INTERRUPT)
.LBB9_132:                              ;   in Loop: Header=BB9_2 Depth=1
	s_or_b64 exec, exec, s[8:9]
	v_add_co_u32_e32 v0, vcc, v6, v10
	v_addc_co_u32_e32 v1, vcc, 0, v7, vcc
	s_branch .LBB9_136
.LBB9_133:                              ;   in Loop: Header=BB9_136 Depth=2
	s_or_b64 exec, exec, s[8:9]
	v_readfirstlane_b32 s8, v2
	s_cmp_eq_u32 s8, 0
	s_cbranch_scc1 .LBB9_135
; %bb.134:                              ;   in Loop: Header=BB9_136 Depth=2
	s_sleep 1
	s_cbranch_execnz .LBB9_136
	s_branch .LBB9_138
.LBB9_135:                              ;   in Loop: Header=BB9_2 Depth=1
	s_branch .LBB9_138
.LBB9_136:                              ;   Parent Loop BB9_2 Depth=1
                                        ; =>  This Inner Loop Header: Depth=2
	v_mov_b32_e32 v2, 1
	s_and_saveexec_b64 s[8:9], s[4:5]
	s_cbranch_execz .LBB9_133
; %bb.137:                              ;   in Loop: Header=BB9_136 Depth=2
	global_load_dword v2, v[8:9], off offset:20 glc
	s_waitcnt vmcnt(0)
	buffer_wbinvl1_vol
	v_and_b32_e32 v2, 1, v2
	s_branch .LBB9_133
.LBB9_138:                              ;   in Loop: Header=BB9_2 Depth=1
	global_load_dwordx2 v[2:3], v[0:1], off
	s_and_saveexec_b64 s[8:9], s[4:5]
	s_cbranch_execz .LBB9_142
; %bb.139:                              ;   in Loop: Header=BB9_2 Depth=1
	global_load_dwordx2 v[0:1], v50, s[28:29] offset:40
	global_load_dwordx2 v[8:9], v50, s[28:29] offset:24 glc
	global_load_dwordx2 v[10:11], v50, s[28:29]
	v_mov_b32_e32 v5, s7
	s_waitcnt vmcnt(2)
	v_add_co_u32_e32 v6, vcc, 1, v0
	v_addc_co_u32_e32 v7, vcc, 0, v1, vcc
	v_add_co_u32_e32 v4, vcc, s6, v6
	v_addc_co_u32_e32 v5, vcc, v7, v5, vcc
	v_cmp_eq_u64_e32 vcc, 0, v[4:5]
	v_cndmask_b32_e32 v5, v5, v7, vcc
	v_cndmask_b32_e32 v4, v4, v6, vcc
	v_and_b32_e32 v1, v5, v1
	v_and_b32_e32 v0, v4, v0
	v_mul_lo_u32 v1, v1, 24
	v_mul_hi_u32 v7, v0, 24
	v_mul_lo_u32 v0, v0, 24
	s_waitcnt vmcnt(1)
	v_mov_b32_e32 v6, v8
	v_add_u32_e32 v1, v7, v1
	s_waitcnt vmcnt(0)
	v_add_co_u32_e32 v0, vcc, v10, v0
	v_addc_co_u32_e32 v1, vcc, v11, v1, vcc
	global_store_dwordx2 v[0:1], v[8:9], off
	v_mov_b32_e32 v7, v9
	s_waitcnt vmcnt(0)
	global_atomic_cmpswap_x2 v[6:7], v50, v[4:7], s[28:29] offset:24 glc
	s_waitcnt vmcnt(0)
	v_cmp_ne_u64_e32 vcc, v[6:7], v[8:9]
	s_and_b64 exec, exec, vcc
	s_cbranch_execz .LBB9_142
; %bb.140:                              ;   in Loop: Header=BB9_2 Depth=1
	s_mov_b64 s[4:5], 0
.LBB9_141:                              ;   Parent Loop BB9_2 Depth=1
                                        ; =>  This Inner Loop Header: Depth=2
	s_sleep 1
	global_store_dwordx2 v[0:1], v[6:7], off
	s_waitcnt vmcnt(0)
	global_atomic_cmpswap_x2 v[8:9], v50, v[4:7], s[28:29] offset:24 glc
	s_waitcnt vmcnt(0)
	v_cmp_eq_u64_e32 vcc, v[8:9], v[6:7]
	v_mov_b32_e32 v6, v8
	s_or_b64 s[4:5], vcc, s[4:5]
	v_mov_b32_e32 v7, v9
	s_andn2_b64 exec, exec, s[4:5]
	s_cbranch_execnz .LBB9_141
.LBB9_142:                              ;   in Loop: Header=BB9_2 Depth=1
	s_or_b64 exec, exec, s[8:9]
.LBB9_143:                              ;   in Loop: Header=BB9_2 Depth=1
	v_readfirstlane_b32 s4, v55
	s_waitcnt vmcnt(0)
	v_mov_b32_e32 v0, 0
	v_mov_b32_e32 v1, 0
	v_cmp_eq_u32_e64 s[4:5], s4, v55
	s_and_saveexec_b64 s[6:7], s[4:5]
	s_cbranch_execz .LBB9_149
; %bb.144:                              ;   in Loop: Header=BB9_2 Depth=1
	global_load_dwordx2 v[6:7], v50, s[28:29] offset:24 glc
	s_waitcnt vmcnt(0)
	buffer_wbinvl1_vol
	global_load_dwordx2 v[0:1], v50, s[28:29] offset:40
	global_load_dwordx2 v[4:5], v50, s[28:29]
	s_waitcnt vmcnt(1)
	v_and_b32_e32 v0, v0, v6
	v_and_b32_e32 v1, v1, v7
	v_mul_lo_u32 v1, v1, 24
	v_mul_hi_u32 v8, v0, 24
	v_mul_lo_u32 v0, v0, 24
	v_add_u32_e32 v1, v8, v1
	s_waitcnt vmcnt(0)
	v_add_co_u32_e32 v0, vcc, v4, v0
	v_addc_co_u32_e32 v1, vcc, v5, v1, vcc
	global_load_dwordx2 v[4:5], v[0:1], off glc
	s_waitcnt vmcnt(0)
	global_atomic_cmpswap_x2 v[0:1], v50, v[4:7], s[28:29] offset:24 glc
	s_waitcnt vmcnt(0)
	buffer_wbinvl1_vol
	v_cmp_ne_u64_e32 vcc, v[0:1], v[6:7]
	s_and_saveexec_b64 s[8:9], vcc
	s_cbranch_execz .LBB9_148
; %bb.145:                              ;   in Loop: Header=BB9_2 Depth=1
	s_mov_b64 s[10:11], 0
.LBB9_146:                              ;   Parent Loop BB9_2 Depth=1
                                        ; =>  This Inner Loop Header: Depth=2
	s_sleep 1
	global_load_dwordx2 v[4:5], v50, s[28:29] offset:40
	global_load_dwordx2 v[8:9], v50, s[28:29]
	v_mov_b32_e32 v7, v1
	v_mov_b32_e32 v6, v0
	s_waitcnt vmcnt(1)
	v_and_b32_e32 v0, v4, v6
	s_waitcnt vmcnt(0)
	v_mad_u64_u32 v[0:1], s[12:13], v0, 24, v[8:9]
	v_and_b32_e32 v4, v5, v7
	v_mad_u64_u32 v[4:5], s[12:13], v4, 24, v[1:2]
	v_mov_b32_e32 v1, v4
	global_load_dwordx2 v[4:5], v[0:1], off glc
	s_waitcnt vmcnt(0)
	global_atomic_cmpswap_x2 v[0:1], v50, v[4:7], s[28:29] offset:24 glc
	s_waitcnt vmcnt(0)
	buffer_wbinvl1_vol
	v_cmp_eq_u64_e32 vcc, v[0:1], v[6:7]
	s_or_b64 s[10:11], vcc, s[10:11]
	s_andn2_b64 exec, exec, s[10:11]
	s_cbranch_execnz .LBB9_146
; %bb.147:                              ;   in Loop: Header=BB9_2 Depth=1
	s_or_b64 exec, exec, s[10:11]
.LBB9_148:                              ;   in Loop: Header=BB9_2 Depth=1
	s_or_b64 exec, exec, s[8:9]
.LBB9_149:                              ;   in Loop: Header=BB9_2 Depth=1
	s_or_b64 exec, exec, s[6:7]
	global_load_dwordx2 v[4:5], v50, s[28:29] offset:40
	global_load_dwordx4 v[6:9], v50, s[28:29]
	v_readfirstlane_b32 s6, v0
	v_readfirstlane_b32 s7, v1
	s_mov_b64 s[8:9], exec
	s_waitcnt vmcnt(1)
	v_readfirstlane_b32 s10, v4
	v_readfirstlane_b32 s11, v5
	s_and_b64 s[10:11], s[6:7], s[10:11]
	s_mul_i32 s12, s11, 24
	s_mul_hi_u32 s13, s10, 24
	s_mul_i32 s14, s10, 24
	s_add_i32 s12, s13, s12
	v_mov_b32_e32 v0, s12
	s_waitcnt vmcnt(0)
	v_add_co_u32_e32 v10, vcc, s14, v6
	v_addc_co_u32_e32 v11, vcc, v7, v0, vcc
	s_and_saveexec_b64 s[12:13], s[4:5]
	s_cbranch_execz .LBB9_151
; %bb.150:                              ;   in Loop: Header=BB9_2 Depth=1
	v_mov_b32_e32 v52, s9
	v_mov_b32_e32 v51, s8
	global_store_dwordx4 v[10:11], v[51:54], off offset:8
.LBB9_151:                              ;   in Loop: Header=BB9_2 Depth=1
	s_or_b64 exec, exec, s[12:13]
	s_lshl_b64 s[8:9], s[10:11], 12
	v_mov_b32_e32 v0, s9
	v_add_co_u32_e32 v1, vcc, s8, v8
	v_addc_co_u32_e32 v0, vcc, v9, v0, vcc
	v_and_or_b32 v2, v2, s40, 34
	v_ashrrev_i32_e32 v5, 31, v24
	v_lshlrev_b32_e32 v8, 6, v55
	v_mov_b32_e32 v4, v24
	v_readfirstlane_b32 s8, v1
	v_readfirstlane_b32 s9, v0
	s_nop 4
	global_store_dwordx4 v8, v[2:5], s[8:9]
	v_mov_b32_e32 v0, s36
	v_mov_b32_e32 v1, s37
	;; [unrolled: 1-line block ×4, first 2 shown]
	global_store_dwordx4 v8, v[0:3], s[8:9] offset:16
	global_store_dwordx4 v8, v[0:3], s[8:9] offset:32
	;; [unrolled: 1-line block ×3, first 2 shown]
	s_and_saveexec_b64 s[8:9], s[4:5]
	s_cbranch_execz .LBB9_159
; %bb.152:                              ;   in Loop: Header=BB9_2 Depth=1
	global_load_dwordx2 v[14:15], v50, s[28:29] offset:32 glc
	global_load_dwordx2 v[0:1], v50, s[28:29] offset:40
	v_mov_b32_e32 v12, s6
	v_mov_b32_e32 v13, s7
	s_waitcnt vmcnt(0)
	v_readfirstlane_b32 s10, v0
	v_readfirstlane_b32 s11, v1
	s_and_b64 s[10:11], s[10:11], s[6:7]
	s_mul_i32 s11, s11, 24
	s_mul_hi_u32 s12, s10, 24
	s_mul_i32 s10, s10, 24
	s_add_i32 s11, s12, s11
	v_mov_b32_e32 v0, s11
	v_add_co_u32_e32 v4, vcc, s10, v6
	v_addc_co_u32_e32 v5, vcc, v7, v0, vcc
	global_store_dwordx2 v[4:5], v[14:15], off
	s_waitcnt vmcnt(0)
	global_atomic_cmpswap_x2 v[2:3], v50, v[12:15], s[28:29] offset:32 glc
	s_waitcnt vmcnt(0)
	v_cmp_ne_u64_e32 vcc, v[2:3], v[14:15]
	s_and_saveexec_b64 s[10:11], vcc
	s_cbranch_execz .LBB9_155
; %bb.153:                              ;   in Loop: Header=BB9_2 Depth=1
	s_mov_b64 s[12:13], 0
.LBB9_154:                              ;   Parent Loop BB9_2 Depth=1
                                        ; =>  This Inner Loop Header: Depth=2
	s_sleep 1
	global_store_dwordx2 v[4:5], v[2:3], off
	v_mov_b32_e32 v0, s6
	v_mov_b32_e32 v1, s7
	s_waitcnt vmcnt(0)
	global_atomic_cmpswap_x2 v[0:1], v50, v[0:3], s[28:29] offset:32 glc
	s_waitcnt vmcnt(0)
	v_cmp_eq_u64_e32 vcc, v[0:1], v[2:3]
	v_mov_b32_e32 v3, v1
	s_or_b64 s[12:13], vcc, s[12:13]
	v_mov_b32_e32 v2, v0
	s_andn2_b64 exec, exec, s[12:13]
	s_cbranch_execnz .LBB9_154
.LBB9_155:                              ;   in Loop: Header=BB9_2 Depth=1
	s_or_b64 exec, exec, s[10:11]
	global_load_dwordx2 v[0:1], v50, s[28:29] offset:16
	s_mov_b64 s[12:13], exec
	v_mbcnt_lo_u32_b32 v2, s12, 0
	v_mbcnt_hi_u32_b32 v2, s13, v2
	v_cmp_eq_u32_e32 vcc, 0, v2
	s_and_saveexec_b64 s[10:11], vcc
	s_cbranch_execz .LBB9_157
; %bb.156:                              ;   in Loop: Header=BB9_2 Depth=1
	s_bcnt1_i32_b64 s12, s[12:13]
	v_mov_b32_e32 v49, s12
	s_waitcnt vmcnt(0)
	global_atomic_add_x2 v[0:1], v[49:50], off offset:8
.LBB9_157:                              ;   in Loop: Header=BB9_2 Depth=1
	s_or_b64 exec, exec, s[10:11]
	s_waitcnt vmcnt(0)
	global_load_dwordx2 v[2:3], v[0:1], off offset:16
	s_waitcnt vmcnt(0)
	v_cmp_eq_u64_e32 vcc, 0, v[2:3]
	s_cbranch_vccnz .LBB9_159
; %bb.158:                              ;   in Loop: Header=BB9_2 Depth=1
	global_load_dword v49, v[0:1], off offset:24
	s_waitcnt vmcnt(0)
	v_and_b32_e32 v0, 0xffffff, v49
	v_readfirstlane_b32 m0, v0
	global_store_dwordx2 v[2:3], v[49:50], off
	s_sendmsg sendmsg(MSG_INTERRUPT)
.LBB9_159:                              ;   in Loop: Header=BB9_2 Depth=1
	s_or_b64 exec, exec, s[8:9]
	s_branch .LBB9_163
.LBB9_160:                              ;   in Loop: Header=BB9_163 Depth=2
	s_or_b64 exec, exec, s[8:9]
	v_readfirstlane_b32 s8, v0
	s_cmp_eq_u32 s8, 0
	s_cbranch_scc1 .LBB9_162
; %bb.161:                              ;   in Loop: Header=BB9_163 Depth=2
	s_sleep 1
	s_cbranch_execnz .LBB9_163
	s_branch .LBB9_165
.LBB9_162:                              ;   in Loop: Header=BB9_2 Depth=1
	s_branch .LBB9_165
.LBB9_163:                              ;   Parent Loop BB9_2 Depth=1
                                        ; =>  This Inner Loop Header: Depth=2
	v_mov_b32_e32 v0, 1
	s_and_saveexec_b64 s[8:9], s[4:5]
	s_cbranch_execz .LBB9_160
; %bb.164:                              ;   in Loop: Header=BB9_163 Depth=2
	global_load_dword v0, v[10:11], off offset:20 glc
	s_waitcnt vmcnt(0)
	buffer_wbinvl1_vol
	v_and_b32_e32 v0, 1, v0
	s_branch .LBB9_160
.LBB9_165:                              ;   in Loop: Header=BB9_2 Depth=1
	s_and_saveexec_b64 s[8:9], s[4:5]
	s_cbranch_execz .LBB9_1
; %bb.166:                              ;   in Loop: Header=BB9_2 Depth=1
	global_load_dwordx2 v[2:3], v50, s[28:29] offset:40
	global_load_dwordx2 v[6:7], v50, s[28:29] offset:24 glc
	global_load_dwordx2 v[4:5], v50, s[28:29]
	v_mov_b32_e32 v1, s7
	s_waitcnt vmcnt(2)
	v_add_co_u32_e32 v8, vcc, 1, v2
	v_addc_co_u32_e32 v9, vcc, 0, v3, vcc
	v_add_co_u32_e32 v0, vcc, s6, v8
	v_addc_co_u32_e32 v1, vcc, v9, v1, vcc
	v_cmp_eq_u64_e32 vcc, 0, v[0:1]
	v_cndmask_b32_e32 v1, v1, v9, vcc
	v_cndmask_b32_e32 v0, v0, v8, vcc
	v_and_b32_e32 v3, v1, v3
	v_and_b32_e32 v2, v0, v2
	v_mul_lo_u32 v3, v3, 24
	v_mul_hi_u32 v8, v2, 24
	v_mul_lo_u32 v9, v2, 24
	s_waitcnt vmcnt(1)
	v_mov_b32_e32 v2, v6
	v_add_u32_e32 v3, v8, v3
	s_waitcnt vmcnt(0)
	v_add_co_u32_e32 v4, vcc, v4, v9
	v_addc_co_u32_e32 v5, vcc, v5, v3, vcc
	global_store_dwordx2 v[4:5], v[6:7], off
	v_mov_b32_e32 v3, v7
	s_waitcnt vmcnt(0)
	global_atomic_cmpswap_x2 v[2:3], v50, v[0:3], s[28:29] offset:24 glc
	s_waitcnt vmcnt(0)
	v_cmp_ne_u64_e32 vcc, v[2:3], v[6:7]
	s_and_b64 exec, exec, vcc
	s_cbranch_execz .LBB9_1
; %bb.167:                              ;   in Loop: Header=BB9_2 Depth=1
	s_mov_b64 s[4:5], 0
.LBB9_168:                              ;   Parent Loop BB9_2 Depth=1
                                        ; =>  This Inner Loop Header: Depth=2
	s_sleep 1
	global_store_dwordx2 v[4:5], v[2:3], off
	s_waitcnt vmcnt(0)
	global_atomic_cmpswap_x2 v[6:7], v50, v[0:3], s[28:29] offset:24 glc
	s_waitcnt vmcnt(0)
	v_cmp_eq_u64_e32 vcc, v[6:7], v[2:3]
	v_mov_b32_e32 v2, v6
	s_or_b64 s[4:5], vcc, s[4:5]
	v_mov_b32_e32 v3, v7
	s_andn2_b64 exec, exec, s[4:5]
	s_cbranch_execnz .LBB9_168
	s_branch .LBB9_1
.LBB9_169:
	s_getpc_b64 s[34:35]
	s_add_u32 s34, s34, .str.8@rel32@lo+4
	s_addc_u32 s35, s35, .str.8@rel32@hi+12
	s_mov_b64 s[8:9], s[24:25]
	v_mov_b32_e32 v0, s34
	v_mov_b32_e32 v1, s35
	s_getpc_b64 s[36:37]
	s_add_u32 s36, s36, _ZNK8migraphx13basic_printerIZNS_4coutEvEUlT_E_ElsEPKc@rel32@lo+4
	s_addc_u32 s37, s37, _ZNK8migraphx13basic_printerIZNS_4coutEvEUlT_E_ElsEPKc@rel32@hi+12
	s_swappc_b64 s[30:31], s[36:37]
	s_getpc_b64 s[4:5]
	s_add_u32 s4, s4, .str.10@rel32@lo+4
	s_addc_u32 s5, s5, .str.10@rel32@hi+12
	s_mov_b64 s[8:9], s[24:25]
	v_mov_b32_e32 v0, s4
	v_mov_b32_e32 v1, s5
	s_swappc_b64 s[30:31], s[36:37]
	s_mov_b64 s[8:9], s[24:25]
	v_mov_b32_e32 v0, s34
	v_mov_b32_e32 v1, s35
	s_swappc_b64 s[30:31], s[36:37]
	flat_load_dwordx2 v[52:53], v[36:37] offset:8
	s_mov_b32 s35, 0
	v_mov_b32_e32 v38, 0
	s_mov_b32 s36, s35
	s_mov_b32 s37, s35
	;; [unrolled: 1-line block ×4, first 2 shown]
	s_movk_i32 s23, 0xff1f
	s_movk_i32 s40, 0xff1d
	v_mov_b32_e32 v50, 2
	v_mov_b32_e32 v51, 1
	;; [unrolled: 1-line block ×3, first 2 shown]
	s_mov_b32 s34, s35
	s_branch .LBB9_171
.LBB9_170:                              ;   in Loop: Header=BB9_171 Depth=1
	s_or_b64 exec, exec, s[8:9]
	s_add_i32 s34, s34, 1
	s_cmp_lg_u32 s34, 8
	s_cbranch_scc0 .LBB9_338
.LBB9_171:                              ; =>This Loop Header: Depth=1
                                        ;     Child Loop BB9_176 Depth 2
                                        ;     Child Loop BB9_184 Depth 2
	;; [unrolled: 1-line block ×9, first 2 shown]
                                        ;       Child Loop BB9_205 Depth 3
                                        ;       Child Loop BB9_212 Depth 3
	;; [unrolled: 1-line block ×11, first 2 shown]
                                        ;     Child Loop BB9_315 Depth 2
                                        ;     Child Loop BB9_323 Depth 2
                                        ;     Child Loop BB9_332 Depth 2
                                        ;     Child Loop BB9_337 Depth 2
	s_cmp_eq_u32 s34, 0
	s_cbranch_scc1 .LBB9_173
; %bb.172:                              ;   in Loop: Header=BB9_171 Depth=1
	s_getpc_b64 s[4:5]
	s_add_u32 s4, s4, .str.11@rel32@lo+4
	s_addc_u32 s5, s5, .str.11@rel32@hi+12
	s_mov_b64 s[8:9], s[24:25]
	v_mov_b32_e32 v0, s4
	v_mov_b32_e32 v1, s5
	s_getpc_b64 s[6:7]
	s_add_u32 s6, s6, _ZNK8migraphx13basic_printerIZNS_4coutEvEUlT_E_ElsEPKc@rel32@lo+4
	s_addc_u32 s7, s7, _ZNK8migraphx13basic_printerIZNS_4coutEvEUlT_E_ElsEPKc@rel32@hi+12
	s_swappc_b64 s[30:31], s[6:7]
.LBB9_173:                              ;   in Loop: Header=BB9_171 Depth=1
	s_lshl_b64 s[4:5], s[34:35], 2
	v_mov_b32_e32 v1, s5
	s_waitcnt vmcnt(0) lgkmcnt(0)
	v_add_co_u32_e32 v0, vcc, s4, v52
	v_addc_co_u32_e32 v1, vcc, v53, v1, vcc
	flat_load_dword v24, v[0:1]
	v_readfirstlane_b32 s4, v55
	v_mov_b32_e32 v4, 0
	v_mov_b32_e32 v5, 0
	v_cmp_eq_u32_e64 s[4:5], s4, v55
	s_and_saveexec_b64 s[6:7], s[4:5]
	s_cbranch_execz .LBB9_179
; %bb.174:                              ;   in Loop: Header=BB9_171 Depth=1
	global_load_dwordx2 v[2:3], v38, s[28:29] offset:24 glc
	s_waitcnt vmcnt(0)
	buffer_wbinvl1_vol
	global_load_dwordx2 v[0:1], v38, s[28:29] offset:40
	global_load_dwordx2 v[4:5], v38, s[28:29]
	s_waitcnt vmcnt(0)
	v_and_b32_e32 v0, v0, v2
	v_and_b32_e32 v1, v1, v3
	v_mul_lo_u32 v1, v1, 24
	v_mul_hi_u32 v6, v0, 24
	v_mul_lo_u32 v0, v0, 24
	v_add_u32_e32 v1, v6, v1
	v_add_co_u32_e32 v0, vcc, v4, v0
	v_addc_co_u32_e32 v1, vcc, v5, v1, vcc
	global_load_dwordx2 v[0:1], v[0:1], off glc
	s_waitcnt vmcnt(0)
	global_atomic_cmpswap_x2 v[4:5], v38, v[0:3], s[28:29] offset:24 glc
	s_waitcnt vmcnt(0)
	buffer_wbinvl1_vol
	v_cmp_ne_u64_e32 vcc, v[4:5], v[2:3]
	s_and_saveexec_b64 s[8:9], vcc
	s_cbranch_execz .LBB9_178
; %bb.175:                              ;   in Loop: Header=BB9_171 Depth=1
	s_mov_b64 s[10:11], 0
.LBB9_176:                              ;   Parent Loop BB9_171 Depth=1
                                        ; =>  This Inner Loop Header: Depth=2
	s_sleep 1
	global_load_dwordx2 v[0:1], v38, s[28:29] offset:40
	global_load_dwordx2 v[6:7], v38, s[28:29]
	v_mov_b32_e32 v2, v4
	v_mov_b32_e32 v3, v5
	s_waitcnt vmcnt(0)
	v_and_b32_e32 v0, v0, v2
	v_mad_u64_u32 v[4:5], s[12:13], v0, 24, v[6:7]
	v_and_b32_e32 v1, v1, v3
	v_mov_b32_e32 v0, v5
	v_mad_u64_u32 v[0:1], s[12:13], v1, 24, v[0:1]
	v_mov_b32_e32 v5, v0
	global_load_dwordx2 v[0:1], v[4:5], off glc
	s_waitcnt vmcnt(0)
	global_atomic_cmpswap_x2 v[4:5], v38, v[0:3], s[28:29] offset:24 glc
	s_waitcnt vmcnt(0)
	buffer_wbinvl1_vol
	v_cmp_eq_u64_e32 vcc, v[4:5], v[2:3]
	s_or_b64 s[10:11], vcc, s[10:11]
	s_andn2_b64 exec, exec, s[10:11]
	s_cbranch_execnz .LBB9_176
; %bb.177:                              ;   in Loop: Header=BB9_171 Depth=1
	s_or_b64 exec, exec, s[10:11]
.LBB9_178:                              ;   in Loop: Header=BB9_171 Depth=1
	s_or_b64 exec, exec, s[8:9]
.LBB9_179:                              ;   in Loop: Header=BB9_171 Depth=1
	s_or_b64 exec, exec, s[6:7]
	global_load_dwordx2 v[6:7], v38, s[28:29] offset:40
	global_load_dwordx4 v[0:3], v38, s[28:29]
	v_readfirstlane_b32 s6, v4
	v_readfirstlane_b32 s7, v5
	s_mov_b64 s[8:9], exec
	s_waitcnt vmcnt(0)
	v_readfirstlane_b32 s10, v6
	v_readfirstlane_b32 s11, v7
	s_and_b64 s[10:11], s[6:7], s[10:11]
	s_mul_i32 s12, s11, 24
	s_mul_hi_u32 s13, s10, 24
	s_mul_i32 s14, s10, 24
	s_add_i32 s12, s13, s12
	v_mov_b32_e32 v5, s12
	v_add_co_u32_e32 v4, vcc, s14, v0
	v_addc_co_u32_e32 v5, vcc, v1, v5, vcc
	s_and_saveexec_b64 s[12:13], s[4:5]
	s_cbranch_execz .LBB9_181
; %bb.180:                              ;   in Loop: Header=BB9_171 Depth=1
	v_mov_b32_e32 v49, s9
	v_mov_b32_e32 v48, s8
	global_store_dwordx4 v[4:5], v[48:51], off offset:8
.LBB9_181:                              ;   in Loop: Header=BB9_171 Depth=1
	s_or_b64 exec, exec, s[12:13]
	s_lshl_b64 s[8:9], s[10:11], 12
	v_mov_b32_e32 v6, s9
	v_add_co_u32_e32 v8, vcc, s8, v2
	v_addc_co_u32_e32 v9, vcc, v3, v6, vcc
	v_mov_b32_e32 v10, s36
	v_mov_b32_e32 v37, v38
	;; [unrolled: 1-line block ×3, first 2 shown]
	v_readfirstlane_b32 s8, v8
	v_readfirstlane_b32 s9, v9
	v_mov_b32_e32 v11, s37
	v_mov_b32_e32 v12, s38
	;; [unrolled: 1-line block ×3, first 2 shown]
	s_nop 1
	global_store_dwordx4 v40, v[36:39], s[8:9]
	global_store_dwordx4 v40, v[10:13], s[8:9] offset:16
	global_store_dwordx4 v40, v[10:13], s[8:9] offset:32
	;; [unrolled: 1-line block ×3, first 2 shown]
	s_and_saveexec_b64 s[8:9], s[4:5]
	s_cbranch_execz .LBB9_189
; %bb.182:                              ;   in Loop: Header=BB9_171 Depth=1
	global_load_dwordx2 v[12:13], v38, s[28:29] offset:32 glc
	global_load_dwordx2 v[2:3], v38, s[28:29] offset:40
	v_mov_b32_e32 v10, s6
	v_mov_b32_e32 v11, s7
	s_waitcnt vmcnt(0)
	v_readfirstlane_b32 s10, v2
	v_readfirstlane_b32 s11, v3
	s_and_b64 s[10:11], s[10:11], s[6:7]
	s_mul_i32 s11, s11, 24
	s_mul_hi_u32 s12, s10, 24
	s_mul_i32 s10, s10, 24
	s_add_i32 s11, s12, s11
	v_mov_b32_e32 v2, s11
	v_add_co_u32_e32 v6, vcc, s10, v0
	v_addc_co_u32_e32 v7, vcc, v1, v2, vcc
	global_store_dwordx2 v[6:7], v[12:13], off
	s_waitcnt vmcnt(0)
	global_atomic_cmpswap_x2 v[2:3], v38, v[10:13], s[28:29] offset:32 glc
	s_waitcnt vmcnt(0)
	v_cmp_ne_u64_e32 vcc, v[2:3], v[12:13]
	s_and_saveexec_b64 s[10:11], vcc
	s_cbranch_execz .LBB9_185
; %bb.183:                              ;   in Loop: Header=BB9_171 Depth=1
	s_mov_b64 s[12:13], 0
.LBB9_184:                              ;   Parent Loop BB9_171 Depth=1
                                        ; =>  This Inner Loop Header: Depth=2
	s_sleep 1
	global_store_dwordx2 v[6:7], v[2:3], off
	v_mov_b32_e32 v0, s6
	v_mov_b32_e32 v1, s7
	s_waitcnt vmcnt(0)
	global_atomic_cmpswap_x2 v[0:1], v38, v[0:3], s[28:29] offset:32 glc
	s_waitcnt vmcnt(0)
	v_cmp_eq_u64_e32 vcc, v[0:1], v[2:3]
	v_mov_b32_e32 v3, v1
	s_or_b64 s[12:13], vcc, s[12:13]
	v_mov_b32_e32 v2, v0
	s_andn2_b64 exec, exec, s[12:13]
	s_cbranch_execnz .LBB9_184
.LBB9_185:                              ;   in Loop: Header=BB9_171 Depth=1
	s_or_b64 exec, exec, s[10:11]
	global_load_dwordx2 v[0:1], v38, s[28:29] offset:16
	s_mov_b64 s[12:13], exec
	v_mbcnt_lo_u32_b32 v2, s12, 0
	v_mbcnt_hi_u32_b32 v2, s13, v2
	v_cmp_eq_u32_e32 vcc, 0, v2
	s_and_saveexec_b64 s[10:11], vcc
	s_cbranch_execz .LBB9_187
; %bb.186:                              ;   in Loop: Header=BB9_171 Depth=1
	s_bcnt1_i32_b64 s12, s[12:13]
	v_mov_b32_e32 v37, s12
	s_waitcnt vmcnt(0)
	global_atomic_add_x2 v[0:1], v[37:38], off offset:8
.LBB9_187:                              ;   in Loop: Header=BB9_171 Depth=1
	s_or_b64 exec, exec, s[10:11]
	s_waitcnt vmcnt(0)
	global_load_dwordx2 v[2:3], v[0:1], off offset:16
	s_waitcnt vmcnt(0)
	v_cmp_eq_u64_e32 vcc, 0, v[2:3]
	s_cbranch_vccnz .LBB9_189
; %bb.188:                              ;   in Loop: Header=BB9_171 Depth=1
	global_load_dword v37, v[0:1], off offset:24
	s_waitcnt vmcnt(0)
	v_and_b32_e32 v0, 0xffffff, v37
	v_readfirstlane_b32 m0, v0
	global_store_dwordx2 v[2:3], v[37:38], off
	s_sendmsg sendmsg(MSG_INTERRUPT)
.LBB9_189:                              ;   in Loop: Header=BB9_171 Depth=1
	s_or_b64 exec, exec, s[8:9]
	v_add_co_u32_e32 v0, vcc, v8, v40
	v_addc_co_u32_e32 v1, vcc, 0, v9, vcc
	s_branch .LBB9_193
.LBB9_190:                              ;   in Loop: Header=BB9_193 Depth=2
	s_or_b64 exec, exec, s[8:9]
	v_readfirstlane_b32 s8, v2
	s_cmp_eq_u32 s8, 0
	s_cbranch_scc1 .LBB9_192
; %bb.191:                              ;   in Loop: Header=BB9_193 Depth=2
	s_sleep 1
	s_cbranch_execnz .LBB9_193
	s_branch .LBB9_195
.LBB9_192:                              ;   in Loop: Header=BB9_171 Depth=1
	s_branch .LBB9_195
.LBB9_193:                              ;   Parent Loop BB9_171 Depth=1
                                        ; =>  This Inner Loop Header: Depth=2
	v_mov_b32_e32 v2, 1
	s_and_saveexec_b64 s[8:9], s[4:5]
	s_cbranch_execz .LBB9_190
; %bb.194:                              ;   in Loop: Header=BB9_193 Depth=2
	global_load_dword v2, v[4:5], off offset:20 glc
	s_waitcnt vmcnt(0)
	buffer_wbinvl1_vol
	v_and_b32_e32 v2, 1, v2
	s_branch .LBB9_190
.LBB9_195:                              ;   in Loop: Header=BB9_171 Depth=1
	global_load_dwordx2 v[0:1], v[0:1], off
	s_and_saveexec_b64 s[8:9], s[4:5]
	s_cbranch_execz .LBB9_199
; %bb.196:                              ;   in Loop: Header=BB9_171 Depth=1
	global_load_dwordx2 v[4:5], v38, s[28:29] offset:40
	global_load_dwordx2 v[8:9], v38, s[28:29] offset:24 glc
	global_load_dwordx2 v[6:7], v38, s[28:29]
	v_mov_b32_e32 v3, s7
	s_waitcnt vmcnt(0)
	v_add_co_u32_e32 v10, vcc, 1, v4
	v_addc_co_u32_e32 v11, vcc, 0, v5, vcc
	v_add_co_u32_e32 v2, vcc, s6, v10
	v_addc_co_u32_e32 v3, vcc, v11, v3, vcc
	v_cmp_eq_u64_e32 vcc, 0, v[2:3]
	v_cndmask_b32_e32 v3, v3, v11, vcc
	v_cndmask_b32_e32 v2, v2, v10, vcc
	v_and_b32_e32 v5, v3, v5
	v_and_b32_e32 v4, v2, v4
	v_mul_lo_u32 v5, v5, 24
	v_mul_hi_u32 v10, v4, 24
	v_mul_lo_u32 v11, v4, 24
	v_mov_b32_e32 v4, v8
	v_add_u32_e32 v5, v10, v5
	v_add_co_u32_e32 v6, vcc, v6, v11
	v_addc_co_u32_e32 v7, vcc, v7, v5, vcc
	global_store_dwordx2 v[6:7], v[8:9], off
	v_mov_b32_e32 v5, v9
	s_waitcnt vmcnt(0)
	global_atomic_cmpswap_x2 v[4:5], v38, v[2:5], s[28:29] offset:24 glc
	s_waitcnt vmcnt(0)
	v_cmp_ne_u64_e32 vcc, v[4:5], v[8:9]
	s_and_b64 exec, exec, vcc
	s_cbranch_execz .LBB9_199
; %bb.197:                              ;   in Loop: Header=BB9_171 Depth=1
	s_mov_b64 s[4:5], 0
.LBB9_198:                              ;   Parent Loop BB9_171 Depth=1
                                        ; =>  This Inner Loop Header: Depth=2
	s_sleep 1
	global_store_dwordx2 v[6:7], v[4:5], off
	s_waitcnt vmcnt(0)
	global_atomic_cmpswap_x2 v[8:9], v38, v[2:5], s[28:29] offset:24 glc
	s_waitcnt vmcnt(0)
	v_cmp_eq_u64_e32 vcc, v[8:9], v[4:5]
	v_mov_b32_e32 v4, v8
	s_or_b64 s[4:5], vcc, s[4:5]
	v_mov_b32_e32 v5, v9
	s_andn2_b64 exec, exec, s[4:5]
	s_cbranch_execnz .LBB9_198
.LBB9_199:                              ;   in Loop: Header=BB9_171 Depth=1
	s_or_b64 exec, exec, s[8:9]
	s_and_b64 vcc, exec, s[26:27]
	s_cbranch_vccz .LBB9_284
; %bb.200:                              ;   in Loop: Header=BB9_171 Depth=1
	s_waitcnt vmcnt(0)
	v_and_b32_e32 v25, 2, v0
	v_and_b32_e32 v2, -3, v0
	v_mov_b32_e32 v3, v1
	s_mov_b64 s[8:9], 4
	s_getpc_b64 s[6:7]
	s_add_u32 s6, s6, .str.7@rel32@lo+4
	s_addc_u32 s7, s7, .str.7@rel32@hi+12
	s_branch .LBB9_202
.LBB9_201:                              ;   in Loop: Header=BB9_202 Depth=2
	s_or_b64 exec, exec, s[14:15]
	s_sub_u32 s8, s8, s10
	s_subb_u32 s9, s9, s11
	s_add_u32 s6, s6, s10
	s_addc_u32 s7, s7, s11
	s_cmp_lg_u64 s[8:9], 0
	s_cbranch_scc0 .LBB9_283
.LBB9_202:                              ;   Parent Loop BB9_171 Depth=1
                                        ; =>  This Loop Header: Depth=2
                                        ;       Child Loop BB9_205 Depth 3
                                        ;       Child Loop BB9_212 Depth 3
	;; [unrolled: 1-line block ×11, first 2 shown]
	v_cmp_lt_u64_e64 s[4:5], s[8:9], 56
	v_cmp_gt_u64_e64 s[12:13], s[8:9], 7
	s_and_b64 s[4:5], s[4:5], exec
	s_cselect_b32 s11, s9, 0
	s_cselect_b32 s10, s8, 56
	s_and_b64 vcc, exec, s[12:13]
	s_cbranch_vccnz .LBB9_207
; %bb.203:                              ;   in Loop: Header=BB9_202 Depth=2
	s_waitcnt vmcnt(0)
	v_mov_b32_e32 v4, 0
	s_cmp_eq_u64 s[8:9], 0
	v_mov_b32_e32 v5, 0
	s_mov_b64 s[4:5], 0
	s_cbranch_scc1 .LBB9_206
; %bb.204:                              ;   in Loop: Header=BB9_202 Depth=2
	v_mov_b32_e32 v4, 0
	s_lshl_b64 s[12:13], s[10:11], 3
	s_mov_b64 s[14:15], 0
	v_mov_b32_e32 v5, 0
	s_mov_b64 s[16:17], s[6:7]
.LBB9_205:                              ;   Parent Loop BB9_171 Depth=1
                                        ;     Parent Loop BB9_202 Depth=2
                                        ; =>    This Inner Loop Header: Depth=3
	global_load_ubyte v6, v38, s[16:17]
	s_waitcnt vmcnt(0)
	v_and_b32_e32 v37, 0xffff, v6
	v_lshlrev_b64 v[6:7], s14, v[37:38]
	s_add_u32 s14, s14, 8
	s_addc_u32 s15, s15, 0
	s_add_u32 s16, s16, 1
	s_addc_u32 s17, s17, 0
	v_or_b32_e32 v4, v6, v4
	s_cmp_lg_u32 s12, s14
	v_or_b32_e32 v5, v7, v5
	s_cbranch_scc1 .LBB9_205
.LBB9_206:                              ;   in Loop: Header=BB9_202 Depth=2
	s_mov_b32 s16, 0
	s_andn2_b64 vcc, exec, s[4:5]
	s_mov_b64 s[4:5], s[6:7]
	s_cbranch_vccz .LBB9_208
	s_branch .LBB9_209
.LBB9_207:                              ;   in Loop: Header=BB9_202 Depth=2
                                        ; implicit-def: $vgpr4_vgpr5
                                        ; implicit-def: $sgpr16
	s_mov_b64 s[4:5], s[6:7]
.LBB9_208:                              ;   in Loop: Header=BB9_202 Depth=2
	global_load_dwordx2 v[4:5], v38, s[6:7]
	s_add_i32 s16, s10, -8
	s_add_u32 s4, s6, 8
	s_addc_u32 s5, s7, 0
.LBB9_209:                              ;   in Loop: Header=BB9_202 Depth=2
	s_cmp_gt_u32 s16, 7
	s_cbranch_scc1 .LBB9_213
; %bb.210:                              ;   in Loop: Header=BB9_202 Depth=2
	s_cmp_eq_u32 s16, 0
	s_cbranch_scc1 .LBB9_214
; %bb.211:                              ;   in Loop: Header=BB9_202 Depth=2
	v_mov_b32_e32 v6, 0
	s_mov_b64 s[12:13], 0
	v_mov_b32_e32 v7, 0
	s_mov_b64 s[14:15], 0
.LBB9_212:                              ;   Parent Loop BB9_171 Depth=1
                                        ;     Parent Loop BB9_202 Depth=2
                                        ; =>    This Inner Loop Header: Depth=3
	s_add_u32 s18, s4, s14
	s_addc_u32 s19, s5, s15
	global_load_ubyte v8, v38, s[18:19]
	s_add_u32 s14, s14, 1
	s_addc_u32 s15, s15, 0
	s_waitcnt vmcnt(0)
	v_and_b32_e32 v37, 0xffff, v8
	v_lshlrev_b64 v[8:9], s12, v[37:38]
	s_add_u32 s12, s12, 8
	s_addc_u32 s13, s13, 0
	v_or_b32_e32 v6, v8, v6
	s_cmp_lg_u32 s16, s14
	v_or_b32_e32 v7, v9, v7
	s_cbranch_scc1 .LBB9_212
	s_branch .LBB9_215
.LBB9_213:                              ;   in Loop: Header=BB9_202 Depth=2
                                        ; implicit-def: $vgpr6_vgpr7
                                        ; implicit-def: $sgpr17
	s_branch .LBB9_216
.LBB9_214:                              ;   in Loop: Header=BB9_202 Depth=2
	v_mov_b32_e32 v6, 0
	v_mov_b32_e32 v7, 0
.LBB9_215:                              ;   in Loop: Header=BB9_202 Depth=2
	s_mov_b32 s17, 0
	s_cbranch_execnz .LBB9_217
.LBB9_216:                              ;   in Loop: Header=BB9_202 Depth=2
	global_load_dwordx2 v[6:7], v38, s[4:5]
	s_add_i32 s17, s16, -8
	s_add_u32 s4, s4, 8
	s_addc_u32 s5, s5, 0
.LBB9_217:                              ;   in Loop: Header=BB9_202 Depth=2
	s_cmp_gt_u32 s17, 7
	s_cbranch_scc1 .LBB9_221
; %bb.218:                              ;   in Loop: Header=BB9_202 Depth=2
	s_cmp_eq_u32 s17, 0
	s_cbranch_scc1 .LBB9_222
; %bb.219:                              ;   in Loop: Header=BB9_202 Depth=2
	v_mov_b32_e32 v8, 0
	s_mov_b64 s[12:13], 0
	v_mov_b32_e32 v9, 0
	s_mov_b64 s[14:15], 0
.LBB9_220:                              ;   Parent Loop BB9_171 Depth=1
                                        ;     Parent Loop BB9_202 Depth=2
                                        ; =>    This Inner Loop Header: Depth=3
	s_add_u32 s18, s4, s14
	s_addc_u32 s19, s5, s15
	global_load_ubyte v10, v38, s[18:19]
	s_add_u32 s14, s14, 1
	s_addc_u32 s15, s15, 0
	s_waitcnt vmcnt(0)
	v_and_b32_e32 v37, 0xffff, v10
	v_lshlrev_b64 v[10:11], s12, v[37:38]
	s_add_u32 s12, s12, 8
	s_addc_u32 s13, s13, 0
	v_or_b32_e32 v8, v10, v8
	s_cmp_lg_u32 s17, s14
	v_or_b32_e32 v9, v11, v9
	s_cbranch_scc1 .LBB9_220
	s_branch .LBB9_223
.LBB9_221:                              ;   in Loop: Header=BB9_202 Depth=2
                                        ; implicit-def: $sgpr16
	s_branch .LBB9_224
.LBB9_222:                              ;   in Loop: Header=BB9_202 Depth=2
	v_mov_b32_e32 v8, 0
	v_mov_b32_e32 v9, 0
.LBB9_223:                              ;   in Loop: Header=BB9_202 Depth=2
	s_mov_b32 s16, 0
	s_cbranch_execnz .LBB9_225
.LBB9_224:                              ;   in Loop: Header=BB9_202 Depth=2
	global_load_dwordx2 v[8:9], v38, s[4:5]
	s_add_i32 s16, s17, -8
	s_add_u32 s4, s4, 8
	s_addc_u32 s5, s5, 0
.LBB9_225:                              ;   in Loop: Header=BB9_202 Depth=2
	s_cmp_gt_u32 s16, 7
	s_cbranch_scc1 .LBB9_229
; %bb.226:                              ;   in Loop: Header=BB9_202 Depth=2
	s_cmp_eq_u32 s16, 0
	s_cbranch_scc1 .LBB9_230
; %bb.227:                              ;   in Loop: Header=BB9_202 Depth=2
	v_mov_b32_e32 v10, 0
	s_mov_b64 s[12:13], 0
	v_mov_b32_e32 v11, 0
	s_mov_b64 s[14:15], 0
.LBB9_228:                              ;   Parent Loop BB9_171 Depth=1
                                        ;     Parent Loop BB9_202 Depth=2
                                        ; =>    This Inner Loop Header: Depth=3
	s_add_u32 s18, s4, s14
	s_addc_u32 s19, s5, s15
	global_load_ubyte v12, v38, s[18:19]
	s_add_u32 s14, s14, 1
	s_addc_u32 s15, s15, 0
	s_waitcnt vmcnt(0)
	v_and_b32_e32 v37, 0xffff, v12
	v_lshlrev_b64 v[12:13], s12, v[37:38]
	s_add_u32 s12, s12, 8
	s_addc_u32 s13, s13, 0
	v_or_b32_e32 v10, v12, v10
	s_cmp_lg_u32 s16, s14
	v_or_b32_e32 v11, v13, v11
	s_cbranch_scc1 .LBB9_228
	s_branch .LBB9_231
.LBB9_229:                              ;   in Loop: Header=BB9_202 Depth=2
                                        ; implicit-def: $vgpr10_vgpr11
                                        ; implicit-def: $sgpr17
	s_branch .LBB9_232
.LBB9_230:                              ;   in Loop: Header=BB9_202 Depth=2
	v_mov_b32_e32 v10, 0
	v_mov_b32_e32 v11, 0
.LBB9_231:                              ;   in Loop: Header=BB9_202 Depth=2
	s_mov_b32 s17, 0
	s_cbranch_execnz .LBB9_233
.LBB9_232:                              ;   in Loop: Header=BB9_202 Depth=2
	global_load_dwordx2 v[10:11], v38, s[4:5]
	s_add_i32 s17, s16, -8
	s_add_u32 s4, s4, 8
	s_addc_u32 s5, s5, 0
.LBB9_233:                              ;   in Loop: Header=BB9_202 Depth=2
	s_cmp_gt_u32 s17, 7
	s_cbranch_scc1 .LBB9_237
; %bb.234:                              ;   in Loop: Header=BB9_202 Depth=2
	s_cmp_eq_u32 s17, 0
	s_cbranch_scc1 .LBB9_238
; %bb.235:                              ;   in Loop: Header=BB9_202 Depth=2
	v_mov_b32_e32 v12, 0
	s_mov_b64 s[12:13], 0
	v_mov_b32_e32 v13, 0
	s_mov_b64 s[14:15], 0
.LBB9_236:                              ;   Parent Loop BB9_171 Depth=1
                                        ;     Parent Loop BB9_202 Depth=2
                                        ; =>    This Inner Loop Header: Depth=3
	s_add_u32 s18, s4, s14
	s_addc_u32 s19, s5, s15
	global_load_ubyte v14, v38, s[18:19]
	s_add_u32 s14, s14, 1
	s_addc_u32 s15, s15, 0
	s_waitcnt vmcnt(0)
	v_and_b32_e32 v37, 0xffff, v14
	v_lshlrev_b64 v[14:15], s12, v[37:38]
	s_add_u32 s12, s12, 8
	s_addc_u32 s13, s13, 0
	v_or_b32_e32 v12, v14, v12
	s_cmp_lg_u32 s17, s14
	v_or_b32_e32 v13, v15, v13
	s_cbranch_scc1 .LBB9_236
	s_branch .LBB9_239
.LBB9_237:                              ;   in Loop: Header=BB9_202 Depth=2
                                        ; implicit-def: $sgpr16
	s_branch .LBB9_240
.LBB9_238:                              ;   in Loop: Header=BB9_202 Depth=2
	v_mov_b32_e32 v12, 0
	v_mov_b32_e32 v13, 0
.LBB9_239:                              ;   in Loop: Header=BB9_202 Depth=2
	s_mov_b32 s16, 0
	s_cbranch_execnz .LBB9_241
.LBB9_240:                              ;   in Loop: Header=BB9_202 Depth=2
	global_load_dwordx2 v[12:13], v38, s[4:5]
	s_add_i32 s16, s17, -8
	s_add_u32 s4, s4, 8
	s_addc_u32 s5, s5, 0
.LBB9_241:                              ;   in Loop: Header=BB9_202 Depth=2
	s_cmp_gt_u32 s16, 7
	s_cbranch_scc1 .LBB9_245
; %bb.242:                              ;   in Loop: Header=BB9_202 Depth=2
	s_cmp_eq_u32 s16, 0
	s_cbranch_scc1 .LBB9_246
; %bb.243:                              ;   in Loop: Header=BB9_202 Depth=2
	v_mov_b32_e32 v14, 0
	s_mov_b64 s[12:13], 0
	v_mov_b32_e32 v15, 0
	s_mov_b64 s[14:15], 0
.LBB9_244:                              ;   Parent Loop BB9_171 Depth=1
                                        ;     Parent Loop BB9_202 Depth=2
                                        ; =>    This Inner Loop Header: Depth=3
	s_add_u32 s18, s4, s14
	s_addc_u32 s19, s5, s15
	global_load_ubyte v16, v38, s[18:19]
	s_add_u32 s14, s14, 1
	s_addc_u32 s15, s15, 0
	s_waitcnt vmcnt(0)
	v_and_b32_e32 v37, 0xffff, v16
	v_lshlrev_b64 v[16:17], s12, v[37:38]
	s_add_u32 s12, s12, 8
	s_addc_u32 s13, s13, 0
	v_or_b32_e32 v14, v16, v14
	s_cmp_lg_u32 s16, s14
	v_or_b32_e32 v15, v17, v15
	s_cbranch_scc1 .LBB9_244
	s_branch .LBB9_247
.LBB9_245:                              ;   in Loop: Header=BB9_202 Depth=2
                                        ; implicit-def: $vgpr14_vgpr15
                                        ; implicit-def: $sgpr17
	s_branch .LBB9_248
.LBB9_246:                              ;   in Loop: Header=BB9_202 Depth=2
	v_mov_b32_e32 v14, 0
	v_mov_b32_e32 v15, 0
.LBB9_247:                              ;   in Loop: Header=BB9_202 Depth=2
	s_mov_b32 s17, 0
	s_cbranch_execnz .LBB9_249
.LBB9_248:                              ;   in Loop: Header=BB9_202 Depth=2
	global_load_dwordx2 v[14:15], v38, s[4:5]
	s_add_i32 s17, s16, -8
	s_add_u32 s4, s4, 8
	s_addc_u32 s5, s5, 0
.LBB9_249:                              ;   in Loop: Header=BB9_202 Depth=2
	s_cmp_gt_u32 s17, 7
	s_cbranch_scc1 .LBB9_253
; %bb.250:                              ;   in Loop: Header=BB9_202 Depth=2
	s_cmp_eq_u32 s17, 0
	s_cbranch_scc1 .LBB9_254
; %bb.251:                              ;   in Loop: Header=BB9_202 Depth=2
	v_mov_b32_e32 v16, 0
	s_mov_b64 s[12:13], 0
	v_mov_b32_e32 v17, 0
	s_mov_b64 s[14:15], s[4:5]
.LBB9_252:                              ;   Parent Loop BB9_171 Depth=1
                                        ;     Parent Loop BB9_202 Depth=2
                                        ; =>    This Inner Loop Header: Depth=3
	global_load_ubyte v18, v38, s[14:15]
	s_add_i32 s17, s17, -1
	s_waitcnt vmcnt(0)
	v_and_b32_e32 v37, 0xffff, v18
	v_lshlrev_b64 v[18:19], s12, v[37:38]
	s_add_u32 s12, s12, 8
	s_addc_u32 s13, s13, 0
	s_add_u32 s14, s14, 1
	s_addc_u32 s15, s15, 0
	v_or_b32_e32 v16, v18, v16
	s_cmp_lg_u32 s17, 0
	v_or_b32_e32 v17, v19, v17
	s_cbranch_scc1 .LBB9_252
	s_branch .LBB9_255
.LBB9_253:                              ;   in Loop: Header=BB9_202 Depth=2
	s_branch .LBB9_256
.LBB9_254:                              ;   in Loop: Header=BB9_202 Depth=2
	v_mov_b32_e32 v16, 0
	v_mov_b32_e32 v17, 0
.LBB9_255:                              ;   in Loop: Header=BB9_202 Depth=2
	s_cbranch_execnz .LBB9_257
.LBB9_256:                              ;   in Loop: Header=BB9_202 Depth=2
	global_load_dwordx2 v[16:17], v38, s[4:5]
.LBB9_257:                              ;   in Loop: Header=BB9_202 Depth=2
	v_readfirstlane_b32 s4, v55
	v_mov_b32_e32 v22, 0
	v_mov_b32_e32 v23, 0
	v_cmp_eq_u32_e64 s[4:5], s4, v55
	s_and_saveexec_b64 s[12:13], s[4:5]
	s_cbranch_execz .LBB9_263
; %bb.258:                              ;   in Loop: Header=BB9_202 Depth=2
	global_load_dwordx2 v[20:21], v38, s[28:29] offset:24 glc
	s_waitcnt vmcnt(0)
	buffer_wbinvl1_vol
	global_load_dwordx2 v[18:19], v38, s[28:29] offset:40
	global_load_dwordx2 v[22:23], v38, s[28:29]
	s_waitcnt vmcnt(0)
	v_and_b32_e32 v18, v18, v20
	v_and_b32_e32 v19, v19, v21
	v_mul_lo_u32 v19, v19, 24
	v_mul_hi_u32 v26, v18, 24
	v_mul_lo_u32 v18, v18, 24
	v_add_u32_e32 v19, v26, v19
	v_add_co_u32_e32 v18, vcc, v22, v18
	v_addc_co_u32_e32 v19, vcc, v23, v19, vcc
	global_load_dwordx2 v[18:19], v[18:19], off glc
	s_waitcnt vmcnt(0)
	global_atomic_cmpswap_x2 v[22:23], v38, v[18:21], s[28:29] offset:24 glc
	s_waitcnt vmcnt(0)
	buffer_wbinvl1_vol
	v_cmp_ne_u64_e32 vcc, v[22:23], v[20:21]
	s_and_saveexec_b64 s[14:15], vcc
	s_cbranch_execz .LBB9_262
; %bb.259:                              ;   in Loop: Header=BB9_202 Depth=2
	s_mov_b64 s[16:17], 0
.LBB9_260:                              ;   Parent Loop BB9_171 Depth=1
                                        ;     Parent Loop BB9_202 Depth=2
                                        ; =>    This Inner Loop Header: Depth=3
	s_sleep 1
	global_load_dwordx2 v[18:19], v38, s[28:29] offset:40
	global_load_dwordx2 v[26:27], v38, s[28:29]
	v_mov_b32_e32 v20, v22
	v_mov_b32_e32 v21, v23
	s_waitcnt vmcnt(0)
	v_and_b32_e32 v18, v18, v20
	v_mad_u64_u32 v[22:23], s[18:19], v18, 24, v[26:27]
	v_and_b32_e32 v19, v19, v21
	v_mov_b32_e32 v18, v23
	v_mad_u64_u32 v[18:19], s[18:19], v19, 24, v[18:19]
	v_mov_b32_e32 v23, v18
	global_load_dwordx2 v[18:19], v[22:23], off glc
	s_waitcnt vmcnt(0)
	global_atomic_cmpswap_x2 v[22:23], v38, v[18:21], s[28:29] offset:24 glc
	s_waitcnt vmcnt(0)
	buffer_wbinvl1_vol
	v_cmp_eq_u64_e32 vcc, v[22:23], v[20:21]
	s_or_b64 s[16:17], vcc, s[16:17]
	s_andn2_b64 exec, exec, s[16:17]
	s_cbranch_execnz .LBB9_260
; %bb.261:                              ;   in Loop: Header=BB9_202 Depth=2
	s_or_b64 exec, exec, s[16:17]
.LBB9_262:                              ;   in Loop: Header=BB9_202 Depth=2
	s_or_b64 exec, exec, s[14:15]
.LBB9_263:                              ;   in Loop: Header=BB9_202 Depth=2
	s_or_b64 exec, exec, s[12:13]
	global_load_dwordx2 v[26:27], v38, s[28:29] offset:40
	global_load_dwordx4 v[18:21], v38, s[28:29]
	v_readfirstlane_b32 s12, v22
	v_readfirstlane_b32 s13, v23
	s_mov_b64 s[14:15], exec
	s_waitcnt vmcnt(0)
	v_readfirstlane_b32 s16, v26
	v_readfirstlane_b32 s17, v27
	s_and_b64 s[16:17], s[12:13], s[16:17]
	s_mul_i32 s18, s17, 24
	s_mul_hi_u32 s19, s16, 24
	s_mul_i32 s20, s16, 24
	s_add_i32 s18, s19, s18
	v_mov_b32_e32 v23, s18
	v_add_co_u32_e32 v22, vcc, s20, v18
	v_addc_co_u32_e32 v23, vcc, v19, v23, vcc
	s_and_saveexec_b64 s[18:19], s[4:5]
	s_cbranch_execz .LBB9_265
; %bb.264:                              ;   in Loop: Header=BB9_202 Depth=2
	v_mov_b32_e32 v49, s15
	v_mov_b32_e32 v48, s14
	global_store_dwordx4 v[22:23], v[48:51], off offset:8
.LBB9_265:                              ;   in Loop: Header=BB9_202 Depth=2
	s_or_b64 exec, exec, s[18:19]
	s_lshl_b64 s[14:15], s[16:17], 12
	v_mov_b32_e32 v26, s15
	v_add_co_u32_e32 v20, vcc, s14, v20
	v_addc_co_u32_e32 v21, vcc, v21, v26, vcc
	v_cmp_gt_u64_e64 vcc, s[8:9], 56
	v_or_b32_e32 v27, v2, v25
	s_lshl_b32 s14, s10, 2
	v_cndmask_b32_e32 v2, v27, v2, vcc
	s_add_i32 s14, s14, 28
	v_or_b32_e32 v26, 0, v3
	s_and_b32 s14, s14, 0x1e0
	v_and_b32_e32 v2, 0xffffff1f, v2
	v_cndmask_b32_e32 v3, v26, v3, vcc
	v_or_b32_e32 v2, s14, v2
	v_readfirstlane_b32 s14, v20
	v_readfirstlane_b32 s15, v21
	s_nop 4
	global_store_dwordx4 v40, v[2:5], s[14:15]
	global_store_dwordx4 v40, v[6:9], s[14:15] offset:16
	global_store_dwordx4 v40, v[10:13], s[14:15] offset:32
	;; [unrolled: 1-line block ×3, first 2 shown]
	s_and_saveexec_b64 s[14:15], s[4:5]
	s_cbranch_execz .LBB9_273
; %bb.266:                              ;   in Loop: Header=BB9_202 Depth=2
	global_load_dwordx2 v[10:11], v38, s[28:29] offset:32 glc
	global_load_dwordx2 v[2:3], v38, s[28:29] offset:40
	v_mov_b32_e32 v8, s12
	v_mov_b32_e32 v9, s13
	s_waitcnt vmcnt(0)
	v_readfirstlane_b32 s16, v2
	v_readfirstlane_b32 s17, v3
	s_and_b64 s[16:17], s[16:17], s[12:13]
	s_mul_i32 s17, s17, 24
	s_mul_hi_u32 s18, s16, 24
	s_mul_i32 s16, s16, 24
	s_add_i32 s17, s18, s17
	v_mov_b32_e32 v2, s17
	v_add_co_u32_e32 v6, vcc, s16, v18
	v_addc_co_u32_e32 v7, vcc, v19, v2, vcc
	global_store_dwordx2 v[6:7], v[10:11], off
	s_waitcnt vmcnt(0)
	global_atomic_cmpswap_x2 v[4:5], v38, v[8:11], s[28:29] offset:32 glc
	s_waitcnt vmcnt(0)
	v_cmp_ne_u64_e32 vcc, v[4:5], v[10:11]
	s_and_saveexec_b64 s[16:17], vcc
	s_cbranch_execz .LBB9_269
; %bb.267:                              ;   in Loop: Header=BB9_202 Depth=2
	s_mov_b64 s[18:19], 0
.LBB9_268:                              ;   Parent Loop BB9_171 Depth=1
                                        ;     Parent Loop BB9_202 Depth=2
                                        ; =>    This Inner Loop Header: Depth=3
	s_sleep 1
	global_store_dwordx2 v[6:7], v[4:5], off
	v_mov_b32_e32 v2, s12
	v_mov_b32_e32 v3, s13
	s_waitcnt vmcnt(0)
	global_atomic_cmpswap_x2 v[2:3], v38, v[2:5], s[28:29] offset:32 glc
	s_waitcnt vmcnt(0)
	v_cmp_eq_u64_e32 vcc, v[2:3], v[4:5]
	v_mov_b32_e32 v5, v3
	s_or_b64 s[18:19], vcc, s[18:19]
	v_mov_b32_e32 v4, v2
	s_andn2_b64 exec, exec, s[18:19]
	s_cbranch_execnz .LBB9_268
.LBB9_269:                              ;   in Loop: Header=BB9_202 Depth=2
	s_or_b64 exec, exec, s[16:17]
	global_load_dwordx2 v[2:3], v38, s[28:29] offset:16
	s_mov_b64 s[18:19], exec
	v_mbcnt_lo_u32_b32 v4, s18, 0
	v_mbcnt_hi_u32_b32 v4, s19, v4
	v_cmp_eq_u32_e32 vcc, 0, v4
	s_and_saveexec_b64 s[16:17], vcc
	s_cbranch_execz .LBB9_271
; %bb.270:                              ;   in Loop: Header=BB9_202 Depth=2
	s_bcnt1_i32_b64 s18, s[18:19]
	v_mov_b32_e32 v37, s18
	s_waitcnt vmcnt(0)
	global_atomic_add_x2 v[2:3], v[37:38], off offset:8
.LBB9_271:                              ;   in Loop: Header=BB9_202 Depth=2
	s_or_b64 exec, exec, s[16:17]
	s_waitcnt vmcnt(0)
	global_load_dwordx2 v[4:5], v[2:3], off offset:16
	s_waitcnt vmcnt(0)
	v_cmp_eq_u64_e32 vcc, 0, v[4:5]
	s_cbranch_vccnz .LBB9_273
; %bb.272:                              ;   in Loop: Header=BB9_202 Depth=2
	global_load_dword v37, v[2:3], off offset:24
	s_waitcnt vmcnt(0)
	v_and_b32_e32 v2, 0xffffff, v37
	v_readfirstlane_b32 m0, v2
	global_store_dwordx2 v[4:5], v[37:38], off
	s_sendmsg sendmsg(MSG_INTERRUPT)
.LBB9_273:                              ;   in Loop: Header=BB9_202 Depth=2
	s_or_b64 exec, exec, s[14:15]
	v_add_co_u32_e32 v2, vcc, v20, v40
	v_addc_co_u32_e32 v3, vcc, 0, v21, vcc
	s_branch .LBB9_277
.LBB9_274:                              ;   in Loop: Header=BB9_277 Depth=3
	s_or_b64 exec, exec, s[14:15]
	v_readfirstlane_b32 s14, v4
	s_cmp_eq_u32 s14, 0
	s_cbranch_scc1 .LBB9_276
; %bb.275:                              ;   in Loop: Header=BB9_277 Depth=3
	s_sleep 1
	s_cbranch_execnz .LBB9_277
	s_branch .LBB9_279
.LBB9_276:                              ;   in Loop: Header=BB9_202 Depth=2
	s_branch .LBB9_279
.LBB9_277:                              ;   Parent Loop BB9_171 Depth=1
                                        ;     Parent Loop BB9_202 Depth=2
                                        ; =>    This Inner Loop Header: Depth=3
	v_mov_b32_e32 v4, 1
	s_and_saveexec_b64 s[14:15], s[4:5]
	s_cbranch_execz .LBB9_274
; %bb.278:                              ;   in Loop: Header=BB9_277 Depth=3
	global_load_dword v4, v[22:23], off offset:20 glc
	s_waitcnt vmcnt(0)
	buffer_wbinvl1_vol
	v_and_b32_e32 v4, 1, v4
	s_branch .LBB9_274
.LBB9_279:                              ;   in Loop: Header=BB9_202 Depth=2
	global_load_dwordx4 v[2:5], v[2:3], off
	s_and_saveexec_b64 s[14:15], s[4:5]
	s_cbranch_execz .LBB9_201
; %bb.280:                              ;   in Loop: Header=BB9_202 Depth=2
	global_load_dwordx2 v[6:7], v38, s[28:29] offset:40
	global_load_dwordx2 v[10:11], v38, s[28:29] offset:24 glc
	global_load_dwordx2 v[8:9], v38, s[28:29]
	s_waitcnt vmcnt(0)
	v_mov_b32_e32 v5, s13
	v_add_co_u32_e32 v12, vcc, 1, v6
	v_addc_co_u32_e32 v13, vcc, 0, v7, vcc
	v_add_co_u32_e32 v4, vcc, s12, v12
	v_addc_co_u32_e32 v5, vcc, v13, v5, vcc
	v_cmp_eq_u64_e32 vcc, 0, v[4:5]
	v_cndmask_b32_e32 v5, v5, v13, vcc
	v_cndmask_b32_e32 v4, v4, v12, vcc
	v_and_b32_e32 v7, v5, v7
	v_and_b32_e32 v6, v4, v6
	v_mul_lo_u32 v7, v7, 24
	v_mul_hi_u32 v12, v6, 24
	v_mul_lo_u32 v13, v6, 24
	v_mov_b32_e32 v6, v10
	v_add_u32_e32 v7, v12, v7
	v_add_co_u32_e32 v8, vcc, v8, v13
	v_addc_co_u32_e32 v9, vcc, v9, v7, vcc
	global_store_dwordx2 v[8:9], v[10:11], off
	v_mov_b32_e32 v7, v11
	s_waitcnt vmcnt(0)
	global_atomic_cmpswap_x2 v[6:7], v38, v[4:7], s[28:29] offset:24 glc
	s_waitcnt vmcnt(0)
	v_cmp_ne_u64_e32 vcc, v[6:7], v[10:11]
	s_and_b64 exec, exec, vcc
	s_cbranch_execz .LBB9_201
; %bb.281:                              ;   in Loop: Header=BB9_202 Depth=2
	s_mov_b64 s[4:5], 0
.LBB9_282:                              ;   Parent Loop BB9_171 Depth=1
                                        ;     Parent Loop BB9_202 Depth=2
                                        ; =>    This Inner Loop Header: Depth=3
	s_sleep 1
	global_store_dwordx2 v[8:9], v[6:7], off
	s_waitcnt vmcnt(0)
	global_atomic_cmpswap_x2 v[10:11], v38, v[4:7], s[28:29] offset:24 glc
	s_waitcnt vmcnt(0)
	v_cmp_eq_u64_e32 vcc, v[10:11], v[6:7]
	v_mov_b32_e32 v6, v10
	s_or_b64 s[4:5], vcc, s[4:5]
	v_mov_b32_e32 v7, v11
	s_andn2_b64 exec, exec, s[4:5]
	s_cbranch_execnz .LBB9_282
	s_branch .LBB9_201
.LBB9_283:                              ;   in Loop: Header=BB9_171 Depth=1
	s_branch .LBB9_312
.LBB9_284:                              ;   in Loop: Header=BB9_171 Depth=1
                                        ; implicit-def: $vgpr2_vgpr3
	s_cbranch_execz .LBB9_312
; %bb.285:                              ;   in Loop: Header=BB9_171 Depth=1
	v_readfirstlane_b32 s4, v55
	s_waitcnt vmcnt(0)
	v_mov_b32_e32 v2, 0
	v_mov_b32_e32 v3, 0
	v_cmp_eq_u32_e64 s[4:5], s4, v55
	s_and_saveexec_b64 s[6:7], s[4:5]
	s_cbranch_execz .LBB9_291
; %bb.286:                              ;   in Loop: Header=BB9_171 Depth=1
	global_load_dwordx2 v[4:5], v38, s[28:29] offset:24 glc
	s_waitcnt vmcnt(0)
	buffer_wbinvl1_vol
	global_load_dwordx2 v[2:3], v38, s[28:29] offset:40
	global_load_dwordx2 v[6:7], v38, s[28:29]
	s_waitcnt vmcnt(0)
	v_and_b32_e32 v2, v2, v4
	v_and_b32_e32 v3, v3, v5
	v_mul_lo_u32 v3, v3, 24
	v_mul_hi_u32 v8, v2, 24
	v_mul_lo_u32 v2, v2, 24
	v_add_u32_e32 v3, v8, v3
	v_add_co_u32_e32 v2, vcc, v6, v2
	v_addc_co_u32_e32 v3, vcc, v7, v3, vcc
	global_load_dwordx2 v[2:3], v[2:3], off glc
	s_waitcnt vmcnt(0)
	global_atomic_cmpswap_x2 v[2:3], v38, v[2:5], s[28:29] offset:24 glc
	s_waitcnt vmcnt(0)
	buffer_wbinvl1_vol
	v_cmp_ne_u64_e32 vcc, v[2:3], v[4:5]
	s_and_saveexec_b64 s[8:9], vcc
	s_cbranch_execz .LBB9_290
; %bb.287:                              ;   in Loop: Header=BB9_171 Depth=1
	s_mov_b64 s[10:11], 0
.LBB9_288:                              ;   Parent Loop BB9_171 Depth=1
                                        ; =>  This Inner Loop Header: Depth=2
	s_sleep 1
	global_load_dwordx2 v[6:7], v38, s[28:29] offset:40
	global_load_dwordx2 v[8:9], v38, s[28:29]
	v_mov_b32_e32 v5, v3
	v_mov_b32_e32 v4, v2
	s_waitcnt vmcnt(0)
	v_and_b32_e32 v2, v6, v4
	v_mad_u64_u32 v[2:3], s[12:13], v2, 24, v[8:9]
	v_and_b32_e32 v6, v7, v5
	v_mad_u64_u32 v[6:7], s[12:13], v6, 24, v[3:4]
	v_mov_b32_e32 v3, v6
	global_load_dwordx2 v[2:3], v[2:3], off glc
	s_waitcnt vmcnt(0)
	global_atomic_cmpswap_x2 v[2:3], v38, v[2:5], s[28:29] offset:24 glc
	s_waitcnt vmcnt(0)
	buffer_wbinvl1_vol
	v_cmp_eq_u64_e32 vcc, v[2:3], v[4:5]
	s_or_b64 s[10:11], vcc, s[10:11]
	s_andn2_b64 exec, exec, s[10:11]
	s_cbranch_execnz .LBB9_288
; %bb.289:                              ;   in Loop: Header=BB9_171 Depth=1
	s_or_b64 exec, exec, s[10:11]
.LBB9_290:                              ;   in Loop: Header=BB9_171 Depth=1
	s_or_b64 exec, exec, s[8:9]
.LBB9_291:                              ;   in Loop: Header=BB9_171 Depth=1
	s_or_b64 exec, exec, s[6:7]
	global_load_dwordx2 v[8:9], v38, s[28:29] offset:40
	global_load_dwordx4 v[4:7], v38, s[28:29]
	v_readfirstlane_b32 s6, v2
	v_readfirstlane_b32 s7, v3
	s_mov_b64 s[8:9], exec
	s_waitcnt vmcnt(0)
	v_readfirstlane_b32 s10, v8
	v_readfirstlane_b32 s11, v9
	s_and_b64 s[10:11], s[6:7], s[10:11]
	s_mul_i32 s12, s11, 24
	s_mul_hi_u32 s13, s10, 24
	s_mul_i32 s14, s10, 24
	s_add_i32 s12, s13, s12
	v_mov_b32_e32 v2, s12
	v_add_co_u32_e32 v8, vcc, s14, v4
	v_addc_co_u32_e32 v9, vcc, v5, v2, vcc
	s_and_saveexec_b64 s[12:13], s[4:5]
	s_cbranch_execz .LBB9_293
; %bb.292:                              ;   in Loop: Header=BB9_171 Depth=1
	v_mov_b32_e32 v49, s9
	v_mov_b32_e32 v48, s8
	global_store_dwordx4 v[8:9], v[48:51], off offset:8
.LBB9_293:                              ;   in Loop: Header=BB9_171 Depth=1
	s_or_b64 exec, exec, s[12:13]
	s_lshl_b64 s[8:9], s[10:11], 12
	v_mov_b32_e32 v2, s9
	v_add_co_u32_e32 v6, vcc, s8, v6
	v_addc_co_u32_e32 v7, vcc, v7, v2, vcc
	v_and_or_b32 v0, v0, s23, 32
	v_mov_b32_e32 v2, v38
	v_mov_b32_e32 v3, v38
	v_readfirstlane_b32 s8, v6
	v_readfirstlane_b32 s9, v7
	s_nop 4
	global_store_dwordx4 v40, v[0:3], s[8:9]
	s_nop 0
	v_mov_b32_e32 v0, s36
	v_mov_b32_e32 v1, s37
	;; [unrolled: 1-line block ×4, first 2 shown]
	global_store_dwordx4 v40, v[0:3], s[8:9] offset:16
	global_store_dwordx4 v40, v[0:3], s[8:9] offset:32
	;; [unrolled: 1-line block ×3, first 2 shown]
	s_and_saveexec_b64 s[8:9], s[4:5]
	s_cbranch_execz .LBB9_301
; %bb.294:                              ;   in Loop: Header=BB9_171 Depth=1
	global_load_dwordx2 v[12:13], v38, s[28:29] offset:32 glc
	global_load_dwordx2 v[0:1], v38, s[28:29] offset:40
	v_mov_b32_e32 v10, s6
	v_mov_b32_e32 v11, s7
	s_waitcnt vmcnt(0)
	v_readfirstlane_b32 s10, v0
	v_readfirstlane_b32 s11, v1
	s_and_b64 s[10:11], s[10:11], s[6:7]
	s_mul_i32 s11, s11, 24
	s_mul_hi_u32 s12, s10, 24
	s_mul_i32 s10, s10, 24
	s_add_i32 s11, s12, s11
	v_mov_b32_e32 v0, s11
	v_add_co_u32_e32 v4, vcc, s10, v4
	v_addc_co_u32_e32 v5, vcc, v5, v0, vcc
	global_store_dwordx2 v[4:5], v[12:13], off
	s_waitcnt vmcnt(0)
	global_atomic_cmpswap_x2 v[2:3], v38, v[10:13], s[28:29] offset:32 glc
	s_waitcnt vmcnt(0)
	v_cmp_ne_u64_e32 vcc, v[2:3], v[12:13]
	s_and_saveexec_b64 s[10:11], vcc
	s_cbranch_execz .LBB9_297
; %bb.295:                              ;   in Loop: Header=BB9_171 Depth=1
	s_mov_b64 s[12:13], 0
.LBB9_296:                              ;   Parent Loop BB9_171 Depth=1
                                        ; =>  This Inner Loop Header: Depth=2
	s_sleep 1
	global_store_dwordx2 v[4:5], v[2:3], off
	v_mov_b32_e32 v0, s6
	v_mov_b32_e32 v1, s7
	s_waitcnt vmcnt(0)
	global_atomic_cmpswap_x2 v[0:1], v38, v[0:3], s[28:29] offset:32 glc
	s_waitcnt vmcnt(0)
	v_cmp_eq_u64_e32 vcc, v[0:1], v[2:3]
	v_mov_b32_e32 v3, v1
	s_or_b64 s[12:13], vcc, s[12:13]
	v_mov_b32_e32 v2, v0
	s_andn2_b64 exec, exec, s[12:13]
	s_cbranch_execnz .LBB9_296
.LBB9_297:                              ;   in Loop: Header=BB9_171 Depth=1
	s_or_b64 exec, exec, s[10:11]
	global_load_dwordx2 v[0:1], v38, s[28:29] offset:16
	s_mov_b64 s[12:13], exec
	v_mbcnt_lo_u32_b32 v2, s12, 0
	v_mbcnt_hi_u32_b32 v2, s13, v2
	v_cmp_eq_u32_e32 vcc, 0, v2
	s_and_saveexec_b64 s[10:11], vcc
	s_cbranch_execz .LBB9_299
; %bb.298:                              ;   in Loop: Header=BB9_171 Depth=1
	s_bcnt1_i32_b64 s12, s[12:13]
	v_mov_b32_e32 v37, s12
	s_waitcnt vmcnt(0)
	global_atomic_add_x2 v[0:1], v[37:38], off offset:8
.LBB9_299:                              ;   in Loop: Header=BB9_171 Depth=1
	s_or_b64 exec, exec, s[10:11]
	s_waitcnt vmcnt(0)
	global_load_dwordx2 v[2:3], v[0:1], off offset:16
	s_waitcnt vmcnt(0)
	v_cmp_eq_u64_e32 vcc, 0, v[2:3]
	s_cbranch_vccnz .LBB9_301
; %bb.300:                              ;   in Loop: Header=BB9_171 Depth=1
	global_load_dword v37, v[0:1], off offset:24
	s_waitcnt vmcnt(0)
	v_and_b32_e32 v0, 0xffffff, v37
	v_readfirstlane_b32 m0, v0
	global_store_dwordx2 v[2:3], v[37:38], off
	s_sendmsg sendmsg(MSG_INTERRUPT)
.LBB9_301:                              ;   in Loop: Header=BB9_171 Depth=1
	s_or_b64 exec, exec, s[8:9]
	v_add_co_u32_e32 v0, vcc, v6, v40
	v_addc_co_u32_e32 v1, vcc, 0, v7, vcc
	s_branch .LBB9_305
.LBB9_302:                              ;   in Loop: Header=BB9_305 Depth=2
	s_or_b64 exec, exec, s[8:9]
	v_readfirstlane_b32 s8, v2
	s_cmp_eq_u32 s8, 0
	s_cbranch_scc1 .LBB9_304
; %bb.303:                              ;   in Loop: Header=BB9_305 Depth=2
	s_sleep 1
	s_cbranch_execnz .LBB9_305
	s_branch .LBB9_307
.LBB9_304:                              ;   in Loop: Header=BB9_171 Depth=1
	s_branch .LBB9_307
.LBB9_305:                              ;   Parent Loop BB9_171 Depth=1
                                        ; =>  This Inner Loop Header: Depth=2
	v_mov_b32_e32 v2, 1
	s_and_saveexec_b64 s[8:9], s[4:5]
	s_cbranch_execz .LBB9_302
; %bb.306:                              ;   in Loop: Header=BB9_305 Depth=2
	global_load_dword v2, v[8:9], off offset:20 glc
	s_waitcnt vmcnt(0)
	buffer_wbinvl1_vol
	v_and_b32_e32 v2, 1, v2
	s_branch .LBB9_302
.LBB9_307:                              ;   in Loop: Header=BB9_171 Depth=1
	global_load_dwordx2 v[2:3], v[0:1], off
	s_and_saveexec_b64 s[8:9], s[4:5]
	s_cbranch_execz .LBB9_311
; %bb.308:                              ;   in Loop: Header=BB9_171 Depth=1
	global_load_dwordx2 v[0:1], v38, s[28:29] offset:40
	global_load_dwordx2 v[8:9], v38, s[28:29] offset:24 glc
	global_load_dwordx2 v[10:11], v38, s[28:29]
	v_mov_b32_e32 v5, s7
	s_waitcnt vmcnt(0)
	v_add_co_u32_e32 v6, vcc, 1, v0
	v_addc_co_u32_e32 v7, vcc, 0, v1, vcc
	v_add_co_u32_e32 v4, vcc, s6, v6
	v_addc_co_u32_e32 v5, vcc, v7, v5, vcc
	v_cmp_eq_u64_e32 vcc, 0, v[4:5]
	v_cndmask_b32_e32 v5, v5, v7, vcc
	v_cndmask_b32_e32 v4, v4, v6, vcc
	v_and_b32_e32 v1, v5, v1
	v_and_b32_e32 v0, v4, v0
	v_mul_lo_u32 v1, v1, 24
	v_mul_hi_u32 v7, v0, 24
	v_mul_lo_u32 v0, v0, 24
	v_mov_b32_e32 v6, v8
	v_add_u32_e32 v1, v7, v1
	v_add_co_u32_e32 v0, vcc, v10, v0
	v_addc_co_u32_e32 v1, vcc, v11, v1, vcc
	global_store_dwordx2 v[0:1], v[8:9], off
	v_mov_b32_e32 v7, v9
	s_waitcnt vmcnt(0)
	global_atomic_cmpswap_x2 v[6:7], v38, v[4:7], s[28:29] offset:24 glc
	s_waitcnt vmcnt(0)
	v_cmp_ne_u64_e32 vcc, v[6:7], v[8:9]
	s_and_b64 exec, exec, vcc
	s_cbranch_execz .LBB9_311
; %bb.309:                              ;   in Loop: Header=BB9_171 Depth=1
	s_mov_b64 s[4:5], 0
.LBB9_310:                              ;   Parent Loop BB9_171 Depth=1
                                        ; =>  This Inner Loop Header: Depth=2
	s_sleep 1
	global_store_dwordx2 v[0:1], v[6:7], off
	s_waitcnt vmcnt(0)
	global_atomic_cmpswap_x2 v[8:9], v38, v[4:7], s[28:29] offset:24 glc
	s_waitcnt vmcnt(0)
	v_cmp_eq_u64_e32 vcc, v[8:9], v[6:7]
	v_mov_b32_e32 v6, v8
	s_or_b64 s[4:5], vcc, s[4:5]
	v_mov_b32_e32 v7, v9
	s_andn2_b64 exec, exec, s[4:5]
	s_cbranch_execnz .LBB9_310
.LBB9_311:                              ;   in Loop: Header=BB9_171 Depth=1
	s_or_b64 exec, exec, s[8:9]
.LBB9_312:                              ;   in Loop: Header=BB9_171 Depth=1
	v_readfirstlane_b32 s4, v55
	s_waitcnt vmcnt(0)
	v_mov_b32_e32 v0, 0
	v_mov_b32_e32 v1, 0
	v_cmp_eq_u32_e64 s[4:5], s4, v55
	s_and_saveexec_b64 s[6:7], s[4:5]
	s_cbranch_execz .LBB9_318
; %bb.313:                              ;   in Loop: Header=BB9_171 Depth=1
	global_load_dwordx2 v[6:7], v38, s[28:29] offset:24 glc
	s_waitcnt vmcnt(0)
	buffer_wbinvl1_vol
	global_load_dwordx2 v[0:1], v38, s[28:29] offset:40
	global_load_dwordx2 v[4:5], v38, s[28:29]
	s_waitcnt vmcnt(0)
	v_and_b32_e32 v0, v0, v6
	v_and_b32_e32 v1, v1, v7
	v_mul_lo_u32 v1, v1, 24
	v_mul_hi_u32 v8, v0, 24
	v_mul_lo_u32 v0, v0, 24
	v_add_u32_e32 v1, v8, v1
	v_add_co_u32_e32 v0, vcc, v4, v0
	v_addc_co_u32_e32 v1, vcc, v5, v1, vcc
	global_load_dwordx2 v[4:5], v[0:1], off glc
	s_waitcnt vmcnt(0)
	global_atomic_cmpswap_x2 v[0:1], v38, v[4:7], s[28:29] offset:24 glc
	s_waitcnt vmcnt(0)
	buffer_wbinvl1_vol
	v_cmp_ne_u64_e32 vcc, v[0:1], v[6:7]
	s_and_saveexec_b64 s[8:9], vcc
	s_cbranch_execz .LBB9_317
; %bb.314:                              ;   in Loop: Header=BB9_171 Depth=1
	s_mov_b64 s[10:11], 0
.LBB9_315:                              ;   Parent Loop BB9_171 Depth=1
                                        ; =>  This Inner Loop Header: Depth=2
	s_sleep 1
	global_load_dwordx2 v[4:5], v38, s[28:29] offset:40
	global_load_dwordx2 v[8:9], v38, s[28:29]
	v_mov_b32_e32 v7, v1
	v_mov_b32_e32 v6, v0
	s_waitcnt vmcnt(0)
	v_and_b32_e32 v0, v4, v6
	v_mad_u64_u32 v[0:1], s[12:13], v0, 24, v[8:9]
	v_and_b32_e32 v4, v5, v7
	v_mad_u64_u32 v[4:5], s[12:13], v4, 24, v[1:2]
	v_mov_b32_e32 v1, v4
	global_load_dwordx2 v[4:5], v[0:1], off glc
	s_waitcnt vmcnt(0)
	global_atomic_cmpswap_x2 v[0:1], v38, v[4:7], s[28:29] offset:24 glc
	s_waitcnt vmcnt(0)
	buffer_wbinvl1_vol
	v_cmp_eq_u64_e32 vcc, v[0:1], v[6:7]
	s_or_b64 s[10:11], vcc, s[10:11]
	s_andn2_b64 exec, exec, s[10:11]
	s_cbranch_execnz .LBB9_315
; %bb.316:                              ;   in Loop: Header=BB9_171 Depth=1
	s_or_b64 exec, exec, s[10:11]
.LBB9_317:                              ;   in Loop: Header=BB9_171 Depth=1
	s_or_b64 exec, exec, s[8:9]
.LBB9_318:                              ;   in Loop: Header=BB9_171 Depth=1
	s_or_b64 exec, exec, s[6:7]
	global_load_dwordx2 v[4:5], v38, s[28:29] offset:40
	global_load_dwordx4 v[6:9], v38, s[28:29]
	v_readfirstlane_b32 s6, v0
	v_readfirstlane_b32 s7, v1
	s_mov_b64 s[8:9], exec
	s_waitcnt vmcnt(0)
	v_readfirstlane_b32 s10, v4
	v_readfirstlane_b32 s11, v5
	s_and_b64 s[10:11], s[6:7], s[10:11]
	s_mul_i32 s12, s11, 24
	s_mul_hi_u32 s13, s10, 24
	s_mul_i32 s14, s10, 24
	s_add_i32 s12, s13, s12
	v_mov_b32_e32 v0, s12
	v_add_co_u32_e32 v10, vcc, s14, v6
	v_addc_co_u32_e32 v11, vcc, v7, v0, vcc
	s_and_saveexec_b64 s[12:13], s[4:5]
	s_cbranch_execz .LBB9_320
; %bb.319:                              ;   in Loop: Header=BB9_171 Depth=1
	v_mov_b32_e32 v49, s9
	v_mov_b32_e32 v48, s8
	global_store_dwordx4 v[10:11], v[48:51], off offset:8
.LBB9_320:                              ;   in Loop: Header=BB9_171 Depth=1
	s_or_b64 exec, exec, s[12:13]
	s_lshl_b64 s[8:9], s[10:11], 12
	v_mov_b32_e32 v0, s9
	v_add_co_u32_e32 v1, vcc, s8, v8
	v_addc_co_u32_e32 v0, vcc, v9, v0, vcc
	v_and_or_b32 v2, v2, s40, 34
	s_waitcnt lgkmcnt(0)
	v_ashrrev_i32_e32 v5, 31, v24
	v_mov_b32_e32 v4, v24
	v_readfirstlane_b32 s8, v1
	v_readfirstlane_b32 s9, v0
	s_nop 4
	global_store_dwordx4 v40, v[2:5], s[8:9]
	v_mov_b32_e32 v0, s36
	v_mov_b32_e32 v1, s37
	;; [unrolled: 1-line block ×4, first 2 shown]
	global_store_dwordx4 v40, v[0:3], s[8:9] offset:16
	global_store_dwordx4 v40, v[0:3], s[8:9] offset:32
	;; [unrolled: 1-line block ×3, first 2 shown]
	s_and_saveexec_b64 s[8:9], s[4:5]
	s_cbranch_execz .LBB9_328
; %bb.321:                              ;   in Loop: Header=BB9_171 Depth=1
	global_load_dwordx2 v[14:15], v38, s[28:29] offset:32 glc
	global_load_dwordx2 v[0:1], v38, s[28:29] offset:40
	v_mov_b32_e32 v12, s6
	v_mov_b32_e32 v13, s7
	s_waitcnt vmcnt(0)
	v_readfirstlane_b32 s10, v0
	v_readfirstlane_b32 s11, v1
	s_and_b64 s[10:11], s[10:11], s[6:7]
	s_mul_i32 s11, s11, 24
	s_mul_hi_u32 s12, s10, 24
	s_mul_i32 s10, s10, 24
	s_add_i32 s11, s12, s11
	v_mov_b32_e32 v0, s11
	v_add_co_u32_e32 v4, vcc, s10, v6
	v_addc_co_u32_e32 v5, vcc, v7, v0, vcc
	global_store_dwordx2 v[4:5], v[14:15], off
	s_waitcnt vmcnt(0)
	global_atomic_cmpswap_x2 v[2:3], v38, v[12:15], s[28:29] offset:32 glc
	s_waitcnt vmcnt(0)
	v_cmp_ne_u64_e32 vcc, v[2:3], v[14:15]
	s_and_saveexec_b64 s[10:11], vcc
	s_cbranch_execz .LBB9_324
; %bb.322:                              ;   in Loop: Header=BB9_171 Depth=1
	s_mov_b64 s[12:13], 0
.LBB9_323:                              ;   Parent Loop BB9_171 Depth=1
                                        ; =>  This Inner Loop Header: Depth=2
	s_sleep 1
	global_store_dwordx2 v[4:5], v[2:3], off
	v_mov_b32_e32 v0, s6
	v_mov_b32_e32 v1, s7
	s_waitcnt vmcnt(0)
	global_atomic_cmpswap_x2 v[0:1], v38, v[0:3], s[28:29] offset:32 glc
	s_waitcnt vmcnt(0)
	v_cmp_eq_u64_e32 vcc, v[0:1], v[2:3]
	v_mov_b32_e32 v3, v1
	s_or_b64 s[12:13], vcc, s[12:13]
	v_mov_b32_e32 v2, v0
	s_andn2_b64 exec, exec, s[12:13]
	s_cbranch_execnz .LBB9_323
.LBB9_324:                              ;   in Loop: Header=BB9_171 Depth=1
	s_or_b64 exec, exec, s[10:11]
	global_load_dwordx2 v[0:1], v38, s[28:29] offset:16
	s_mov_b64 s[12:13], exec
	v_mbcnt_lo_u32_b32 v2, s12, 0
	v_mbcnt_hi_u32_b32 v2, s13, v2
	v_cmp_eq_u32_e32 vcc, 0, v2
	s_and_saveexec_b64 s[10:11], vcc
	s_cbranch_execz .LBB9_326
; %bb.325:                              ;   in Loop: Header=BB9_171 Depth=1
	s_bcnt1_i32_b64 s12, s[12:13]
	v_mov_b32_e32 v37, s12
	s_waitcnt vmcnt(0)
	global_atomic_add_x2 v[0:1], v[37:38], off offset:8
.LBB9_326:                              ;   in Loop: Header=BB9_171 Depth=1
	s_or_b64 exec, exec, s[10:11]
	s_waitcnt vmcnt(0)
	global_load_dwordx2 v[2:3], v[0:1], off offset:16
	s_waitcnt vmcnt(0)
	v_cmp_eq_u64_e32 vcc, 0, v[2:3]
	s_cbranch_vccnz .LBB9_328
; %bb.327:                              ;   in Loop: Header=BB9_171 Depth=1
	global_load_dword v37, v[0:1], off offset:24
	s_waitcnt vmcnt(0)
	v_and_b32_e32 v0, 0xffffff, v37
	v_readfirstlane_b32 m0, v0
	global_store_dwordx2 v[2:3], v[37:38], off
	s_sendmsg sendmsg(MSG_INTERRUPT)
.LBB9_328:                              ;   in Loop: Header=BB9_171 Depth=1
	s_or_b64 exec, exec, s[8:9]
	s_branch .LBB9_332
.LBB9_329:                              ;   in Loop: Header=BB9_332 Depth=2
	s_or_b64 exec, exec, s[8:9]
	v_readfirstlane_b32 s8, v0
	s_cmp_eq_u32 s8, 0
	s_cbranch_scc1 .LBB9_331
; %bb.330:                              ;   in Loop: Header=BB9_332 Depth=2
	s_sleep 1
	s_cbranch_execnz .LBB9_332
	s_branch .LBB9_334
.LBB9_331:                              ;   in Loop: Header=BB9_171 Depth=1
	s_branch .LBB9_334
.LBB9_332:                              ;   Parent Loop BB9_171 Depth=1
                                        ; =>  This Inner Loop Header: Depth=2
	v_mov_b32_e32 v0, 1
	s_and_saveexec_b64 s[8:9], s[4:5]
	s_cbranch_execz .LBB9_329
; %bb.333:                              ;   in Loop: Header=BB9_332 Depth=2
	global_load_dword v0, v[10:11], off offset:20 glc
	s_waitcnt vmcnt(0)
	buffer_wbinvl1_vol
	v_and_b32_e32 v0, 1, v0
	s_branch .LBB9_329
.LBB9_334:                              ;   in Loop: Header=BB9_171 Depth=1
	s_and_saveexec_b64 s[8:9], s[4:5]
	s_cbranch_execz .LBB9_170
; %bb.335:                              ;   in Loop: Header=BB9_171 Depth=1
	global_load_dwordx2 v[2:3], v38, s[28:29] offset:40
	global_load_dwordx2 v[6:7], v38, s[28:29] offset:24 glc
	global_load_dwordx2 v[4:5], v38, s[28:29]
	v_mov_b32_e32 v1, s7
	s_waitcnt vmcnt(2)
	v_add_co_u32_e32 v8, vcc, 1, v2
	v_addc_co_u32_e32 v9, vcc, 0, v3, vcc
	v_add_co_u32_e32 v0, vcc, s6, v8
	v_addc_co_u32_e32 v1, vcc, v9, v1, vcc
	v_cmp_eq_u64_e32 vcc, 0, v[0:1]
	v_cndmask_b32_e32 v1, v1, v9, vcc
	v_cndmask_b32_e32 v0, v0, v8, vcc
	v_and_b32_e32 v3, v1, v3
	v_and_b32_e32 v2, v0, v2
	v_mul_lo_u32 v3, v3, 24
	v_mul_hi_u32 v8, v2, 24
	v_mul_lo_u32 v9, v2, 24
	s_waitcnt vmcnt(1)
	v_mov_b32_e32 v2, v6
	v_add_u32_e32 v3, v8, v3
	s_waitcnt vmcnt(0)
	v_add_co_u32_e32 v4, vcc, v4, v9
	v_addc_co_u32_e32 v5, vcc, v5, v3, vcc
	global_store_dwordx2 v[4:5], v[6:7], off
	v_mov_b32_e32 v3, v7
	s_waitcnt vmcnt(0)
	global_atomic_cmpswap_x2 v[2:3], v38, v[0:3], s[28:29] offset:24 glc
	s_waitcnt vmcnt(0)
	v_cmp_ne_u64_e32 vcc, v[2:3], v[6:7]
	s_and_b64 exec, exec, vcc
	s_cbranch_execz .LBB9_170
; %bb.336:                              ;   in Loop: Header=BB9_171 Depth=1
	s_mov_b64 s[4:5], 0
.LBB9_337:                              ;   Parent Loop BB9_171 Depth=1
                                        ; =>  This Inner Loop Header: Depth=2
	s_sleep 1
	global_store_dwordx2 v[4:5], v[2:3], off
	s_waitcnt vmcnt(0)
	global_atomic_cmpswap_x2 v[6:7], v38, v[0:3], s[28:29] offset:24 glc
	s_waitcnt vmcnt(0)
	v_cmp_eq_u64_e32 vcc, v[6:7], v[2:3]
	v_mov_b32_e32 v2, v6
	s_or_b64 s[4:5], vcc, s[4:5]
	v_mov_b32_e32 v3, v7
	s_andn2_b64 exec, exec, s[4:5]
	s_cbranch_execnz .LBB9_337
	s_branch .LBB9_170
.LBB9_338:
	v_readlane_b32 s30, v41, 0
	v_readlane_b32 s31, v41, 1
	;; [unrolled: 1-line block ×3, first 2 shown]
	s_or_saveexec_b64 s[6:7], -1
	buffer_load_dword v41, off, s[0:3], s33 ; 4-byte Folded Reload
	s_mov_b64 exec, s[6:7]
	s_addk_i32 s32, 0xfc00
	s_mov_b32 s33, s4
	s_waitcnt vmcnt(0) lgkmcnt(0)
	s_setpc_b64 s[30:31]
.Lfunc_end9:
	.size	_ZN8migraphx4testlsIKNS_13basic_printerIZNS_4coutEvEUlT_E_EEEERS3_S7_RKNS0_10expressionINS0_14lhs_expressionIRNS_5arrayIiLj8EEENS0_3nopEEESC_NS0_5equalEEE, .Lfunc_end9-_ZN8migraphx4testlsIKNS_13basic_printerIZNS_4coutEvEUlT_E_EEEERS3_S7_RKNS0_10expressionINS0_14lhs_expressionIRNS_5arrayIiLj8EEENS0_3nopEEESC_NS0_5equalEEE
                                        ; -- End function
	.section	.AMDGPU.csdata,"",@progbits
; Function info:
; codeLenInByte = 11708
; NumSgprs: 45
; NumVgprs: 56
; ScratchSize: 16
; MemoryBound: 0
	.text
	.p2align	2                               ; -- Begin function _ZL20merge_stability_testRN8migraphx4test12test_managerE
	.type	_ZL20merge_stability_testRN8migraphx4test12test_managerE,@function
_ZL20merge_stability_testRN8migraphx4test12test_managerE: ; @_ZL20merge_stability_testRN8migraphx4test12test_managerE
; %bb.0:
	s_waitcnt vmcnt(0) expcnt(0) lgkmcnt(0)
	s_mov_b32 s4, s33
	s_mov_b32 s33, s32
	s_or_saveexec_b64 s[6:7], -1
	buffer_store_dword v44, off, s[0:3], s33 offset:112 ; 4-byte Folded Spill
	s_mov_b64 exec, s[6:7]
	v_writelane_b32 v44, s4, 2
	v_writelane_b32 v44, s30, 0
	s_addk_i32 s32, 0x2000
	v_writelane_b32 v44, s31, 1
	v_mov_b32_e32 v43, v1
	v_mov_b32_e32 v42, v0
	;; [unrolled: 1-line block ×4, first 2 shown]
	buffer_store_dword v0, off, s[0:3], s33
	v_mov_b32_e32 v0, 3
	buffer_store_dword v1, off, s[0:3], s33 offset:8
	v_mov_b32_e32 v1, 7
	v_mov_b32_e32 v2, 2
	v_lshrrev_b32_e64 v3, 6, s33
	buffer_store_dword v0, off, s[0:3], s33 offset:4
	buffer_store_dword v1, off, s[0:3], s33 offset:12
	;; [unrolled: 1-line block ×4, first 2 shown]
	v_mov_b32_e32 v0, 6
	v_mov_b32_e32 v2, 0
	v_add_u32_e32 v3, 32, v3
	s_mov_b64 s[4:5], 0
	v_mov_b32_e32 v4, 0
	buffer_store_dword v0, off, s[0:3], s33 offset:24
	buffer_store_dword v1, off, s[0:3], s33 offset:28
	;; [unrolled: 1-line block ×10, first 2 shown]
                                        ; implicit-def: $sgpr6_sgpr7
                                        ; implicit-def: $sgpr16_sgpr17
                                        ; implicit-def: $sgpr10_sgpr11
	s_branch .LBB10_2
.LBB10_1:                               ;   in Loop: Header=BB10_2 Depth=1
	s_or_b64 exec, exec, s[18:19]
	s_and_b64 s[18:19], exec, s[16:17]
	s_or_b64 s[4:5], s[18:19], s[4:5]
	s_andn2_b64 s[6:7], s[6:7], exec
	s_and_b64 s[18:19], s[10:11], exec
	s_or_b64 s[6:7], s[6:7], s[18:19]
	s_andn2_b64 exec, exec, s[4:5]
	s_cbranch_execz .LBB10_4
.LBB10_2:                               ; =>This Inner Loop Header: Depth=1
	v_mov_b32_e32 v1, v4
	v_mov_b32_e32 v0, v3
	v_cmp_ne_u32_e32 vcc, 16, v2
	s_or_b64 s[10:11], s[10:11], exec
	s_or_b64 s[16:17], s[16:17], exec
                                        ; implicit-def: $vgpr4
                                        ; implicit-def: $vgpr3
	s_and_saveexec_b64 s[18:19], vcc
	s_cbranch_execz .LBB10_1
; %bb.3:                                ;   in Loop: Header=BB10_2 Depth=1
	v_lshrrev_b32_e64 v5, 6, s33
	v_lshrrev_b32_e64 v4, 6, s33
	v_add_u32_e32 v5, 16, v5
	v_add_u32_e32 v3, v4, v1
	;; [unrolled: 1-line block ×3, first 2 shown]
	buffer_load_dword v5, v4, s[0:3], 0 offen
	buffer_load_dword v6, v3, s[0:3], 0 offen
	s_andn2_b64 s[16:17], s[16:17], exec
	v_add_u32_e32 v3, 4, v0
	s_andn2_b64 s[10:11], s[10:11], exec
	s_waitcnt vmcnt(0)
	v_cmp_ge_i32_e32 vcc, v5, v6
	v_cndmask_b32_e64 v4, 0, 1, vcc
	v_cmp_lt_i32_e32 vcc, v5, v6
	v_lshl_add_u32 v4, v4, 2, v1
	v_min_i32_e32 v7, v5, v6
	v_cndmask_b32_e64 v5, 0, 1, vcc
	v_cmp_eq_u32_e32 vcc, 16, v4
	s_and_b64 s[20:21], vcc, exec
	v_lshl_add_u32 v2, v5, 2, v2
	s_or_b64 s[16:17], s[16:17], s[20:21]
	buffer_store_dword v7, v0, s[0:3], 0 offen
	s_branch .LBB10_1
.LBB10_4:
	s_or_b64 exec, exec, s[4:5]
	s_xor_b64 s[4:5], s[6:7], -1
	s_and_saveexec_b64 s[6:7], s[4:5]
	s_xor_b64 s[4:5], exec, s[6:7]
	s_cbranch_execz .LBB10_9
; %bb.5:
	v_cmp_ne_u32_e32 vcc, 16, v2
	s_and_saveexec_b64 s[6:7], vcc
	s_cbranch_execz .LBB10_8
; %bb.6:
	v_lshrrev_b32_e64 v5, 6, s33
	v_add_u32_e32 v5, 16, v5
	v_add_u32_e32 v4, v5, v2
	v_sub_u32_e32 v2, 16, v2
	s_mov_b32 s15, 0
	s_mov_b64 s[10:11], 0
.LBB10_7:                               ; =>This Inner Loop Header: Depth=1
	v_add_u32_e32 v5, s15, v4
	buffer_load_dword v5, v5, s[0:3], 0 offen
	v_add_u32_e32 v6, s15, v3
	s_add_i32 s15, s15, 4
	v_cmp_eq_u32_e32 vcc, s15, v2
	s_or_b64 s[10:11], vcc, s[10:11]
	s_waitcnt vmcnt(0)
	buffer_store_dword v5, v6, s[0:3], 0 offen
	s_andn2_b64 exec, exec, s[10:11]
	s_cbranch_execnz .LBB10_7
.LBB10_8:
	s_or_b64 exec, exec, s[6:7]
.LBB10_9:
	s_andn2_saveexec_b64 s[4:5], s[4:5]
	s_cbranch_execz .LBB10_13
; %bb.10:
	v_lshrrev_b32_e64 v3, 6, s33
	v_add_u32_e32 v2, v3, v1
	v_sub_u32_e32 v1, 16, v1
	s_mov_b32 s10, 0
	s_mov_b64 s[6:7], 0
.LBB10_11:                              ; =>This Inner Loop Header: Depth=1
	v_add_u32_e32 v3, s10, v2
	buffer_load_dword v3, v3, s[0:3], 0 offen
	v_add_u32_e32 v4, s10, v0
	s_add_i32 s10, s10, 4
	v_cmp_eq_u32_e32 vcc, s10, v1
	s_or_b64 s[6:7], vcc, s[6:7]
	s_waitcnt vmcnt(0)
	buffer_store_dword v3, v4, s[0:3], 0 offen
	s_andn2_b64 exec, exec, s[6:7]
	s_cbranch_execnz .LBB10_11
; %bb.12:
	s_or_b64 exec, exec, s[6:7]
.LBB10_13:
	s_or_b64 exec, exec, s[4:5]
	buffer_load_dword v0, off, s[0:3], s33 offset:56
	buffer_load_dword v1, off, s[0:3], s33 offset:60
	;; [unrolled: 1-line block ×8, first 2 shown]
	s_mov_b64 s[4:5], src_private_base
	v_mov_b32_e32 v8, 1
	v_lshrrev_b32_e64 v14, 6, s33
	v_mov_b32_e32 v9, 2
	v_mov_b32_e32 v10, 3
	;; [unrolled: 1-line block ×5, first 2 shown]
	v_add_u32_e32 v14, 32, v14
	v_lshrrev_b32_e64 v15, 6, s33
	buffer_store_dword v8, off, s[0:3], s33 offset:64
	buffer_store_dword v9, off, s[0:3], s33 offset:68
	;; [unrolled: 1-line block ×8, first 2 shown]
	v_mov_b32_e32 v8, s5
	v_add_u32_e32 v15, 64, v15
	buffer_store_dword v14, off, s[0:3], s33 offset:96
	buffer_store_dword v15, off, s[0:3], s33 offset:104
	;; [unrolled: 1-line block ×4, first 2 shown]
	s_waitcnt vmcnt(19)
	v_cmp_ne_u32_e32 vcc, 7, v0
	v_cndmask_b32_e64 v0, 0, 1, vcc
	s_waitcnt vmcnt(18)
	v_cmp_ne_u32_e32 vcc, 7, v1
	v_cndmask_b32_e64 v1, 0, 1, vcc
	;; [unrolled: 3-line block ×8, first 2 shown]
	v_lshlrev_b16_e32 v0, 2, v0
	v_lshlrev_b16_e32 v1, 3, v1
	;; [unrolled: 1-line block ×6, first 2 shown]
	v_or_b32_e32 v0, v1, v0
	v_or_b32_e32 v1, v3, v2
	v_or_b32_e32 v3, v7, v6
	v_or_b32_e32 v2, v5, v4
	v_and_b32_e32 v1, 3, v1
	v_and_b32_e32 v3, 3, v3
	v_or_b32_e32 v0, v1, v0
	v_or_b32_e32 v1, v3, v2
	v_lshlrev_b16_e32 v0, 4, v0
	v_and_b32_e32 v1, 15, v1
	v_or_b32_e32 v0, v1, v0
	v_mov_b32_e32 v1, 0
	v_cmp_ne_u16_sdwa s[4:5], v0, v1 src0_sel:BYTE_0 src1_sel:DWORD
	s_and_saveexec_b64 s[6:7], s[4:5]
	s_xor_b64 s[44:45], exec, s[6:7]
	s_cbranch_execz .LBB10_1575
; %bb.14:
	v_and_b32_e32 v0, 0x3ff, v31
	v_cmp_eq_u32_e32 vcc, 0, v0
	s_and_saveexec_b64 s[46:47], vcc
	s_cbranch_execz .LBB10_1574
; %bb.15:
	s_load_dwordx2 s[6:7], s[8:9], 0x50
	v_mbcnt_lo_u32_b32 v0, -1, 0
	v_mbcnt_hi_u32_b32 v32, -1, v0
	v_readfirstlane_b32 s4, v32
	v_mov_b32_e32 v5, 0
	v_mov_b32_e32 v6, 0
	v_cmp_eq_u32_e64 s[4:5], s4, v32
	s_and_saveexec_b64 s[10:11], s[4:5]
	s_cbranch_execz .LBB10_21
; %bb.16:
	v_mov_b32_e32 v0, 0
	s_waitcnt lgkmcnt(0)
	global_load_dwordx2 v[3:4], v0, s[6:7] offset:24 glc
	s_waitcnt vmcnt(0)
	buffer_wbinvl1_vol
	global_load_dwordx2 v[1:2], v0, s[6:7] offset:40
	global_load_dwordx2 v[5:6], v0, s[6:7]
	s_waitcnt vmcnt(1)
	v_and_b32_e32 v1, v1, v3
	v_and_b32_e32 v2, v2, v4
	v_mul_lo_u32 v2, v2, 24
	v_mul_hi_u32 v7, v1, 24
	v_mul_lo_u32 v1, v1, 24
	v_add_u32_e32 v2, v7, v2
	s_waitcnt vmcnt(0)
	v_add_co_u32_e32 v1, vcc, v5, v1
	v_addc_co_u32_e32 v2, vcc, v6, v2, vcc
	global_load_dwordx2 v[1:2], v[1:2], off glc
	s_waitcnt vmcnt(0)
	global_atomic_cmpswap_x2 v[5:6], v0, v[1:4], s[6:7] offset:24 glc
	s_waitcnt vmcnt(0)
	buffer_wbinvl1_vol
	v_cmp_ne_u64_e32 vcc, v[5:6], v[3:4]
	s_and_saveexec_b64 s[16:17], vcc
	s_cbranch_execz .LBB10_20
; %bb.17:
	s_mov_b64 s[18:19], 0
.LBB10_18:                              ; =>This Inner Loop Header: Depth=1
	s_sleep 1
	global_load_dwordx2 v[1:2], v0, s[6:7] offset:40
	global_load_dwordx2 v[7:8], v0, s[6:7]
	v_mov_b32_e32 v3, v5
	v_mov_b32_e32 v4, v6
	s_waitcnt vmcnt(1)
	v_and_b32_e32 v1, v1, v3
	s_waitcnt vmcnt(0)
	v_mad_u64_u32 v[5:6], s[20:21], v1, 24, v[7:8]
	v_and_b32_e32 v2, v2, v4
	v_mov_b32_e32 v1, v6
	v_mad_u64_u32 v[1:2], s[20:21], v2, 24, v[1:2]
	v_mov_b32_e32 v6, v1
	global_load_dwordx2 v[1:2], v[5:6], off glc
	s_waitcnt vmcnt(0)
	global_atomic_cmpswap_x2 v[5:6], v0, v[1:4], s[6:7] offset:24 glc
	s_waitcnt vmcnt(0)
	buffer_wbinvl1_vol
	v_cmp_eq_u64_e32 vcc, v[5:6], v[3:4]
	s_or_b64 s[18:19], vcc, s[18:19]
	s_andn2_b64 exec, exec, s[18:19]
	s_cbranch_execnz .LBB10_18
; %bb.19:
	s_or_b64 exec, exec, s[18:19]
.LBB10_20:
	s_or_b64 exec, exec, s[16:17]
.LBB10_21:
	s_or_b64 exec, exec, s[10:11]
	v_mov_b32_e32 v4, 0
	s_waitcnt lgkmcnt(0)
	global_load_dwordx2 v[7:8], v4, s[6:7] offset:40
	global_load_dwordx4 v[0:3], v4, s[6:7]
	v_readfirstlane_b32 s10, v5
	v_readfirstlane_b32 s11, v6
	s_mov_b64 s[16:17], exec
	s_waitcnt vmcnt(1)
	v_readfirstlane_b32 s18, v7
	v_readfirstlane_b32 s19, v8
	s_and_b64 s[18:19], s[10:11], s[18:19]
	s_mul_i32 s15, s19, 24
	s_mul_hi_u32 s20, s18, 24
	s_mul_i32 s21, s18, 24
	s_add_i32 s15, s20, s15
	v_mov_b32_e32 v5, s15
	s_waitcnt vmcnt(0)
	v_add_co_u32_e32 v7, vcc, s21, v0
	v_addc_co_u32_e32 v8, vcc, v1, v5, vcc
	s_and_saveexec_b64 s[20:21], s[4:5]
	s_cbranch_execz .LBB10_23
; %bb.22:
	v_mov_b32_e32 v9, s16
	v_mov_b32_e32 v10, s17
	;; [unrolled: 1-line block ×4, first 2 shown]
	global_store_dwordx4 v[7:8], v[9:12], off offset:8
.LBB10_23:
	s_or_b64 exec, exec, s[20:21]
	s_lshl_b64 s[16:17], s[18:19], 12
	v_mov_b32_e32 v5, s17
	v_add_co_u32_e32 v2, vcc, s16, v2
	v_addc_co_u32_e32 v11, vcc, v3, v5, vcc
	s_mov_b32 s16, 0
	v_lshlrev_b32_e32 v31, 6, v32
	v_mov_b32_e32 v3, 33
	v_mov_b32_e32 v5, v4
	;; [unrolled: 1-line block ×3, first 2 shown]
	v_readfirstlane_b32 s20, v2
	v_readfirstlane_b32 s21, v11
	v_add_co_u32_e32 v9, vcc, v2, v31
	s_mov_b32 s17, s16
	s_mov_b32 s18, s16
	;; [unrolled: 1-line block ×3, first 2 shown]
	s_nop 0
	global_store_dwordx4 v31, v[3:6], s[20:21]
	v_mov_b32_e32 v2, s16
	v_addc_co_u32_e32 v10, vcc, 0, v11, vcc
	v_mov_b32_e32 v3, s17
	v_mov_b32_e32 v4, s18
	;; [unrolled: 1-line block ×3, first 2 shown]
	global_store_dwordx4 v31, v[2:5], s[20:21] offset:16
	global_store_dwordx4 v31, v[2:5], s[20:21] offset:32
	global_store_dwordx4 v31, v[2:5], s[20:21] offset:48
	s_and_saveexec_b64 s[16:17], s[4:5]
	s_cbranch_execz .LBB10_31
; %bb.24:
	v_mov_b32_e32 v6, 0
	global_load_dwordx2 v[13:14], v6, s[6:7] offset:32 glc
	global_load_dwordx2 v[2:3], v6, s[6:7] offset:40
	v_mov_b32_e32 v11, s10
	v_mov_b32_e32 v12, s11
	s_waitcnt vmcnt(0)
	v_and_b32_e32 v2, s10, v2
	v_and_b32_e32 v3, s11, v3
	v_mul_lo_u32 v3, v3, 24
	v_mul_hi_u32 v4, v2, 24
	v_mul_lo_u32 v2, v2, 24
	v_add_u32_e32 v3, v4, v3
	v_add_co_u32_e32 v4, vcc, v0, v2
	v_addc_co_u32_e32 v5, vcc, v1, v3, vcc
	global_store_dwordx2 v[4:5], v[13:14], off
	s_waitcnt vmcnt(0)
	global_atomic_cmpswap_x2 v[2:3], v6, v[11:14], s[6:7] offset:32 glc
	s_waitcnt vmcnt(0)
	v_cmp_ne_u64_e32 vcc, v[2:3], v[13:14]
	s_and_saveexec_b64 s[18:19], vcc
	s_cbranch_execz .LBB10_27
; %bb.25:
	s_mov_b64 s[20:21], 0
.LBB10_26:                              ; =>This Inner Loop Header: Depth=1
	s_sleep 1
	global_store_dwordx2 v[4:5], v[2:3], off
	v_mov_b32_e32 v0, s10
	v_mov_b32_e32 v1, s11
	s_waitcnt vmcnt(0)
	global_atomic_cmpswap_x2 v[0:1], v6, v[0:3], s[6:7] offset:32 glc
	s_waitcnt vmcnt(0)
	v_cmp_eq_u64_e32 vcc, v[0:1], v[2:3]
	v_mov_b32_e32 v3, v1
	s_or_b64 s[20:21], vcc, s[20:21]
	v_mov_b32_e32 v2, v0
	s_andn2_b64 exec, exec, s[20:21]
	s_cbranch_execnz .LBB10_26
.LBB10_27:
	s_or_b64 exec, exec, s[18:19]
	v_mov_b32_e32 v3, 0
	global_load_dwordx2 v[0:1], v3, s[6:7] offset:16
	s_mov_b64 s[18:19], exec
	v_mbcnt_lo_u32_b32 v2, s18, 0
	v_mbcnt_hi_u32_b32 v2, s19, v2
	v_cmp_eq_u32_e32 vcc, 0, v2
	s_and_saveexec_b64 s[20:21], vcc
	s_cbranch_execz .LBB10_29
; %bb.28:
	s_bcnt1_i32_b64 s15, s[18:19]
	v_mov_b32_e32 v2, s15
	s_waitcnt vmcnt(0)
	global_atomic_add_x2 v[0:1], v[2:3], off offset:8
.LBB10_29:
	s_or_b64 exec, exec, s[20:21]
	s_waitcnt vmcnt(0)
	global_load_dwordx2 v[2:3], v[0:1], off offset:16
	s_waitcnt vmcnt(0)
	v_cmp_eq_u64_e32 vcc, 0, v[2:3]
	s_cbranch_vccnz .LBB10_31
; %bb.30:
	global_load_dword v0, v[0:1], off offset:24
	v_mov_b32_e32 v1, 0
	s_waitcnt vmcnt(0)
	global_store_dwordx2 v[2:3], v[0:1], off
	v_and_b32_e32 v0, 0xffffff, v0
	v_readfirstlane_b32 m0, v0
	s_sendmsg sendmsg(MSG_INTERRUPT)
.LBB10_31:
	s_or_b64 exec, exec, s[16:17]
	s_branch .LBB10_35
.LBB10_32:                              ;   in Loop: Header=BB10_35 Depth=1
	s_or_b64 exec, exec, s[16:17]
	v_readfirstlane_b32 s15, v0
	s_cmp_eq_u32 s15, 0
	s_cbranch_scc1 .LBB10_34
; %bb.33:                               ;   in Loop: Header=BB10_35 Depth=1
	s_sleep 1
	s_cbranch_execnz .LBB10_35
	s_branch .LBB10_37
.LBB10_34:
	s_branch .LBB10_37
.LBB10_35:                              ; =>This Inner Loop Header: Depth=1
	v_mov_b32_e32 v0, 1
	s_and_saveexec_b64 s[16:17], s[4:5]
	s_cbranch_execz .LBB10_32
; %bb.36:                               ;   in Loop: Header=BB10_35 Depth=1
	global_load_dword v0, v[7:8], off offset:20 glc
	s_waitcnt vmcnt(0)
	buffer_wbinvl1_vol
	v_and_b32_e32 v0, 1, v0
	s_branch .LBB10_32
.LBB10_37:
	global_load_dwordx2 v[4:5], v[9:10], off
	s_and_saveexec_b64 s[16:17], s[4:5]
	s_cbranch_execz .LBB10_40
; %bb.38:
	v_mov_b32_e32 v8, 0
	global_load_dwordx2 v[2:3], v8, s[6:7] offset:40
	global_load_dwordx2 v[9:10], v8, s[6:7] offset:24 glc
	global_load_dwordx2 v[6:7], v8, s[6:7]
	v_mov_b32_e32 v1, s11
	s_mov_b64 s[4:5], 0
	s_waitcnt vmcnt(2)
	v_add_co_u32_e32 v11, vcc, 1, v2
	v_addc_co_u32_e32 v12, vcc, 0, v3, vcc
	v_add_co_u32_e32 v0, vcc, s10, v11
	v_addc_co_u32_e32 v1, vcc, v12, v1, vcc
	v_cmp_eq_u64_e32 vcc, 0, v[0:1]
	v_cndmask_b32_e32 v1, v1, v12, vcc
	v_cndmask_b32_e32 v0, v0, v11, vcc
	v_and_b32_e32 v3, v1, v3
	v_and_b32_e32 v2, v0, v2
	v_mul_lo_u32 v3, v3, 24
	v_mul_hi_u32 v11, v2, 24
	v_mul_lo_u32 v12, v2, 24
	s_waitcnt vmcnt(1)
	v_mov_b32_e32 v2, v9
	v_add_u32_e32 v3, v11, v3
	s_waitcnt vmcnt(0)
	v_add_co_u32_e32 v6, vcc, v6, v12
	v_addc_co_u32_e32 v7, vcc, v7, v3, vcc
	global_store_dwordx2 v[6:7], v[9:10], off
	v_mov_b32_e32 v3, v10
	s_waitcnt vmcnt(0)
	global_atomic_cmpswap_x2 v[2:3], v8, v[0:3], s[6:7] offset:24 glc
	s_waitcnt vmcnt(0)
	v_cmp_ne_u64_e32 vcc, v[2:3], v[9:10]
	s_and_b64 exec, exec, vcc
	s_cbranch_execz .LBB10_40
.LBB10_39:                              ; =>This Inner Loop Header: Depth=1
	s_sleep 1
	global_store_dwordx2 v[6:7], v[2:3], off
	s_waitcnt vmcnt(0)
	global_atomic_cmpswap_x2 v[9:10], v8, v[0:3], s[6:7] offset:24 glc
	s_waitcnt vmcnt(0)
	v_cmp_eq_u64_e32 vcc, v[9:10], v[2:3]
	v_mov_b32_e32 v2, v9
	s_or_b64 s[4:5], vcc, s[4:5]
	v_mov_b32_e32 v3, v10
	s_andn2_b64 exec, exec, s[4:5]
	s_cbranch_execnz .LBB10_39
.LBB10_40:
	s_or_b64 exec, exec, s[16:17]
	s_getpc_b64 s[16:17]
	s_add_u32 s16, s16, .str.5@rel32@lo+4
	s_addc_u32 s17, s17, .str.5@rel32@hi+12
	s_cmp_lg_u64 s[16:17], 0
	s_cselect_b64 s[10:11], -1, 0
	s_and_b64 vcc, exec, s[10:11]
	s_cbranch_vccz .LBB10_125
; %bb.41:
	s_waitcnt vmcnt(0)
	v_and_b32_e32 v29, 2, v4
	v_mov_b32_e32 v26, 0
	v_and_b32_e32 v0, -3, v4
	v_mov_b32_e32 v1, v5
	s_mov_b64 s[18:19], 3
	v_mov_b32_e32 v8, 2
	v_mov_b32_e32 v9, 1
	s_branch .LBB10_43
.LBB10_42:                              ;   in Loop: Header=BB10_43 Depth=1
	s_or_b64 exec, exec, s[24:25]
	s_sub_u32 s18, s18, s20
	s_subb_u32 s19, s19, s21
	s_add_u32 s16, s16, s20
	s_addc_u32 s17, s17, s21
	s_cmp_lg_u64 s[18:19], 0
	s_cbranch_scc0 .LBB10_124
.LBB10_43:                              ; =>This Loop Header: Depth=1
                                        ;     Child Loop BB10_46 Depth 2
                                        ;     Child Loop BB10_53 Depth 2
	;; [unrolled: 1-line block ×11, first 2 shown]
	v_cmp_lt_u64_e64 s[4:5], s[18:19], 56
	v_cmp_gt_u64_e64 s[22:23], s[18:19], 7
	s_and_b64 s[4:5], s[4:5], exec
	s_cselect_b32 s21, s19, 0
	s_cselect_b32 s20, s18, 56
	s_and_b64 vcc, exec, s[22:23]
	s_cbranch_vccnz .LBB10_48
; %bb.44:                               ;   in Loop: Header=BB10_43 Depth=1
	s_waitcnt vmcnt(0)
	v_mov_b32_e32 v2, 0
	s_cmp_eq_u64 s[18:19], 0
	v_mov_b32_e32 v3, 0
	s_mov_b64 s[4:5], 0
	s_cbranch_scc1 .LBB10_47
; %bb.45:                               ;   in Loop: Header=BB10_43 Depth=1
	v_mov_b32_e32 v2, 0
	s_lshl_b64 s[22:23], s[20:21], 3
	s_mov_b64 s[24:25], 0
	v_mov_b32_e32 v3, 0
	s_mov_b64 s[26:27], s[16:17]
.LBB10_46:                              ;   Parent Loop BB10_43 Depth=1
                                        ; =>  This Inner Loop Header: Depth=2
	global_load_ubyte v6, v26, s[26:27]
	s_waitcnt vmcnt(0)
	v_and_b32_e32 v25, 0xffff, v6
	v_lshlrev_b64 v[6:7], s24, v[25:26]
	s_add_u32 s24, s24, 8
	s_addc_u32 s25, s25, 0
	s_add_u32 s26, s26, 1
	s_addc_u32 s27, s27, 0
	v_or_b32_e32 v2, v6, v2
	s_cmp_lg_u32 s22, s24
	v_or_b32_e32 v3, v7, v3
	s_cbranch_scc1 .LBB10_46
.LBB10_47:                              ;   in Loop: Header=BB10_43 Depth=1
	s_mov_b32 s15, 0
	s_andn2_b64 vcc, exec, s[4:5]
	s_mov_b64 s[4:5], s[16:17]
	s_cbranch_vccz .LBB10_49
	s_branch .LBB10_50
.LBB10_48:                              ;   in Loop: Header=BB10_43 Depth=1
                                        ; implicit-def: $vgpr2_vgpr3
                                        ; implicit-def: $sgpr15
	s_mov_b64 s[4:5], s[16:17]
.LBB10_49:                              ;   in Loop: Header=BB10_43 Depth=1
	global_load_dwordx2 v[2:3], v26, s[16:17]
	s_add_i32 s15, s20, -8
	s_add_u32 s4, s16, 8
	s_addc_u32 s5, s17, 0
.LBB10_50:                              ;   in Loop: Header=BB10_43 Depth=1
	s_cmp_gt_u32 s15, 7
	s_cbranch_scc1 .LBB10_54
; %bb.51:                               ;   in Loop: Header=BB10_43 Depth=1
	s_cmp_eq_u32 s15, 0
	s_cbranch_scc1 .LBB10_55
; %bb.52:                               ;   in Loop: Header=BB10_43 Depth=1
	v_mov_b32_e32 v10, 0
	s_mov_b64 s[22:23], 0
	v_mov_b32_e32 v11, 0
	s_mov_b64 s[24:25], 0
.LBB10_53:                              ;   Parent Loop BB10_43 Depth=1
                                        ; =>  This Inner Loop Header: Depth=2
	s_add_u32 s26, s4, s24
	s_addc_u32 s27, s5, s25
	global_load_ubyte v6, v26, s[26:27]
	s_add_u32 s24, s24, 1
	s_addc_u32 s25, s25, 0
	s_waitcnt vmcnt(0)
	v_and_b32_e32 v25, 0xffff, v6
	v_lshlrev_b64 v[6:7], s22, v[25:26]
	s_add_u32 s22, s22, 8
	s_addc_u32 s23, s23, 0
	v_or_b32_e32 v10, v6, v10
	s_cmp_lg_u32 s15, s24
	v_or_b32_e32 v11, v7, v11
	s_cbranch_scc1 .LBB10_53
	s_branch .LBB10_56
.LBB10_54:                              ;   in Loop: Header=BB10_43 Depth=1
                                        ; implicit-def: $vgpr10_vgpr11
                                        ; implicit-def: $sgpr26
	s_branch .LBB10_57
.LBB10_55:                              ;   in Loop: Header=BB10_43 Depth=1
	v_mov_b32_e32 v10, 0
	v_mov_b32_e32 v11, 0
.LBB10_56:                              ;   in Loop: Header=BB10_43 Depth=1
	s_mov_b32 s26, 0
	s_cbranch_execnz .LBB10_58
.LBB10_57:                              ;   in Loop: Header=BB10_43 Depth=1
	global_load_dwordx2 v[10:11], v26, s[4:5]
	s_add_i32 s26, s15, -8
	s_add_u32 s4, s4, 8
	s_addc_u32 s5, s5, 0
.LBB10_58:                              ;   in Loop: Header=BB10_43 Depth=1
	s_cmp_gt_u32 s26, 7
	s_cbranch_scc1 .LBB10_62
; %bb.59:                               ;   in Loop: Header=BB10_43 Depth=1
	s_cmp_eq_u32 s26, 0
	s_cbranch_scc1 .LBB10_63
; %bb.60:                               ;   in Loop: Header=BB10_43 Depth=1
	v_mov_b32_e32 v12, 0
	s_mov_b64 s[22:23], 0
	v_mov_b32_e32 v13, 0
	s_mov_b64 s[24:25], 0
.LBB10_61:                              ;   Parent Loop BB10_43 Depth=1
                                        ; =>  This Inner Loop Header: Depth=2
	s_add_u32 s28, s4, s24
	s_addc_u32 s29, s5, s25
	global_load_ubyte v6, v26, s[28:29]
	s_add_u32 s24, s24, 1
	s_addc_u32 s25, s25, 0
	s_waitcnt vmcnt(0)
	v_and_b32_e32 v25, 0xffff, v6
	v_lshlrev_b64 v[6:7], s22, v[25:26]
	s_add_u32 s22, s22, 8
	s_addc_u32 s23, s23, 0
	v_or_b32_e32 v12, v6, v12
	s_cmp_lg_u32 s26, s24
	v_or_b32_e32 v13, v7, v13
	s_cbranch_scc1 .LBB10_61
	s_branch .LBB10_64
.LBB10_62:                              ;   in Loop: Header=BB10_43 Depth=1
                                        ; implicit-def: $sgpr15
	s_branch .LBB10_65
.LBB10_63:                              ;   in Loop: Header=BB10_43 Depth=1
	v_mov_b32_e32 v12, 0
	v_mov_b32_e32 v13, 0
.LBB10_64:                              ;   in Loop: Header=BB10_43 Depth=1
	s_mov_b32 s15, 0
	s_cbranch_execnz .LBB10_66
.LBB10_65:                              ;   in Loop: Header=BB10_43 Depth=1
	global_load_dwordx2 v[12:13], v26, s[4:5]
	s_add_i32 s15, s26, -8
	s_add_u32 s4, s4, 8
	s_addc_u32 s5, s5, 0
.LBB10_66:                              ;   in Loop: Header=BB10_43 Depth=1
	s_cmp_gt_u32 s15, 7
	s_cbranch_scc1 .LBB10_70
; %bb.67:                               ;   in Loop: Header=BB10_43 Depth=1
	s_cmp_eq_u32 s15, 0
	s_cbranch_scc1 .LBB10_71
; %bb.68:                               ;   in Loop: Header=BB10_43 Depth=1
	v_mov_b32_e32 v14, 0
	s_mov_b64 s[22:23], 0
	v_mov_b32_e32 v15, 0
	s_mov_b64 s[24:25], 0
.LBB10_69:                              ;   Parent Loop BB10_43 Depth=1
                                        ; =>  This Inner Loop Header: Depth=2
	s_add_u32 s26, s4, s24
	s_addc_u32 s27, s5, s25
	global_load_ubyte v6, v26, s[26:27]
	s_add_u32 s24, s24, 1
	s_addc_u32 s25, s25, 0
	s_waitcnt vmcnt(0)
	v_and_b32_e32 v25, 0xffff, v6
	v_lshlrev_b64 v[6:7], s22, v[25:26]
	s_add_u32 s22, s22, 8
	s_addc_u32 s23, s23, 0
	v_or_b32_e32 v14, v6, v14
	s_cmp_lg_u32 s15, s24
	v_or_b32_e32 v15, v7, v15
	s_cbranch_scc1 .LBB10_69
	s_branch .LBB10_72
.LBB10_70:                              ;   in Loop: Header=BB10_43 Depth=1
                                        ; implicit-def: $vgpr14_vgpr15
                                        ; implicit-def: $sgpr26
	s_branch .LBB10_73
.LBB10_71:                              ;   in Loop: Header=BB10_43 Depth=1
	v_mov_b32_e32 v14, 0
	v_mov_b32_e32 v15, 0
.LBB10_72:                              ;   in Loop: Header=BB10_43 Depth=1
	s_mov_b32 s26, 0
	s_cbranch_execnz .LBB10_74
.LBB10_73:                              ;   in Loop: Header=BB10_43 Depth=1
	global_load_dwordx2 v[14:15], v26, s[4:5]
	s_add_i32 s26, s15, -8
	s_add_u32 s4, s4, 8
	s_addc_u32 s5, s5, 0
.LBB10_74:                              ;   in Loop: Header=BB10_43 Depth=1
	s_cmp_gt_u32 s26, 7
	s_cbranch_scc1 .LBB10_78
; %bb.75:                               ;   in Loop: Header=BB10_43 Depth=1
	s_cmp_eq_u32 s26, 0
	s_cbranch_scc1 .LBB10_79
; %bb.76:                               ;   in Loop: Header=BB10_43 Depth=1
	v_mov_b32_e32 v16, 0
	s_mov_b64 s[22:23], 0
	v_mov_b32_e32 v17, 0
	s_mov_b64 s[24:25], 0
.LBB10_77:                              ;   Parent Loop BB10_43 Depth=1
                                        ; =>  This Inner Loop Header: Depth=2
	s_add_u32 s28, s4, s24
	s_addc_u32 s29, s5, s25
	global_load_ubyte v6, v26, s[28:29]
	s_add_u32 s24, s24, 1
	s_addc_u32 s25, s25, 0
	s_waitcnt vmcnt(0)
	v_and_b32_e32 v25, 0xffff, v6
	v_lshlrev_b64 v[6:7], s22, v[25:26]
	s_add_u32 s22, s22, 8
	s_addc_u32 s23, s23, 0
	v_or_b32_e32 v16, v6, v16
	s_cmp_lg_u32 s26, s24
	v_or_b32_e32 v17, v7, v17
	s_cbranch_scc1 .LBB10_77
	s_branch .LBB10_80
.LBB10_78:                              ;   in Loop: Header=BB10_43 Depth=1
                                        ; implicit-def: $sgpr15
	s_branch .LBB10_81
.LBB10_79:                              ;   in Loop: Header=BB10_43 Depth=1
	v_mov_b32_e32 v16, 0
	v_mov_b32_e32 v17, 0
.LBB10_80:                              ;   in Loop: Header=BB10_43 Depth=1
	s_mov_b32 s15, 0
	s_cbranch_execnz .LBB10_82
.LBB10_81:                              ;   in Loop: Header=BB10_43 Depth=1
	global_load_dwordx2 v[16:17], v26, s[4:5]
	s_add_i32 s15, s26, -8
	s_add_u32 s4, s4, 8
	s_addc_u32 s5, s5, 0
.LBB10_82:                              ;   in Loop: Header=BB10_43 Depth=1
	s_cmp_gt_u32 s15, 7
	s_cbranch_scc1 .LBB10_86
; %bb.83:                               ;   in Loop: Header=BB10_43 Depth=1
	s_cmp_eq_u32 s15, 0
	s_cbranch_scc1 .LBB10_87
; %bb.84:                               ;   in Loop: Header=BB10_43 Depth=1
	v_mov_b32_e32 v18, 0
	s_mov_b64 s[22:23], 0
	v_mov_b32_e32 v19, 0
	s_mov_b64 s[24:25], 0
.LBB10_85:                              ;   Parent Loop BB10_43 Depth=1
                                        ; =>  This Inner Loop Header: Depth=2
	s_add_u32 s26, s4, s24
	s_addc_u32 s27, s5, s25
	global_load_ubyte v6, v26, s[26:27]
	s_add_u32 s24, s24, 1
	s_addc_u32 s25, s25, 0
	s_waitcnt vmcnt(0)
	v_and_b32_e32 v25, 0xffff, v6
	v_lshlrev_b64 v[6:7], s22, v[25:26]
	s_add_u32 s22, s22, 8
	s_addc_u32 s23, s23, 0
	v_or_b32_e32 v18, v6, v18
	s_cmp_lg_u32 s15, s24
	v_or_b32_e32 v19, v7, v19
	s_cbranch_scc1 .LBB10_85
	s_branch .LBB10_88
.LBB10_86:                              ;   in Loop: Header=BB10_43 Depth=1
                                        ; implicit-def: $vgpr18_vgpr19
                                        ; implicit-def: $sgpr26
	s_branch .LBB10_89
.LBB10_87:                              ;   in Loop: Header=BB10_43 Depth=1
	v_mov_b32_e32 v18, 0
	v_mov_b32_e32 v19, 0
.LBB10_88:                              ;   in Loop: Header=BB10_43 Depth=1
	s_mov_b32 s26, 0
	s_cbranch_execnz .LBB10_90
.LBB10_89:                              ;   in Loop: Header=BB10_43 Depth=1
	global_load_dwordx2 v[18:19], v26, s[4:5]
	s_add_i32 s26, s15, -8
	s_add_u32 s4, s4, 8
	s_addc_u32 s5, s5, 0
.LBB10_90:                              ;   in Loop: Header=BB10_43 Depth=1
	s_cmp_gt_u32 s26, 7
	s_cbranch_scc1 .LBB10_94
; %bb.91:                               ;   in Loop: Header=BB10_43 Depth=1
	s_cmp_eq_u32 s26, 0
	s_cbranch_scc1 .LBB10_95
; %bb.92:                               ;   in Loop: Header=BB10_43 Depth=1
	v_mov_b32_e32 v20, 0
	s_mov_b64 s[22:23], 0
	v_mov_b32_e32 v21, 0
	s_mov_b64 s[24:25], s[4:5]
.LBB10_93:                              ;   Parent Loop BB10_43 Depth=1
                                        ; =>  This Inner Loop Header: Depth=2
	global_load_ubyte v6, v26, s[24:25]
	s_add_i32 s26, s26, -1
	s_waitcnt vmcnt(0)
	v_and_b32_e32 v25, 0xffff, v6
	v_lshlrev_b64 v[6:7], s22, v[25:26]
	s_add_u32 s22, s22, 8
	s_addc_u32 s23, s23, 0
	s_add_u32 s24, s24, 1
	s_addc_u32 s25, s25, 0
	v_or_b32_e32 v20, v6, v20
	s_cmp_lg_u32 s26, 0
	v_or_b32_e32 v21, v7, v21
	s_cbranch_scc1 .LBB10_93
	s_branch .LBB10_96
.LBB10_94:                              ;   in Loop: Header=BB10_43 Depth=1
	s_branch .LBB10_97
.LBB10_95:                              ;   in Loop: Header=BB10_43 Depth=1
	v_mov_b32_e32 v20, 0
	v_mov_b32_e32 v21, 0
.LBB10_96:                              ;   in Loop: Header=BB10_43 Depth=1
	s_cbranch_execnz .LBB10_98
.LBB10_97:                              ;   in Loop: Header=BB10_43 Depth=1
	global_load_dwordx2 v[20:21], v26, s[4:5]
.LBB10_98:                              ;   in Loop: Header=BB10_43 Depth=1
	v_readfirstlane_b32 s4, v32
	v_mov_b32_e32 v6, 0
	v_mov_b32_e32 v7, 0
	v_cmp_eq_u32_e64 s[4:5], s4, v32
	s_and_saveexec_b64 s[22:23], s[4:5]
	s_cbranch_execz .LBB10_104
; %bb.99:                               ;   in Loop: Header=BB10_43 Depth=1
	global_load_dwordx2 v[24:25], v26, s[6:7] offset:24 glc
	s_waitcnt vmcnt(0)
	buffer_wbinvl1_vol
	global_load_dwordx2 v[6:7], v26, s[6:7] offset:40
	global_load_dwordx2 v[22:23], v26, s[6:7]
	s_waitcnt vmcnt(1)
	v_and_b32_e32 v6, v6, v24
	v_and_b32_e32 v7, v7, v25
	v_mul_lo_u32 v7, v7, 24
	v_mul_hi_u32 v27, v6, 24
	v_mul_lo_u32 v6, v6, 24
	v_add_u32_e32 v7, v27, v7
	s_waitcnt vmcnt(0)
	v_add_co_u32_e32 v6, vcc, v22, v6
	v_addc_co_u32_e32 v7, vcc, v23, v7, vcc
	global_load_dwordx2 v[22:23], v[6:7], off glc
	s_waitcnt vmcnt(0)
	global_atomic_cmpswap_x2 v[6:7], v26, v[22:25], s[6:7] offset:24 glc
	s_waitcnt vmcnt(0)
	buffer_wbinvl1_vol
	v_cmp_ne_u64_e32 vcc, v[6:7], v[24:25]
	s_and_saveexec_b64 s[24:25], vcc
	s_cbranch_execz .LBB10_103
; %bb.100:                              ;   in Loop: Header=BB10_43 Depth=1
	s_mov_b64 s[26:27], 0
.LBB10_101:                             ;   Parent Loop BB10_43 Depth=1
                                        ; =>  This Inner Loop Header: Depth=2
	s_sleep 1
	global_load_dwordx2 v[22:23], v26, s[6:7] offset:40
	global_load_dwordx2 v[27:28], v26, s[6:7]
	v_mov_b32_e32 v25, v7
	v_mov_b32_e32 v24, v6
	s_waitcnt vmcnt(1)
	v_and_b32_e32 v6, v22, v24
	s_waitcnt vmcnt(0)
	v_mad_u64_u32 v[6:7], s[28:29], v6, 24, v[27:28]
	v_and_b32_e32 v22, v23, v25
	v_mad_u64_u32 v[22:23], s[28:29], v22, 24, v[7:8]
	v_mov_b32_e32 v7, v22
	global_load_dwordx2 v[22:23], v[6:7], off glc
	s_waitcnt vmcnt(0)
	global_atomic_cmpswap_x2 v[6:7], v26, v[22:25], s[6:7] offset:24 glc
	s_waitcnt vmcnt(0)
	buffer_wbinvl1_vol
	v_cmp_eq_u64_e32 vcc, v[6:7], v[24:25]
	s_or_b64 s[26:27], vcc, s[26:27]
	s_andn2_b64 exec, exec, s[26:27]
	s_cbranch_execnz .LBB10_101
; %bb.102:                              ;   in Loop: Header=BB10_43 Depth=1
	s_or_b64 exec, exec, s[26:27]
.LBB10_103:                             ;   in Loop: Header=BB10_43 Depth=1
	s_or_b64 exec, exec, s[24:25]
.LBB10_104:                             ;   in Loop: Header=BB10_43 Depth=1
	s_or_b64 exec, exec, s[22:23]
	global_load_dwordx2 v[27:28], v26, s[6:7] offset:40
	global_load_dwordx4 v[22:25], v26, s[6:7]
	v_readfirstlane_b32 s22, v6
	v_readfirstlane_b32 s23, v7
	s_mov_b64 s[24:25], exec
	s_waitcnt vmcnt(1)
	v_readfirstlane_b32 s26, v27
	v_readfirstlane_b32 s27, v28
	s_and_b64 s[26:27], s[22:23], s[26:27]
	s_mul_i32 s15, s27, 24
	s_mul_hi_u32 s28, s26, 24
	s_mul_i32 s29, s26, 24
	s_add_i32 s15, s28, s15
	v_mov_b32_e32 v6, s15
	s_waitcnt vmcnt(0)
	v_add_co_u32_e32 v27, vcc, s29, v22
	v_addc_co_u32_e32 v28, vcc, v23, v6, vcc
	s_and_saveexec_b64 s[28:29], s[4:5]
	s_cbranch_execz .LBB10_106
; %bb.105:                              ;   in Loop: Header=BB10_43 Depth=1
	v_mov_b32_e32 v6, s24
	v_mov_b32_e32 v7, s25
	global_store_dwordx4 v[27:28], v[6:9], off offset:8
.LBB10_106:                             ;   in Loop: Header=BB10_43 Depth=1
	s_or_b64 exec, exec, s[28:29]
	s_lshl_b64 s[24:25], s[26:27], 12
	v_mov_b32_e32 v6, s25
	v_add_co_u32_e32 v24, vcc, s24, v24
	v_addc_co_u32_e32 v30, vcc, v25, v6, vcc
	v_cmp_gt_u64_e64 vcc, s[18:19], 56
	v_or_b32_e32 v7, v0, v29
	s_lshl_b32 s15, s20, 2
	v_cndmask_b32_e32 v0, v7, v0, vcc
	s_add_i32 s15, s15, 28
	v_or_b32_e32 v6, 0, v1
	s_and_b32 s15, s15, 0x1e0
	v_and_b32_e32 v0, 0xffffff1f, v0
	v_cndmask_b32_e32 v1, v6, v1, vcc
	v_or_b32_e32 v0, s15, v0
	v_readfirstlane_b32 s24, v24
	v_readfirstlane_b32 s25, v30
	s_nop 4
	global_store_dwordx4 v31, v[0:3], s[24:25]
	global_store_dwordx4 v31, v[10:13], s[24:25] offset:16
	global_store_dwordx4 v31, v[14:17], s[24:25] offset:32
	;; [unrolled: 1-line block ×3, first 2 shown]
	s_and_saveexec_b64 s[24:25], s[4:5]
	s_cbranch_execz .LBB10_114
; %bb.107:                              ;   in Loop: Header=BB10_43 Depth=1
	global_load_dwordx2 v[12:13], v26, s[6:7] offset:32 glc
	global_load_dwordx2 v[0:1], v26, s[6:7] offset:40
	v_mov_b32_e32 v10, s22
	v_mov_b32_e32 v11, s23
	s_waitcnt vmcnt(0)
	v_readfirstlane_b32 s26, v0
	v_readfirstlane_b32 s27, v1
	s_and_b64 s[26:27], s[26:27], s[22:23]
	s_mul_i32 s15, s27, 24
	s_mul_hi_u32 s27, s26, 24
	s_mul_i32 s26, s26, 24
	s_add_i32 s15, s27, s15
	v_mov_b32_e32 v0, s15
	v_add_co_u32_e32 v6, vcc, s26, v22
	v_addc_co_u32_e32 v7, vcc, v23, v0, vcc
	global_store_dwordx2 v[6:7], v[12:13], off
	s_waitcnt vmcnt(0)
	global_atomic_cmpswap_x2 v[2:3], v26, v[10:13], s[6:7] offset:32 glc
	s_waitcnt vmcnt(0)
	v_cmp_ne_u64_e32 vcc, v[2:3], v[12:13]
	s_and_saveexec_b64 s[26:27], vcc
	s_cbranch_execz .LBB10_110
; %bb.108:                              ;   in Loop: Header=BB10_43 Depth=1
	s_mov_b64 s[28:29], 0
.LBB10_109:                             ;   Parent Loop BB10_43 Depth=1
                                        ; =>  This Inner Loop Header: Depth=2
	s_sleep 1
	global_store_dwordx2 v[6:7], v[2:3], off
	v_mov_b32_e32 v0, s22
	v_mov_b32_e32 v1, s23
	s_waitcnt vmcnt(0)
	global_atomic_cmpswap_x2 v[0:1], v26, v[0:3], s[6:7] offset:32 glc
	s_waitcnt vmcnt(0)
	v_cmp_eq_u64_e32 vcc, v[0:1], v[2:3]
	v_mov_b32_e32 v3, v1
	s_or_b64 s[28:29], vcc, s[28:29]
	v_mov_b32_e32 v2, v0
	s_andn2_b64 exec, exec, s[28:29]
	s_cbranch_execnz .LBB10_109
.LBB10_110:                             ;   in Loop: Header=BB10_43 Depth=1
	s_or_b64 exec, exec, s[26:27]
	global_load_dwordx2 v[0:1], v26, s[6:7] offset:16
	s_mov_b64 s[28:29], exec
	v_mbcnt_lo_u32_b32 v2, s28, 0
	v_mbcnt_hi_u32_b32 v2, s29, v2
	v_cmp_eq_u32_e32 vcc, 0, v2
	s_and_saveexec_b64 s[26:27], vcc
	s_cbranch_execz .LBB10_112
; %bb.111:                              ;   in Loop: Header=BB10_43 Depth=1
	s_bcnt1_i32_b64 s15, s[28:29]
	v_mov_b32_e32 v25, s15
	s_waitcnt vmcnt(0)
	global_atomic_add_x2 v[0:1], v[25:26], off offset:8
.LBB10_112:                             ;   in Loop: Header=BB10_43 Depth=1
	s_or_b64 exec, exec, s[26:27]
	s_waitcnt vmcnt(0)
	global_load_dwordx2 v[2:3], v[0:1], off offset:16
	s_waitcnt vmcnt(0)
	v_cmp_eq_u64_e32 vcc, 0, v[2:3]
	s_cbranch_vccnz .LBB10_114
; %bb.113:                              ;   in Loop: Header=BB10_43 Depth=1
	global_load_dword v25, v[0:1], off offset:24
	s_waitcnt vmcnt(0)
	v_and_b32_e32 v0, 0xffffff, v25
	v_readfirstlane_b32 m0, v0
	global_store_dwordx2 v[2:3], v[25:26], off
	s_sendmsg sendmsg(MSG_INTERRUPT)
.LBB10_114:                             ;   in Loop: Header=BB10_43 Depth=1
	s_or_b64 exec, exec, s[24:25]
	v_add_co_u32_e32 v0, vcc, v24, v31
	v_addc_co_u32_e32 v1, vcc, 0, v30, vcc
	s_branch .LBB10_118
.LBB10_115:                             ;   in Loop: Header=BB10_118 Depth=2
	s_or_b64 exec, exec, s[24:25]
	v_readfirstlane_b32 s15, v2
	s_cmp_eq_u32 s15, 0
	s_cbranch_scc1 .LBB10_117
; %bb.116:                              ;   in Loop: Header=BB10_118 Depth=2
	s_sleep 1
	s_cbranch_execnz .LBB10_118
	s_branch .LBB10_120
.LBB10_117:                             ;   in Loop: Header=BB10_43 Depth=1
	s_branch .LBB10_120
.LBB10_118:                             ;   Parent Loop BB10_43 Depth=1
                                        ; =>  This Inner Loop Header: Depth=2
	v_mov_b32_e32 v2, 1
	s_and_saveexec_b64 s[24:25], s[4:5]
	s_cbranch_execz .LBB10_115
; %bb.119:                              ;   in Loop: Header=BB10_118 Depth=2
	global_load_dword v2, v[27:28], off offset:20 glc
	s_waitcnt vmcnt(0)
	buffer_wbinvl1_vol
	v_and_b32_e32 v2, 1, v2
	s_branch .LBB10_115
.LBB10_120:                             ;   in Loop: Header=BB10_43 Depth=1
	global_load_dwordx4 v[0:3], v[0:1], off
	s_and_saveexec_b64 s[24:25], s[4:5]
	s_cbranch_execz .LBB10_42
; %bb.121:                              ;   in Loop: Header=BB10_43 Depth=1
	global_load_dwordx2 v[2:3], v26, s[6:7] offset:40
	global_load_dwordx2 v[6:7], v26, s[6:7] offset:24 glc
	global_load_dwordx2 v[13:14], v26, s[6:7]
	v_mov_b32_e32 v11, s23
	s_waitcnt vmcnt(2)
	v_add_co_u32_e32 v12, vcc, 1, v2
	v_addc_co_u32_e32 v15, vcc, 0, v3, vcc
	v_add_co_u32_e32 v10, vcc, s22, v12
	v_addc_co_u32_e32 v11, vcc, v15, v11, vcc
	v_cmp_eq_u64_e32 vcc, 0, v[10:11]
	v_cndmask_b32_e32 v11, v11, v15, vcc
	v_cndmask_b32_e32 v10, v10, v12, vcc
	v_and_b32_e32 v3, v11, v3
	v_and_b32_e32 v2, v10, v2
	v_mul_lo_u32 v3, v3, 24
	v_mul_hi_u32 v15, v2, 24
	v_mul_lo_u32 v2, v2, 24
	s_waitcnt vmcnt(1)
	v_mov_b32_e32 v12, v6
	v_add_u32_e32 v3, v15, v3
	s_waitcnt vmcnt(0)
	v_add_co_u32_e32 v2, vcc, v13, v2
	v_addc_co_u32_e32 v3, vcc, v14, v3, vcc
	global_store_dwordx2 v[2:3], v[6:7], off
	v_mov_b32_e32 v13, v7
	s_waitcnt vmcnt(0)
	global_atomic_cmpswap_x2 v[12:13], v26, v[10:13], s[6:7] offset:24 glc
	s_waitcnt vmcnt(0)
	v_cmp_ne_u64_e32 vcc, v[12:13], v[6:7]
	s_and_b64 exec, exec, vcc
	s_cbranch_execz .LBB10_42
; %bb.122:                              ;   in Loop: Header=BB10_43 Depth=1
	s_mov_b64 s[4:5], 0
.LBB10_123:                             ;   Parent Loop BB10_43 Depth=1
                                        ; =>  This Inner Loop Header: Depth=2
	s_sleep 1
	global_store_dwordx2 v[2:3], v[12:13], off
	s_waitcnt vmcnt(0)
	global_atomic_cmpswap_x2 v[6:7], v26, v[10:13], s[6:7] offset:24 glc
	s_waitcnt vmcnt(0)
	v_cmp_eq_u64_e32 vcc, v[6:7], v[12:13]
	v_mov_b32_e32 v13, v7
	s_or_b64 s[4:5], vcc, s[4:5]
	v_mov_b32_e32 v12, v6
	s_andn2_b64 exec, exec, s[4:5]
	s_cbranch_execnz .LBB10_123
	s_branch .LBB10_42
.LBB10_124:
	s_branch .LBB10_152
.LBB10_125:
                                        ; implicit-def: $vgpr0_vgpr1
	s_cbranch_execz .LBB10_152
; %bb.126:
	v_readfirstlane_b32 s4, v32
	v_mov_b32_e32 v7, 0
	v_mov_b32_e32 v8, 0
	v_cmp_eq_u32_e64 s[4:5], s4, v32
	s_and_saveexec_b64 s[16:17], s[4:5]
	s_cbranch_execz .LBB10_132
; %bb.127:
	s_waitcnt vmcnt(0)
	v_mov_b32_e32 v0, 0
	global_load_dwordx2 v[9:10], v0, s[6:7] offset:24 glc
	s_waitcnt vmcnt(0)
	buffer_wbinvl1_vol
	global_load_dwordx2 v[1:2], v0, s[6:7] offset:40
	global_load_dwordx2 v[6:7], v0, s[6:7]
	s_waitcnt vmcnt(1)
	v_and_b32_e32 v1, v1, v9
	v_and_b32_e32 v2, v2, v10
	v_mul_lo_u32 v2, v2, 24
	v_mul_hi_u32 v3, v1, 24
	v_mul_lo_u32 v1, v1, 24
	v_add_u32_e32 v2, v3, v2
	s_waitcnt vmcnt(0)
	v_add_co_u32_e32 v1, vcc, v6, v1
	v_addc_co_u32_e32 v2, vcc, v7, v2, vcc
	global_load_dwordx2 v[7:8], v[1:2], off glc
	s_waitcnt vmcnt(0)
	global_atomic_cmpswap_x2 v[7:8], v0, v[7:10], s[6:7] offset:24 glc
	s_waitcnt vmcnt(0)
	buffer_wbinvl1_vol
	v_cmp_ne_u64_e32 vcc, v[7:8], v[9:10]
	s_and_saveexec_b64 s[18:19], vcc
	s_cbranch_execz .LBB10_131
; %bb.128:
	s_mov_b64 s[20:21], 0
.LBB10_129:                             ; =>This Inner Loop Header: Depth=1
	s_sleep 1
	global_load_dwordx2 v[1:2], v0, s[6:7] offset:40
	global_load_dwordx2 v[11:12], v0, s[6:7]
	v_mov_b32_e32 v10, v8
	v_mov_b32_e32 v9, v7
	s_waitcnt vmcnt(1)
	v_and_b32_e32 v1, v1, v9
	s_waitcnt vmcnt(0)
	v_mad_u64_u32 v[6:7], s[22:23], v1, 24, v[11:12]
	v_and_b32_e32 v2, v2, v10
	v_mov_b32_e32 v1, v7
	v_mad_u64_u32 v[1:2], s[22:23], v2, 24, v[1:2]
	v_mov_b32_e32 v7, v1
	global_load_dwordx2 v[7:8], v[6:7], off glc
	s_waitcnt vmcnt(0)
	global_atomic_cmpswap_x2 v[7:8], v0, v[7:10], s[6:7] offset:24 glc
	s_waitcnt vmcnt(0)
	buffer_wbinvl1_vol
	v_cmp_eq_u64_e32 vcc, v[7:8], v[9:10]
	s_or_b64 s[20:21], vcc, s[20:21]
	s_andn2_b64 exec, exec, s[20:21]
	s_cbranch_execnz .LBB10_129
; %bb.130:
	s_or_b64 exec, exec, s[20:21]
.LBB10_131:
	s_or_b64 exec, exec, s[18:19]
.LBB10_132:
	s_or_b64 exec, exec, s[16:17]
	v_mov_b32_e32 v6, 0
	global_load_dwordx2 v[9:10], v6, s[6:7] offset:40
	global_load_dwordx4 v[0:3], v6, s[6:7]
	v_readfirstlane_b32 s16, v7
	v_readfirstlane_b32 s17, v8
	s_mov_b64 s[18:19], exec
	s_waitcnt vmcnt(1)
	v_readfirstlane_b32 s20, v9
	v_readfirstlane_b32 s21, v10
	s_and_b64 s[20:21], s[16:17], s[20:21]
	s_mul_i32 s15, s21, 24
	s_mul_hi_u32 s22, s20, 24
	s_mul_i32 s23, s20, 24
	s_add_i32 s15, s22, s15
	v_mov_b32_e32 v7, s15
	s_waitcnt vmcnt(0)
	v_add_co_u32_e32 v8, vcc, s23, v0
	v_addc_co_u32_e32 v9, vcc, v1, v7, vcc
	s_and_saveexec_b64 s[22:23], s[4:5]
	s_cbranch_execz .LBB10_134
; %bb.133:
	v_mov_b32_e32 v10, s18
	v_mov_b32_e32 v11, s19
	;; [unrolled: 1-line block ×4, first 2 shown]
	global_store_dwordx4 v[8:9], v[10:13], off offset:8
.LBB10_134:
	s_or_b64 exec, exec, s[22:23]
	s_lshl_b64 s[18:19], s[20:21], 12
	v_mov_b32_e32 v7, s19
	v_add_co_u32_e32 v2, vcc, s18, v2
	v_addc_co_u32_e32 v3, vcc, v3, v7, vcc
	s_movk_i32 s15, 0xff1f
	v_and_or_b32 v4, v4, s15, 32
	v_add_co_u32_e32 v10, vcc, v2, v31
	s_mov_b32 s20, 0
	v_mov_b32_e32 v7, v6
	v_readfirstlane_b32 s18, v2
	v_readfirstlane_b32 s19, v3
	v_addc_co_u32_e32 v11, vcc, 0, v3, vcc
	s_mov_b32 s21, s20
	s_mov_b32 s22, s20
	s_mov_b32 s23, s20
	s_nop 0
	global_store_dwordx4 v31, v[4:7], s[18:19]
	v_mov_b32_e32 v2, s20
	v_mov_b32_e32 v3, s21
	;; [unrolled: 1-line block ×4, first 2 shown]
	global_store_dwordx4 v31, v[2:5], s[18:19] offset:16
	global_store_dwordx4 v31, v[2:5], s[18:19] offset:32
	;; [unrolled: 1-line block ×3, first 2 shown]
	s_and_saveexec_b64 s[18:19], s[4:5]
	s_cbranch_execz .LBB10_142
; %bb.135:
	v_mov_b32_e32 v6, 0
	global_load_dwordx2 v[14:15], v6, s[6:7] offset:32 glc
	global_load_dwordx2 v[2:3], v6, s[6:7] offset:40
	v_mov_b32_e32 v12, s16
	v_mov_b32_e32 v13, s17
	s_waitcnt vmcnt(0)
	v_readfirstlane_b32 s20, v2
	v_readfirstlane_b32 s21, v3
	s_and_b64 s[20:21], s[20:21], s[16:17]
	s_mul_i32 s15, s21, 24
	s_mul_hi_u32 s21, s20, 24
	s_mul_i32 s20, s20, 24
	s_add_i32 s15, s21, s15
	v_mov_b32_e32 v2, s15
	v_add_co_u32_e32 v4, vcc, s20, v0
	v_addc_co_u32_e32 v5, vcc, v1, v2, vcc
	global_store_dwordx2 v[4:5], v[14:15], off
	s_waitcnt vmcnt(0)
	global_atomic_cmpswap_x2 v[2:3], v6, v[12:15], s[6:7] offset:32 glc
	s_waitcnt vmcnt(0)
	v_cmp_ne_u64_e32 vcc, v[2:3], v[14:15]
	s_and_saveexec_b64 s[20:21], vcc
	s_cbranch_execz .LBB10_138
; %bb.136:
	s_mov_b64 s[22:23], 0
.LBB10_137:                             ; =>This Inner Loop Header: Depth=1
	s_sleep 1
	global_store_dwordx2 v[4:5], v[2:3], off
	v_mov_b32_e32 v0, s16
	v_mov_b32_e32 v1, s17
	s_waitcnt vmcnt(0)
	global_atomic_cmpswap_x2 v[0:1], v6, v[0:3], s[6:7] offset:32 glc
	s_waitcnt vmcnt(0)
	v_cmp_eq_u64_e32 vcc, v[0:1], v[2:3]
	v_mov_b32_e32 v3, v1
	s_or_b64 s[22:23], vcc, s[22:23]
	v_mov_b32_e32 v2, v0
	s_andn2_b64 exec, exec, s[22:23]
	s_cbranch_execnz .LBB10_137
.LBB10_138:
	s_or_b64 exec, exec, s[20:21]
	v_mov_b32_e32 v3, 0
	global_load_dwordx2 v[0:1], v3, s[6:7] offset:16
	s_mov_b64 s[20:21], exec
	v_mbcnt_lo_u32_b32 v2, s20, 0
	v_mbcnt_hi_u32_b32 v2, s21, v2
	v_cmp_eq_u32_e32 vcc, 0, v2
	s_and_saveexec_b64 s[22:23], vcc
	s_cbranch_execz .LBB10_140
; %bb.139:
	s_bcnt1_i32_b64 s15, s[20:21]
	v_mov_b32_e32 v2, s15
	s_waitcnt vmcnt(0)
	global_atomic_add_x2 v[0:1], v[2:3], off offset:8
.LBB10_140:
	s_or_b64 exec, exec, s[22:23]
	s_waitcnt vmcnt(0)
	global_load_dwordx2 v[2:3], v[0:1], off offset:16
	s_waitcnt vmcnt(0)
	v_cmp_eq_u64_e32 vcc, 0, v[2:3]
	s_cbranch_vccnz .LBB10_142
; %bb.141:
	global_load_dword v0, v[0:1], off offset:24
	v_mov_b32_e32 v1, 0
	s_waitcnt vmcnt(0)
	global_store_dwordx2 v[2:3], v[0:1], off
	v_and_b32_e32 v0, 0xffffff, v0
	v_readfirstlane_b32 m0, v0
	s_sendmsg sendmsg(MSG_INTERRUPT)
.LBB10_142:
	s_or_b64 exec, exec, s[18:19]
	s_branch .LBB10_146
.LBB10_143:                             ;   in Loop: Header=BB10_146 Depth=1
	s_or_b64 exec, exec, s[18:19]
	v_readfirstlane_b32 s15, v0
	s_cmp_eq_u32 s15, 0
	s_cbranch_scc1 .LBB10_145
; %bb.144:                              ;   in Loop: Header=BB10_146 Depth=1
	s_sleep 1
	s_cbranch_execnz .LBB10_146
	s_branch .LBB10_148
.LBB10_145:
	s_branch .LBB10_148
.LBB10_146:                             ; =>This Inner Loop Header: Depth=1
	v_mov_b32_e32 v0, 1
	s_and_saveexec_b64 s[18:19], s[4:5]
	s_cbranch_execz .LBB10_143
; %bb.147:                              ;   in Loop: Header=BB10_146 Depth=1
	global_load_dword v0, v[8:9], off offset:20 glc
	s_waitcnt vmcnt(0)
	buffer_wbinvl1_vol
	v_and_b32_e32 v0, 1, v0
	s_branch .LBB10_143
.LBB10_148:
	global_load_dwordx2 v[0:1], v[10:11], off
	s_and_saveexec_b64 s[18:19], s[4:5]
	s_cbranch_execz .LBB10_151
; %bb.149:
	v_mov_b32_e32 v8, 0
	global_load_dwordx2 v[4:5], v8, s[6:7] offset:40
	global_load_dwordx2 v[9:10], v8, s[6:7] offset:24 glc
	global_load_dwordx2 v[6:7], v8, s[6:7]
	v_mov_b32_e32 v3, s17
	s_mov_b64 s[4:5], 0
	s_waitcnt vmcnt(2)
	v_add_co_u32_e32 v11, vcc, 1, v4
	v_addc_co_u32_e32 v12, vcc, 0, v5, vcc
	v_add_co_u32_e32 v2, vcc, s16, v11
	v_addc_co_u32_e32 v3, vcc, v12, v3, vcc
	v_cmp_eq_u64_e32 vcc, 0, v[2:3]
	v_cndmask_b32_e32 v3, v3, v12, vcc
	v_cndmask_b32_e32 v2, v2, v11, vcc
	v_and_b32_e32 v5, v3, v5
	v_and_b32_e32 v4, v2, v4
	v_mul_lo_u32 v5, v5, 24
	v_mul_hi_u32 v11, v4, 24
	v_mul_lo_u32 v12, v4, 24
	s_waitcnt vmcnt(1)
	v_mov_b32_e32 v4, v9
	v_add_u32_e32 v5, v11, v5
	s_waitcnt vmcnt(0)
	v_add_co_u32_e32 v6, vcc, v6, v12
	v_addc_co_u32_e32 v7, vcc, v7, v5, vcc
	global_store_dwordx2 v[6:7], v[9:10], off
	v_mov_b32_e32 v5, v10
	s_waitcnt vmcnt(0)
	global_atomic_cmpswap_x2 v[4:5], v8, v[2:5], s[6:7] offset:24 glc
	s_waitcnt vmcnt(0)
	v_cmp_ne_u64_e32 vcc, v[4:5], v[9:10]
	s_and_b64 exec, exec, vcc
	s_cbranch_execz .LBB10_151
.LBB10_150:                             ; =>This Inner Loop Header: Depth=1
	s_sleep 1
	global_store_dwordx2 v[6:7], v[4:5], off
	s_waitcnt vmcnt(0)
	global_atomic_cmpswap_x2 v[9:10], v8, v[2:5], s[6:7] offset:24 glc
	s_waitcnt vmcnt(0)
	v_cmp_eq_u64_e32 vcc, v[9:10], v[4:5]
	v_mov_b32_e32 v4, v9
	s_or_b64 s[4:5], vcc, s[4:5]
	v_mov_b32_e32 v5, v10
	s_andn2_b64 exec, exec, s[4:5]
	s_cbranch_execnz .LBB10_150
.LBB10_151:
	s_or_b64 exec, exec, s[18:19]
.LBB10_152:
	s_getpc_b64 s[16:17]
	s_add_u32 s16, s16, __PRETTY_FUNCTION__._ZL20merge_stability_testRN8migraphx4test12test_managerE@rel32@lo+4
	s_addc_u32 s17, s17, __PRETTY_FUNCTION__._ZL20merge_stability_testRN8migraphx4test12test_managerE@rel32@hi+12
	s_cmp_lg_u64 s[16:17], 0
	s_cbranch_scc0 .LBB10_237
; %bb.153:
	s_waitcnt vmcnt(0)
	v_and_b32_e32 v6, -3, v0
	v_mov_b32_e32 v7, v1
	s_mov_b64 s[18:19], 58
	v_mov_b32_e32 v26, 0
	v_mov_b32_e32 v4, 2
	;; [unrolled: 1-line block ×3, first 2 shown]
	s_branch .LBB10_155
.LBB10_154:                             ;   in Loop: Header=BB10_155 Depth=1
	s_or_b64 exec, exec, s[24:25]
	s_sub_u32 s18, s18, s20
	s_subb_u32 s19, s19, s21
	s_add_u32 s16, s16, s20
	s_addc_u32 s17, s17, s21
	s_cmp_lg_u64 s[18:19], 0
	s_cbranch_scc0 .LBB10_236
.LBB10_155:                             ; =>This Loop Header: Depth=1
                                        ;     Child Loop BB10_158 Depth 2
                                        ;     Child Loop BB10_165 Depth 2
                                        ;     Child Loop BB10_173 Depth 2
                                        ;     Child Loop BB10_181 Depth 2
                                        ;     Child Loop BB10_189 Depth 2
                                        ;     Child Loop BB10_197 Depth 2
                                        ;     Child Loop BB10_205 Depth 2
                                        ;     Child Loop BB10_213 Depth 2
                                        ;     Child Loop BB10_221 Depth 2
                                        ;     Child Loop BB10_230 Depth 2
                                        ;     Child Loop BB10_235 Depth 2
	v_cmp_lt_u64_e64 s[4:5], s[18:19], 56
	v_cmp_gt_u64_e64 s[22:23], s[18:19], 7
	s_and_b64 s[4:5], s[4:5], exec
	s_cselect_b32 s21, s19, 0
	s_cselect_b32 s20, s18, 56
	s_and_b64 vcc, exec, s[22:23]
	s_cbranch_vccnz .LBB10_160
; %bb.156:                              ;   in Loop: Header=BB10_155 Depth=1
	s_waitcnt vmcnt(0)
	v_mov_b32_e32 v8, 0
	s_cmp_eq_u64 s[18:19], 0
	v_mov_b32_e32 v9, 0
	s_mov_b64 s[4:5], 0
	s_cbranch_scc1 .LBB10_159
; %bb.157:                              ;   in Loop: Header=BB10_155 Depth=1
	v_mov_b32_e32 v8, 0
	s_lshl_b64 s[22:23], s[20:21], 3
	s_mov_b64 s[24:25], 0
	v_mov_b32_e32 v9, 0
	s_mov_b64 s[26:27], s[16:17]
.LBB10_158:                             ;   Parent Loop BB10_155 Depth=1
                                        ; =>  This Inner Loop Header: Depth=2
	global_load_ubyte v2, v26, s[26:27]
	s_waitcnt vmcnt(0)
	v_and_b32_e32 v25, 0xffff, v2
	v_lshlrev_b64 v[2:3], s24, v[25:26]
	s_add_u32 s24, s24, 8
	s_addc_u32 s25, s25, 0
	s_add_u32 s26, s26, 1
	s_addc_u32 s27, s27, 0
	v_or_b32_e32 v8, v2, v8
	s_cmp_lg_u32 s22, s24
	v_or_b32_e32 v9, v3, v9
	s_cbranch_scc1 .LBB10_158
.LBB10_159:                             ;   in Loop: Header=BB10_155 Depth=1
	s_mov_b32 s15, 0
	s_andn2_b64 vcc, exec, s[4:5]
	s_mov_b64 s[4:5], s[16:17]
	s_cbranch_vccz .LBB10_161
	s_branch .LBB10_162
.LBB10_160:                             ;   in Loop: Header=BB10_155 Depth=1
                                        ; implicit-def: $sgpr15
	s_mov_b64 s[4:5], s[16:17]
.LBB10_161:                             ;   in Loop: Header=BB10_155 Depth=1
	global_load_dwordx2 v[8:9], v26, s[16:17]
	s_add_i32 s15, s20, -8
	s_add_u32 s4, s16, 8
	s_addc_u32 s5, s17, 0
.LBB10_162:                             ;   in Loop: Header=BB10_155 Depth=1
	s_cmp_gt_u32 s15, 7
	s_cbranch_scc1 .LBB10_166
; %bb.163:                              ;   in Loop: Header=BB10_155 Depth=1
	s_cmp_eq_u32 s15, 0
	s_cbranch_scc1 .LBB10_167
; %bb.164:                              ;   in Loop: Header=BB10_155 Depth=1
	v_mov_b32_e32 v10, 0
	s_mov_b64 s[22:23], 0
	v_mov_b32_e32 v11, 0
	s_mov_b64 s[24:25], 0
.LBB10_165:                             ;   Parent Loop BB10_155 Depth=1
                                        ; =>  This Inner Loop Header: Depth=2
	s_add_u32 s26, s4, s24
	s_addc_u32 s27, s5, s25
	global_load_ubyte v2, v26, s[26:27]
	s_add_u32 s24, s24, 1
	s_addc_u32 s25, s25, 0
	s_waitcnt vmcnt(0)
	v_and_b32_e32 v25, 0xffff, v2
	v_lshlrev_b64 v[2:3], s22, v[25:26]
	s_add_u32 s22, s22, 8
	s_addc_u32 s23, s23, 0
	v_or_b32_e32 v10, v2, v10
	s_cmp_lg_u32 s15, s24
	v_or_b32_e32 v11, v3, v11
	s_cbranch_scc1 .LBB10_165
	s_branch .LBB10_168
.LBB10_166:                             ;   in Loop: Header=BB10_155 Depth=1
                                        ; implicit-def: $vgpr10_vgpr11
                                        ; implicit-def: $sgpr26
	s_branch .LBB10_169
.LBB10_167:                             ;   in Loop: Header=BB10_155 Depth=1
	v_mov_b32_e32 v10, 0
	v_mov_b32_e32 v11, 0
.LBB10_168:                             ;   in Loop: Header=BB10_155 Depth=1
	s_mov_b32 s26, 0
	s_cbranch_execnz .LBB10_170
.LBB10_169:                             ;   in Loop: Header=BB10_155 Depth=1
	global_load_dwordx2 v[10:11], v26, s[4:5]
	s_add_i32 s26, s15, -8
	s_add_u32 s4, s4, 8
	s_addc_u32 s5, s5, 0
.LBB10_170:                             ;   in Loop: Header=BB10_155 Depth=1
	s_cmp_gt_u32 s26, 7
	s_cbranch_scc1 .LBB10_174
; %bb.171:                              ;   in Loop: Header=BB10_155 Depth=1
	s_cmp_eq_u32 s26, 0
	s_cbranch_scc1 .LBB10_175
; %bb.172:                              ;   in Loop: Header=BB10_155 Depth=1
	v_mov_b32_e32 v12, 0
	s_mov_b64 s[22:23], 0
	v_mov_b32_e32 v13, 0
	s_mov_b64 s[24:25], 0
.LBB10_173:                             ;   Parent Loop BB10_155 Depth=1
                                        ; =>  This Inner Loop Header: Depth=2
	s_add_u32 s28, s4, s24
	s_addc_u32 s29, s5, s25
	global_load_ubyte v2, v26, s[28:29]
	s_add_u32 s24, s24, 1
	s_addc_u32 s25, s25, 0
	s_waitcnt vmcnt(0)
	v_and_b32_e32 v25, 0xffff, v2
	v_lshlrev_b64 v[2:3], s22, v[25:26]
	s_add_u32 s22, s22, 8
	s_addc_u32 s23, s23, 0
	v_or_b32_e32 v12, v2, v12
	s_cmp_lg_u32 s26, s24
	v_or_b32_e32 v13, v3, v13
	s_cbranch_scc1 .LBB10_173
	s_branch .LBB10_176
.LBB10_174:                             ;   in Loop: Header=BB10_155 Depth=1
                                        ; implicit-def: $sgpr15
	s_branch .LBB10_177
.LBB10_175:                             ;   in Loop: Header=BB10_155 Depth=1
	v_mov_b32_e32 v12, 0
	v_mov_b32_e32 v13, 0
.LBB10_176:                             ;   in Loop: Header=BB10_155 Depth=1
	s_mov_b32 s15, 0
	s_cbranch_execnz .LBB10_178
.LBB10_177:                             ;   in Loop: Header=BB10_155 Depth=1
	global_load_dwordx2 v[12:13], v26, s[4:5]
	s_add_i32 s15, s26, -8
	s_add_u32 s4, s4, 8
	s_addc_u32 s5, s5, 0
.LBB10_178:                             ;   in Loop: Header=BB10_155 Depth=1
	s_cmp_gt_u32 s15, 7
	s_cbranch_scc1 .LBB10_182
; %bb.179:                              ;   in Loop: Header=BB10_155 Depth=1
	s_cmp_eq_u32 s15, 0
	s_cbranch_scc1 .LBB10_183
; %bb.180:                              ;   in Loop: Header=BB10_155 Depth=1
	v_mov_b32_e32 v14, 0
	s_mov_b64 s[22:23], 0
	v_mov_b32_e32 v15, 0
	s_mov_b64 s[24:25], 0
.LBB10_181:                             ;   Parent Loop BB10_155 Depth=1
                                        ; =>  This Inner Loop Header: Depth=2
	s_add_u32 s26, s4, s24
	s_addc_u32 s27, s5, s25
	global_load_ubyte v2, v26, s[26:27]
	s_add_u32 s24, s24, 1
	s_addc_u32 s25, s25, 0
	s_waitcnt vmcnt(0)
	v_and_b32_e32 v25, 0xffff, v2
	v_lshlrev_b64 v[2:3], s22, v[25:26]
	s_add_u32 s22, s22, 8
	s_addc_u32 s23, s23, 0
	v_or_b32_e32 v14, v2, v14
	s_cmp_lg_u32 s15, s24
	v_or_b32_e32 v15, v3, v15
	s_cbranch_scc1 .LBB10_181
	s_branch .LBB10_184
.LBB10_182:                             ;   in Loop: Header=BB10_155 Depth=1
                                        ; implicit-def: $vgpr14_vgpr15
                                        ; implicit-def: $sgpr26
	s_branch .LBB10_185
.LBB10_183:                             ;   in Loop: Header=BB10_155 Depth=1
	v_mov_b32_e32 v14, 0
	v_mov_b32_e32 v15, 0
.LBB10_184:                             ;   in Loop: Header=BB10_155 Depth=1
	s_mov_b32 s26, 0
	s_cbranch_execnz .LBB10_186
.LBB10_185:                             ;   in Loop: Header=BB10_155 Depth=1
	global_load_dwordx2 v[14:15], v26, s[4:5]
	s_add_i32 s26, s15, -8
	s_add_u32 s4, s4, 8
	s_addc_u32 s5, s5, 0
.LBB10_186:                             ;   in Loop: Header=BB10_155 Depth=1
	s_cmp_gt_u32 s26, 7
	s_cbranch_scc1 .LBB10_190
; %bb.187:                              ;   in Loop: Header=BB10_155 Depth=1
	s_cmp_eq_u32 s26, 0
	s_cbranch_scc1 .LBB10_191
; %bb.188:                              ;   in Loop: Header=BB10_155 Depth=1
	v_mov_b32_e32 v16, 0
	s_mov_b64 s[22:23], 0
	v_mov_b32_e32 v17, 0
	s_mov_b64 s[24:25], 0
.LBB10_189:                             ;   Parent Loop BB10_155 Depth=1
                                        ; =>  This Inner Loop Header: Depth=2
	s_add_u32 s28, s4, s24
	s_addc_u32 s29, s5, s25
	global_load_ubyte v2, v26, s[28:29]
	s_add_u32 s24, s24, 1
	s_addc_u32 s25, s25, 0
	s_waitcnt vmcnt(0)
	v_and_b32_e32 v25, 0xffff, v2
	v_lshlrev_b64 v[2:3], s22, v[25:26]
	s_add_u32 s22, s22, 8
	s_addc_u32 s23, s23, 0
	v_or_b32_e32 v16, v2, v16
	s_cmp_lg_u32 s26, s24
	v_or_b32_e32 v17, v3, v17
	s_cbranch_scc1 .LBB10_189
	s_branch .LBB10_192
.LBB10_190:                             ;   in Loop: Header=BB10_155 Depth=1
                                        ; implicit-def: $sgpr15
	s_branch .LBB10_193
.LBB10_191:                             ;   in Loop: Header=BB10_155 Depth=1
	v_mov_b32_e32 v16, 0
	v_mov_b32_e32 v17, 0
.LBB10_192:                             ;   in Loop: Header=BB10_155 Depth=1
	s_mov_b32 s15, 0
	s_cbranch_execnz .LBB10_194
.LBB10_193:                             ;   in Loop: Header=BB10_155 Depth=1
	global_load_dwordx2 v[16:17], v26, s[4:5]
	s_add_i32 s15, s26, -8
	s_add_u32 s4, s4, 8
	s_addc_u32 s5, s5, 0
.LBB10_194:                             ;   in Loop: Header=BB10_155 Depth=1
	s_cmp_gt_u32 s15, 7
	s_cbranch_scc1 .LBB10_198
; %bb.195:                              ;   in Loop: Header=BB10_155 Depth=1
	s_cmp_eq_u32 s15, 0
	s_cbranch_scc1 .LBB10_199
; %bb.196:                              ;   in Loop: Header=BB10_155 Depth=1
	v_mov_b32_e32 v18, 0
	s_mov_b64 s[22:23], 0
	v_mov_b32_e32 v19, 0
	s_mov_b64 s[24:25], 0
.LBB10_197:                             ;   Parent Loop BB10_155 Depth=1
                                        ; =>  This Inner Loop Header: Depth=2
	s_add_u32 s26, s4, s24
	s_addc_u32 s27, s5, s25
	global_load_ubyte v2, v26, s[26:27]
	s_add_u32 s24, s24, 1
	s_addc_u32 s25, s25, 0
	s_waitcnt vmcnt(0)
	v_and_b32_e32 v25, 0xffff, v2
	v_lshlrev_b64 v[2:3], s22, v[25:26]
	s_add_u32 s22, s22, 8
	s_addc_u32 s23, s23, 0
	v_or_b32_e32 v18, v2, v18
	s_cmp_lg_u32 s15, s24
	v_or_b32_e32 v19, v3, v19
	s_cbranch_scc1 .LBB10_197
	s_branch .LBB10_200
.LBB10_198:                             ;   in Loop: Header=BB10_155 Depth=1
                                        ; implicit-def: $vgpr18_vgpr19
                                        ; implicit-def: $sgpr26
	s_branch .LBB10_201
.LBB10_199:                             ;   in Loop: Header=BB10_155 Depth=1
	v_mov_b32_e32 v18, 0
	v_mov_b32_e32 v19, 0
.LBB10_200:                             ;   in Loop: Header=BB10_155 Depth=1
	s_mov_b32 s26, 0
	s_cbranch_execnz .LBB10_202
.LBB10_201:                             ;   in Loop: Header=BB10_155 Depth=1
	global_load_dwordx2 v[18:19], v26, s[4:5]
	s_add_i32 s26, s15, -8
	s_add_u32 s4, s4, 8
	s_addc_u32 s5, s5, 0
.LBB10_202:                             ;   in Loop: Header=BB10_155 Depth=1
	s_cmp_gt_u32 s26, 7
	s_cbranch_scc1 .LBB10_206
; %bb.203:                              ;   in Loop: Header=BB10_155 Depth=1
	s_cmp_eq_u32 s26, 0
	s_cbranch_scc1 .LBB10_207
; %bb.204:                              ;   in Loop: Header=BB10_155 Depth=1
	v_mov_b32_e32 v20, 0
	s_mov_b64 s[22:23], 0
	v_mov_b32_e32 v21, 0
	s_mov_b64 s[24:25], s[4:5]
.LBB10_205:                             ;   Parent Loop BB10_155 Depth=1
                                        ; =>  This Inner Loop Header: Depth=2
	global_load_ubyte v2, v26, s[24:25]
	s_add_i32 s26, s26, -1
	s_waitcnt vmcnt(0)
	v_and_b32_e32 v25, 0xffff, v2
	v_lshlrev_b64 v[2:3], s22, v[25:26]
	s_add_u32 s22, s22, 8
	s_addc_u32 s23, s23, 0
	s_add_u32 s24, s24, 1
	s_addc_u32 s25, s25, 0
	v_or_b32_e32 v20, v2, v20
	s_cmp_lg_u32 s26, 0
	v_or_b32_e32 v21, v3, v21
	s_cbranch_scc1 .LBB10_205
	s_branch .LBB10_208
.LBB10_206:                             ;   in Loop: Header=BB10_155 Depth=1
	s_branch .LBB10_209
.LBB10_207:                             ;   in Loop: Header=BB10_155 Depth=1
	v_mov_b32_e32 v20, 0
	v_mov_b32_e32 v21, 0
.LBB10_208:                             ;   in Loop: Header=BB10_155 Depth=1
	s_cbranch_execnz .LBB10_210
.LBB10_209:                             ;   in Loop: Header=BB10_155 Depth=1
	global_load_dwordx2 v[20:21], v26, s[4:5]
.LBB10_210:                             ;   in Loop: Header=BB10_155 Depth=1
	v_readfirstlane_b32 s4, v32
	v_mov_b32_e32 v2, 0
	v_mov_b32_e32 v3, 0
	v_cmp_eq_u32_e64 s[4:5], s4, v32
	s_and_saveexec_b64 s[22:23], s[4:5]
	s_cbranch_execz .LBB10_216
; %bb.211:                              ;   in Loop: Header=BB10_155 Depth=1
	global_load_dwordx2 v[24:25], v26, s[6:7] offset:24 glc
	s_waitcnt vmcnt(0)
	buffer_wbinvl1_vol
	global_load_dwordx2 v[2:3], v26, s[6:7] offset:40
	global_load_dwordx2 v[22:23], v26, s[6:7]
	s_waitcnt vmcnt(1)
	v_and_b32_e32 v2, v2, v24
	v_and_b32_e32 v3, v3, v25
	v_mul_lo_u32 v3, v3, 24
	v_mul_hi_u32 v27, v2, 24
	v_mul_lo_u32 v2, v2, 24
	v_add_u32_e32 v3, v27, v3
	s_waitcnt vmcnt(0)
	v_add_co_u32_e32 v2, vcc, v22, v2
	v_addc_co_u32_e32 v3, vcc, v23, v3, vcc
	global_load_dwordx2 v[22:23], v[2:3], off glc
	s_waitcnt vmcnt(0)
	global_atomic_cmpswap_x2 v[2:3], v26, v[22:25], s[6:7] offset:24 glc
	s_waitcnt vmcnt(0)
	buffer_wbinvl1_vol
	v_cmp_ne_u64_e32 vcc, v[2:3], v[24:25]
	s_and_saveexec_b64 s[24:25], vcc
	s_cbranch_execz .LBB10_215
; %bb.212:                              ;   in Loop: Header=BB10_155 Depth=1
	s_mov_b64 s[26:27], 0
.LBB10_213:                             ;   Parent Loop BB10_155 Depth=1
                                        ; =>  This Inner Loop Header: Depth=2
	s_sleep 1
	global_load_dwordx2 v[22:23], v26, s[6:7] offset:40
	global_load_dwordx2 v[27:28], v26, s[6:7]
	v_mov_b32_e32 v25, v3
	v_mov_b32_e32 v24, v2
	s_waitcnt vmcnt(1)
	v_and_b32_e32 v2, v22, v24
	s_waitcnt vmcnt(0)
	v_mad_u64_u32 v[2:3], s[28:29], v2, 24, v[27:28]
	v_and_b32_e32 v22, v23, v25
	v_mad_u64_u32 v[22:23], s[28:29], v22, 24, v[3:4]
	v_mov_b32_e32 v3, v22
	global_load_dwordx2 v[22:23], v[2:3], off glc
	s_waitcnt vmcnt(0)
	global_atomic_cmpswap_x2 v[2:3], v26, v[22:25], s[6:7] offset:24 glc
	s_waitcnt vmcnt(0)
	buffer_wbinvl1_vol
	v_cmp_eq_u64_e32 vcc, v[2:3], v[24:25]
	s_or_b64 s[26:27], vcc, s[26:27]
	s_andn2_b64 exec, exec, s[26:27]
	s_cbranch_execnz .LBB10_213
; %bb.214:                              ;   in Loop: Header=BB10_155 Depth=1
	s_or_b64 exec, exec, s[26:27]
.LBB10_215:                             ;   in Loop: Header=BB10_155 Depth=1
	s_or_b64 exec, exec, s[24:25]
.LBB10_216:                             ;   in Loop: Header=BB10_155 Depth=1
	s_or_b64 exec, exec, s[22:23]
	global_load_dwordx2 v[27:28], v26, s[6:7] offset:40
	global_load_dwordx4 v[22:25], v26, s[6:7]
	v_readfirstlane_b32 s22, v2
	v_readfirstlane_b32 s23, v3
	s_mov_b64 s[24:25], exec
	s_waitcnt vmcnt(1)
	v_readfirstlane_b32 s26, v27
	v_readfirstlane_b32 s27, v28
	s_and_b64 s[26:27], s[22:23], s[26:27]
	s_mul_i32 s15, s27, 24
	s_mul_hi_u32 s28, s26, 24
	s_mul_i32 s29, s26, 24
	s_add_i32 s15, s28, s15
	v_mov_b32_e32 v2, s15
	s_waitcnt vmcnt(0)
	v_add_co_u32_e32 v27, vcc, s29, v22
	v_addc_co_u32_e32 v28, vcc, v23, v2, vcc
	s_and_saveexec_b64 s[28:29], s[4:5]
	s_cbranch_execz .LBB10_218
; %bb.217:                              ;   in Loop: Header=BB10_155 Depth=1
	v_mov_b32_e32 v2, s24
	v_mov_b32_e32 v3, s25
	global_store_dwordx4 v[27:28], v[2:5], off offset:8
.LBB10_218:                             ;   in Loop: Header=BB10_155 Depth=1
	s_or_b64 exec, exec, s[28:29]
	s_lshl_b64 s[24:25], s[26:27], 12
	v_mov_b32_e32 v2, s25
	v_add_co_u32_e32 v24, vcc, s24, v24
	v_addc_co_u32_e32 v29, vcc, v25, v2, vcc
	v_cmp_gt_u64_e64 vcc, s[18:19], 56
	v_or_b32_e32 v2, 2, v6
	s_lshl_b32 s15, s20, 2
	v_cndmask_b32_e32 v2, v2, v6, vcc
	s_add_i32 s15, s15, 28
	s_and_b32 s15, s15, 0x1e0
	v_and_b32_e32 v2, 0xffffff1f, v2
	v_or_b32_e32 v6, s15, v2
	v_readfirstlane_b32 s24, v24
	v_readfirstlane_b32 s25, v29
	s_nop 4
	global_store_dwordx4 v31, v[6:9], s[24:25]
	global_store_dwordx4 v31, v[10:13], s[24:25] offset:16
	global_store_dwordx4 v31, v[14:17], s[24:25] offset:32
	;; [unrolled: 1-line block ×3, first 2 shown]
	s_and_saveexec_b64 s[24:25], s[4:5]
	s_cbranch_execz .LBB10_226
; %bb.219:                              ;   in Loop: Header=BB10_155 Depth=1
	global_load_dwordx2 v[10:11], v26, s[6:7] offset:32 glc
	global_load_dwordx2 v[2:3], v26, s[6:7] offset:40
	v_mov_b32_e32 v8, s22
	v_mov_b32_e32 v9, s23
	s_waitcnt vmcnt(0)
	v_readfirstlane_b32 s26, v2
	v_readfirstlane_b32 s27, v3
	s_and_b64 s[26:27], s[26:27], s[22:23]
	s_mul_i32 s15, s27, 24
	s_mul_hi_u32 s27, s26, 24
	s_mul_i32 s26, s26, 24
	s_add_i32 s15, s27, s15
	v_mov_b32_e32 v3, s15
	v_add_co_u32_e32 v2, vcc, s26, v22
	v_addc_co_u32_e32 v3, vcc, v23, v3, vcc
	global_store_dwordx2 v[2:3], v[10:11], off
	s_waitcnt vmcnt(0)
	global_atomic_cmpswap_x2 v[8:9], v26, v[8:11], s[6:7] offset:32 glc
	s_waitcnt vmcnt(0)
	v_cmp_ne_u64_e32 vcc, v[8:9], v[10:11]
	s_and_saveexec_b64 s[26:27], vcc
	s_cbranch_execz .LBB10_222
; %bb.220:                              ;   in Loop: Header=BB10_155 Depth=1
	s_mov_b64 s[28:29], 0
.LBB10_221:                             ;   Parent Loop BB10_155 Depth=1
                                        ; =>  This Inner Loop Header: Depth=2
	s_sleep 1
	global_store_dwordx2 v[2:3], v[8:9], off
	v_mov_b32_e32 v6, s22
	v_mov_b32_e32 v7, s23
	s_waitcnt vmcnt(0)
	global_atomic_cmpswap_x2 v[6:7], v26, v[6:9], s[6:7] offset:32 glc
	s_waitcnt vmcnt(0)
	v_cmp_eq_u64_e32 vcc, v[6:7], v[8:9]
	v_mov_b32_e32 v9, v7
	s_or_b64 s[28:29], vcc, s[28:29]
	v_mov_b32_e32 v8, v6
	s_andn2_b64 exec, exec, s[28:29]
	s_cbranch_execnz .LBB10_221
.LBB10_222:                             ;   in Loop: Header=BB10_155 Depth=1
	s_or_b64 exec, exec, s[26:27]
	global_load_dwordx2 v[2:3], v26, s[6:7] offset:16
	s_mov_b64 s[28:29], exec
	v_mbcnt_lo_u32_b32 v6, s28, 0
	v_mbcnt_hi_u32_b32 v6, s29, v6
	v_cmp_eq_u32_e32 vcc, 0, v6
	s_and_saveexec_b64 s[26:27], vcc
	s_cbranch_execz .LBB10_224
; %bb.223:                              ;   in Loop: Header=BB10_155 Depth=1
	s_bcnt1_i32_b64 s15, s[28:29]
	v_mov_b32_e32 v25, s15
	s_waitcnt vmcnt(0)
	global_atomic_add_x2 v[2:3], v[25:26], off offset:8
.LBB10_224:                             ;   in Loop: Header=BB10_155 Depth=1
	s_or_b64 exec, exec, s[26:27]
	s_waitcnt vmcnt(0)
	global_load_dwordx2 v[6:7], v[2:3], off offset:16
	s_waitcnt vmcnt(0)
	v_cmp_eq_u64_e32 vcc, 0, v[6:7]
	s_cbranch_vccnz .LBB10_226
; %bb.225:                              ;   in Loop: Header=BB10_155 Depth=1
	global_load_dword v25, v[2:3], off offset:24
	s_waitcnt vmcnt(0)
	v_and_b32_e32 v2, 0xffffff, v25
	v_readfirstlane_b32 m0, v2
	global_store_dwordx2 v[6:7], v[25:26], off
	s_sendmsg sendmsg(MSG_INTERRUPT)
.LBB10_226:                             ;   in Loop: Header=BB10_155 Depth=1
	s_or_b64 exec, exec, s[24:25]
	v_add_co_u32_e32 v2, vcc, v24, v31
	v_addc_co_u32_e32 v3, vcc, 0, v29, vcc
	s_branch .LBB10_230
.LBB10_227:                             ;   in Loop: Header=BB10_230 Depth=2
	s_or_b64 exec, exec, s[24:25]
	v_readfirstlane_b32 s15, v6
	s_cmp_eq_u32 s15, 0
	s_cbranch_scc1 .LBB10_229
; %bb.228:                              ;   in Loop: Header=BB10_230 Depth=2
	s_sleep 1
	s_cbranch_execnz .LBB10_230
	s_branch .LBB10_232
.LBB10_229:                             ;   in Loop: Header=BB10_155 Depth=1
	s_branch .LBB10_232
.LBB10_230:                             ;   Parent Loop BB10_155 Depth=1
                                        ; =>  This Inner Loop Header: Depth=2
	v_mov_b32_e32 v6, 1
	s_and_saveexec_b64 s[24:25], s[4:5]
	s_cbranch_execz .LBB10_227
; %bb.231:                              ;   in Loop: Header=BB10_230 Depth=2
	global_load_dword v6, v[27:28], off offset:20 glc
	s_waitcnt vmcnt(0)
	buffer_wbinvl1_vol
	v_and_b32_e32 v6, 1, v6
	s_branch .LBB10_227
.LBB10_232:                             ;   in Loop: Header=BB10_155 Depth=1
	global_load_dwordx4 v[6:9], v[2:3], off
	s_and_saveexec_b64 s[24:25], s[4:5]
	s_cbranch_execz .LBB10_154
; %bb.233:                              ;   in Loop: Header=BB10_155 Depth=1
	global_load_dwordx2 v[2:3], v26, s[6:7] offset:40
	global_load_dwordx2 v[12:13], v26, s[6:7] offset:24 glc
	global_load_dwordx2 v[14:15], v26, s[6:7]
	s_waitcnt vmcnt(3)
	v_mov_b32_e32 v9, s23
	s_waitcnt vmcnt(2)
	v_add_co_u32_e32 v10, vcc, 1, v2
	v_addc_co_u32_e32 v11, vcc, 0, v3, vcc
	v_add_co_u32_e32 v8, vcc, s22, v10
	v_addc_co_u32_e32 v9, vcc, v11, v9, vcc
	v_cmp_eq_u64_e32 vcc, 0, v[8:9]
	v_cndmask_b32_e32 v9, v9, v11, vcc
	v_cndmask_b32_e32 v8, v8, v10, vcc
	v_and_b32_e32 v3, v9, v3
	v_and_b32_e32 v2, v8, v2
	v_mul_lo_u32 v3, v3, 24
	v_mul_hi_u32 v11, v2, 24
	v_mul_lo_u32 v2, v2, 24
	s_waitcnt vmcnt(1)
	v_mov_b32_e32 v10, v12
	v_add_u32_e32 v3, v11, v3
	s_waitcnt vmcnt(0)
	v_add_co_u32_e32 v2, vcc, v14, v2
	v_addc_co_u32_e32 v3, vcc, v15, v3, vcc
	global_store_dwordx2 v[2:3], v[12:13], off
	v_mov_b32_e32 v11, v13
	s_waitcnt vmcnt(0)
	global_atomic_cmpswap_x2 v[10:11], v26, v[8:11], s[6:7] offset:24 glc
	s_waitcnt vmcnt(0)
	v_cmp_ne_u64_e32 vcc, v[10:11], v[12:13]
	s_and_b64 exec, exec, vcc
	s_cbranch_execz .LBB10_154
; %bb.234:                              ;   in Loop: Header=BB10_155 Depth=1
	s_mov_b64 s[4:5], 0
.LBB10_235:                             ;   Parent Loop BB10_155 Depth=1
                                        ; =>  This Inner Loop Header: Depth=2
	s_sleep 1
	global_store_dwordx2 v[2:3], v[10:11], off
	s_waitcnt vmcnt(0)
	global_atomic_cmpswap_x2 v[12:13], v26, v[8:11], s[6:7] offset:24 glc
	s_waitcnt vmcnt(0)
	v_cmp_eq_u64_e32 vcc, v[12:13], v[10:11]
	v_mov_b32_e32 v10, v12
	s_or_b64 s[4:5], vcc, s[4:5]
	v_mov_b32_e32 v11, v13
	s_andn2_b64 exec, exec, s[4:5]
	s_cbranch_execnz .LBB10_235
	s_branch .LBB10_154
.LBB10_236:
	s_branch .LBB10_264
.LBB10_237:
	s_cbranch_execz .LBB10_264
; %bb.238:
	v_readfirstlane_b32 s4, v32
	s_waitcnt vmcnt(0)
	v_mov_b32_e32 v8, 0
	v_mov_b32_e32 v9, 0
	v_cmp_eq_u32_e64 s[4:5], s4, v32
	s_and_saveexec_b64 s[16:17], s[4:5]
	s_cbranch_execz .LBB10_244
; %bb.239:
	v_mov_b32_e32 v2, 0
	global_load_dwordx2 v[5:6], v2, s[6:7] offset:24 glc
	s_waitcnt vmcnt(0)
	buffer_wbinvl1_vol
	global_load_dwordx2 v[3:4], v2, s[6:7] offset:40
	global_load_dwordx2 v[7:8], v2, s[6:7]
	s_waitcnt vmcnt(1)
	v_and_b32_e32 v3, v3, v5
	v_and_b32_e32 v4, v4, v6
	v_mul_lo_u32 v4, v4, 24
	v_mul_hi_u32 v9, v3, 24
	v_mul_lo_u32 v3, v3, 24
	v_add_u32_e32 v4, v9, v4
	s_waitcnt vmcnt(0)
	v_add_co_u32_e32 v3, vcc, v7, v3
	v_addc_co_u32_e32 v4, vcc, v8, v4, vcc
	global_load_dwordx2 v[3:4], v[3:4], off glc
	s_waitcnt vmcnt(0)
	global_atomic_cmpswap_x2 v[8:9], v2, v[3:6], s[6:7] offset:24 glc
	s_waitcnt vmcnt(0)
	buffer_wbinvl1_vol
	v_cmp_ne_u64_e32 vcc, v[8:9], v[5:6]
	s_and_saveexec_b64 s[18:19], vcc
	s_cbranch_execz .LBB10_243
; %bb.240:
	s_mov_b64 s[20:21], 0
.LBB10_241:                             ; =>This Inner Loop Header: Depth=1
	s_sleep 1
	global_load_dwordx2 v[3:4], v2, s[6:7] offset:40
	global_load_dwordx2 v[10:11], v2, s[6:7]
	v_mov_b32_e32 v5, v8
	v_mov_b32_e32 v6, v9
	s_waitcnt vmcnt(1)
	v_and_b32_e32 v3, v3, v5
	s_waitcnt vmcnt(0)
	v_mad_u64_u32 v[7:8], s[22:23], v3, 24, v[10:11]
	v_and_b32_e32 v4, v4, v6
	v_mov_b32_e32 v3, v8
	v_mad_u64_u32 v[3:4], s[22:23], v4, 24, v[3:4]
	v_mov_b32_e32 v8, v3
	global_load_dwordx2 v[3:4], v[7:8], off glc
	s_waitcnt vmcnt(0)
	global_atomic_cmpswap_x2 v[8:9], v2, v[3:6], s[6:7] offset:24 glc
	s_waitcnt vmcnt(0)
	buffer_wbinvl1_vol
	v_cmp_eq_u64_e32 vcc, v[8:9], v[5:6]
	s_or_b64 s[20:21], vcc, s[20:21]
	s_andn2_b64 exec, exec, s[20:21]
	s_cbranch_execnz .LBB10_241
; %bb.242:
	s_or_b64 exec, exec, s[20:21]
.LBB10_243:
	s_or_b64 exec, exec, s[18:19]
.LBB10_244:
	s_or_b64 exec, exec, s[16:17]
	v_mov_b32_e32 v2, 0
	global_load_dwordx2 v[10:11], v2, s[6:7] offset:40
	global_load_dwordx4 v[4:7], v2, s[6:7]
	v_readfirstlane_b32 s16, v8
	v_readfirstlane_b32 s17, v9
	s_mov_b64 s[18:19], exec
	s_waitcnt vmcnt(1)
	v_readfirstlane_b32 s20, v10
	v_readfirstlane_b32 s21, v11
	s_and_b64 s[20:21], s[16:17], s[20:21]
	s_mul_i32 s15, s21, 24
	s_mul_hi_u32 s22, s20, 24
	s_mul_i32 s23, s20, 24
	s_add_i32 s15, s22, s15
	v_mov_b32_e32 v3, s15
	s_waitcnt vmcnt(0)
	v_add_co_u32_e32 v8, vcc, s23, v4
	v_addc_co_u32_e32 v9, vcc, v5, v3, vcc
	s_and_saveexec_b64 s[22:23], s[4:5]
	s_cbranch_execz .LBB10_246
; %bb.245:
	v_mov_b32_e32 v10, s18
	v_mov_b32_e32 v11, s19
	;; [unrolled: 1-line block ×4, first 2 shown]
	global_store_dwordx4 v[8:9], v[10:13], off offset:8
.LBB10_246:
	s_or_b64 exec, exec, s[22:23]
	s_lshl_b64 s[18:19], s[20:21], 12
	v_mov_b32_e32 v3, s19
	v_add_co_u32_e32 v6, vcc, s18, v6
	v_addc_co_u32_e32 v7, vcc, v7, v3, vcc
	s_movk_i32 s15, 0xff1d
	v_and_or_b32 v0, v0, s15, 34
	s_mov_b32 s20, 0
	v_mov_b32_e32 v3, v2
	v_readfirstlane_b32 s18, v6
	v_readfirstlane_b32 s19, v7
	s_mov_b32 s21, s20
	s_mov_b32 s22, s20
	;; [unrolled: 1-line block ×3, first 2 shown]
	s_nop 1
	global_store_dwordx4 v31, v[0:3], s[18:19]
	s_nop 0
	v_mov_b32_e32 v0, s20
	v_mov_b32_e32 v1, s21
	;; [unrolled: 1-line block ×4, first 2 shown]
	global_store_dwordx4 v31, v[0:3], s[18:19] offset:16
	global_store_dwordx4 v31, v[0:3], s[18:19] offset:32
	;; [unrolled: 1-line block ×3, first 2 shown]
	s_and_saveexec_b64 s[18:19], s[4:5]
	s_cbranch_execz .LBB10_254
; %bb.247:
	v_mov_b32_e32 v6, 0
	global_load_dwordx2 v[12:13], v6, s[6:7] offset:32 glc
	global_load_dwordx2 v[0:1], v6, s[6:7] offset:40
	v_mov_b32_e32 v10, s16
	v_mov_b32_e32 v11, s17
	s_waitcnt vmcnt(0)
	v_readfirstlane_b32 s20, v0
	v_readfirstlane_b32 s21, v1
	s_and_b64 s[20:21], s[20:21], s[16:17]
	s_mul_i32 s15, s21, 24
	s_mul_hi_u32 s21, s20, 24
	s_mul_i32 s20, s20, 24
	s_add_i32 s15, s21, s15
	v_mov_b32_e32 v0, s15
	v_add_co_u32_e32 v4, vcc, s20, v4
	v_addc_co_u32_e32 v5, vcc, v5, v0, vcc
	global_store_dwordx2 v[4:5], v[12:13], off
	s_waitcnt vmcnt(0)
	global_atomic_cmpswap_x2 v[2:3], v6, v[10:13], s[6:7] offset:32 glc
	s_waitcnt vmcnt(0)
	v_cmp_ne_u64_e32 vcc, v[2:3], v[12:13]
	s_and_saveexec_b64 s[20:21], vcc
	s_cbranch_execz .LBB10_250
; %bb.248:
	s_mov_b64 s[22:23], 0
.LBB10_249:                             ; =>This Inner Loop Header: Depth=1
	s_sleep 1
	global_store_dwordx2 v[4:5], v[2:3], off
	v_mov_b32_e32 v0, s16
	v_mov_b32_e32 v1, s17
	s_waitcnt vmcnt(0)
	global_atomic_cmpswap_x2 v[0:1], v6, v[0:3], s[6:7] offset:32 glc
	s_waitcnt vmcnt(0)
	v_cmp_eq_u64_e32 vcc, v[0:1], v[2:3]
	v_mov_b32_e32 v3, v1
	s_or_b64 s[22:23], vcc, s[22:23]
	v_mov_b32_e32 v2, v0
	s_andn2_b64 exec, exec, s[22:23]
	s_cbranch_execnz .LBB10_249
.LBB10_250:
	s_or_b64 exec, exec, s[20:21]
	v_mov_b32_e32 v3, 0
	global_load_dwordx2 v[0:1], v3, s[6:7] offset:16
	s_mov_b64 s[20:21], exec
	v_mbcnt_lo_u32_b32 v2, s20, 0
	v_mbcnt_hi_u32_b32 v2, s21, v2
	v_cmp_eq_u32_e32 vcc, 0, v2
	s_and_saveexec_b64 s[22:23], vcc
	s_cbranch_execz .LBB10_252
; %bb.251:
	s_bcnt1_i32_b64 s15, s[20:21]
	v_mov_b32_e32 v2, s15
	s_waitcnt vmcnt(0)
	global_atomic_add_x2 v[0:1], v[2:3], off offset:8
.LBB10_252:
	s_or_b64 exec, exec, s[22:23]
	s_waitcnt vmcnt(0)
	global_load_dwordx2 v[2:3], v[0:1], off offset:16
	s_waitcnt vmcnt(0)
	v_cmp_eq_u64_e32 vcc, 0, v[2:3]
	s_cbranch_vccnz .LBB10_254
; %bb.253:
	global_load_dword v0, v[0:1], off offset:24
	v_mov_b32_e32 v1, 0
	s_waitcnt vmcnt(0)
	global_store_dwordx2 v[2:3], v[0:1], off
	v_and_b32_e32 v0, 0xffffff, v0
	v_readfirstlane_b32 m0, v0
	s_sendmsg sendmsg(MSG_INTERRUPT)
.LBB10_254:
	s_or_b64 exec, exec, s[18:19]
	s_branch .LBB10_258
.LBB10_255:                             ;   in Loop: Header=BB10_258 Depth=1
	s_or_b64 exec, exec, s[18:19]
	v_readfirstlane_b32 s15, v0
	s_cmp_eq_u32 s15, 0
	s_cbranch_scc1 .LBB10_257
; %bb.256:                              ;   in Loop: Header=BB10_258 Depth=1
	s_sleep 1
	s_cbranch_execnz .LBB10_258
	s_branch .LBB10_260
.LBB10_257:
	s_branch .LBB10_260
.LBB10_258:                             ; =>This Inner Loop Header: Depth=1
	v_mov_b32_e32 v0, 1
	s_and_saveexec_b64 s[18:19], s[4:5]
	s_cbranch_execz .LBB10_255
; %bb.259:                              ;   in Loop: Header=BB10_258 Depth=1
	global_load_dword v0, v[8:9], off offset:20 glc
	s_waitcnt vmcnt(0)
	buffer_wbinvl1_vol
	v_and_b32_e32 v0, 1, v0
	s_branch .LBB10_255
.LBB10_260:
	s_and_saveexec_b64 s[18:19], s[4:5]
	s_cbranch_execz .LBB10_263
; %bb.261:
	v_mov_b32_e32 v6, 0
	global_load_dwordx2 v[2:3], v6, s[6:7] offset:40
	global_load_dwordx2 v[7:8], v6, s[6:7] offset:24 glc
	global_load_dwordx2 v[4:5], v6, s[6:7]
	v_mov_b32_e32 v1, s17
	s_mov_b64 s[4:5], 0
	s_waitcnt vmcnt(2)
	v_add_co_u32_e32 v9, vcc, 1, v2
	v_addc_co_u32_e32 v10, vcc, 0, v3, vcc
	v_add_co_u32_e32 v0, vcc, s16, v9
	v_addc_co_u32_e32 v1, vcc, v10, v1, vcc
	v_cmp_eq_u64_e32 vcc, 0, v[0:1]
	v_cndmask_b32_e32 v1, v1, v10, vcc
	v_cndmask_b32_e32 v0, v0, v9, vcc
	v_and_b32_e32 v3, v1, v3
	v_and_b32_e32 v2, v0, v2
	v_mul_lo_u32 v3, v3, 24
	v_mul_hi_u32 v9, v2, 24
	v_mul_lo_u32 v10, v2, 24
	s_waitcnt vmcnt(1)
	v_mov_b32_e32 v2, v7
	v_add_u32_e32 v3, v9, v3
	s_waitcnt vmcnt(0)
	v_add_co_u32_e32 v4, vcc, v4, v10
	v_addc_co_u32_e32 v5, vcc, v5, v3, vcc
	global_store_dwordx2 v[4:5], v[7:8], off
	v_mov_b32_e32 v3, v8
	s_waitcnt vmcnt(0)
	global_atomic_cmpswap_x2 v[2:3], v6, v[0:3], s[6:7] offset:24 glc
	s_waitcnt vmcnt(0)
	v_cmp_ne_u64_e32 vcc, v[2:3], v[7:8]
	s_and_b64 exec, exec, vcc
	s_cbranch_execz .LBB10_263
.LBB10_262:                             ; =>This Inner Loop Header: Depth=1
	s_sleep 1
	global_store_dwordx2 v[4:5], v[2:3], off
	s_waitcnt vmcnt(0)
	global_atomic_cmpswap_x2 v[7:8], v6, v[0:3], s[6:7] offset:24 glc
	s_waitcnt vmcnt(0)
	v_cmp_eq_u64_e32 vcc, v[7:8], v[2:3]
	v_mov_b32_e32 v2, v7
	s_or_b64 s[4:5], vcc, s[4:5]
	v_mov_b32_e32 v3, v8
	s_andn2_b64 exec, exec, s[4:5]
	s_cbranch_execnz .LBB10_262
.LBB10_263:
	s_or_b64 exec, exec, s[18:19]
.LBB10_264:
	v_readfirstlane_b32 s4, v32
	s_waitcnt vmcnt(0)
	v_mov_b32_e32 v5, 0
	v_mov_b32_e32 v6, 0
	v_cmp_eq_u32_e64 s[4:5], s4, v32
	s_and_saveexec_b64 s[16:17], s[4:5]
	s_cbranch_execz .LBB10_270
; %bb.265:
	v_mov_b32_e32 v0, 0
	global_load_dwordx2 v[3:4], v0, s[6:7] offset:24 glc
	s_waitcnt vmcnt(0)
	buffer_wbinvl1_vol
	global_load_dwordx2 v[1:2], v0, s[6:7] offset:40
	global_load_dwordx2 v[5:6], v0, s[6:7]
	s_waitcnt vmcnt(1)
	v_and_b32_e32 v1, v1, v3
	v_and_b32_e32 v2, v2, v4
	v_mul_lo_u32 v2, v2, 24
	v_mul_hi_u32 v7, v1, 24
	v_mul_lo_u32 v1, v1, 24
	v_add_u32_e32 v2, v7, v2
	s_waitcnt vmcnt(0)
	v_add_co_u32_e32 v1, vcc, v5, v1
	v_addc_co_u32_e32 v2, vcc, v6, v2, vcc
	global_load_dwordx2 v[1:2], v[1:2], off glc
	s_waitcnt vmcnt(0)
	global_atomic_cmpswap_x2 v[5:6], v0, v[1:4], s[6:7] offset:24 glc
	s_waitcnt vmcnt(0)
	buffer_wbinvl1_vol
	v_cmp_ne_u64_e32 vcc, v[5:6], v[3:4]
	s_and_saveexec_b64 s[18:19], vcc
	s_cbranch_execz .LBB10_269
; %bb.266:
	s_mov_b64 s[20:21], 0
.LBB10_267:                             ; =>This Inner Loop Header: Depth=1
	s_sleep 1
	global_load_dwordx2 v[1:2], v0, s[6:7] offset:40
	global_load_dwordx2 v[7:8], v0, s[6:7]
	v_mov_b32_e32 v3, v5
	v_mov_b32_e32 v4, v6
	s_waitcnt vmcnt(1)
	v_and_b32_e32 v1, v1, v3
	s_waitcnt vmcnt(0)
	v_mad_u64_u32 v[5:6], s[22:23], v1, 24, v[7:8]
	v_and_b32_e32 v2, v2, v4
	v_mov_b32_e32 v1, v6
	v_mad_u64_u32 v[1:2], s[22:23], v2, 24, v[1:2]
	v_mov_b32_e32 v6, v1
	global_load_dwordx2 v[1:2], v[5:6], off glc
	s_waitcnt vmcnt(0)
	global_atomic_cmpswap_x2 v[5:6], v0, v[1:4], s[6:7] offset:24 glc
	s_waitcnt vmcnt(0)
	buffer_wbinvl1_vol
	v_cmp_eq_u64_e32 vcc, v[5:6], v[3:4]
	s_or_b64 s[20:21], vcc, s[20:21]
	s_andn2_b64 exec, exec, s[20:21]
	s_cbranch_execnz .LBB10_267
; %bb.268:
	s_or_b64 exec, exec, s[20:21]
.LBB10_269:
	s_or_b64 exec, exec, s[18:19]
.LBB10_270:
	s_or_b64 exec, exec, s[16:17]
	v_mov_b32_e32 v4, 0
	global_load_dwordx2 v[7:8], v4, s[6:7] offset:40
	global_load_dwordx4 v[0:3], v4, s[6:7]
	v_readfirstlane_b32 s16, v5
	v_readfirstlane_b32 s17, v6
	s_mov_b64 s[18:19], exec
	s_waitcnt vmcnt(1)
	v_readfirstlane_b32 s20, v7
	v_readfirstlane_b32 s21, v8
	s_and_b64 s[20:21], s[16:17], s[20:21]
	s_mul_i32 s15, s21, 24
	s_mul_hi_u32 s22, s20, 24
	s_mul_i32 s23, s20, 24
	s_add_i32 s15, s22, s15
	v_mov_b32_e32 v5, s15
	s_waitcnt vmcnt(0)
	v_add_co_u32_e32 v7, vcc, s23, v0
	v_addc_co_u32_e32 v8, vcc, v1, v5, vcc
	s_and_saveexec_b64 s[22:23], s[4:5]
	s_cbranch_execz .LBB10_272
; %bb.271:
	v_mov_b32_e32 v9, s18
	v_mov_b32_e32 v10, s19
	;; [unrolled: 1-line block ×4, first 2 shown]
	global_store_dwordx4 v[7:8], v[9:12], off offset:8
.LBB10_272:
	s_or_b64 exec, exec, s[22:23]
	s_lshl_b64 s[18:19], s[20:21], 12
	v_mov_b32_e32 v5, s19
	v_add_co_u32_e32 v2, vcc, s18, v2
	v_addc_co_u32_e32 v11, vcc, v3, v5, vcc
	s_mov_b32 s20, 0
	v_mov_b32_e32 v3, 33
	v_mov_b32_e32 v5, v4
	;; [unrolled: 1-line block ×3, first 2 shown]
	v_readfirstlane_b32 s18, v2
	v_readfirstlane_b32 s19, v11
	v_add_co_u32_e32 v9, vcc, v2, v31
	s_mov_b32 s21, s20
	s_mov_b32 s22, s20
	;; [unrolled: 1-line block ×3, first 2 shown]
	s_nop 0
	global_store_dwordx4 v31, v[3:6], s[18:19]
	v_mov_b32_e32 v2, s20
	v_addc_co_u32_e32 v10, vcc, 0, v11, vcc
	v_mov_b32_e32 v3, s21
	v_mov_b32_e32 v4, s22
	;; [unrolled: 1-line block ×3, first 2 shown]
	global_store_dwordx4 v31, v[2:5], s[18:19] offset:16
	global_store_dwordx4 v31, v[2:5], s[18:19] offset:32
	;; [unrolled: 1-line block ×3, first 2 shown]
	s_and_saveexec_b64 s[18:19], s[4:5]
	s_cbranch_execz .LBB10_280
; %bb.273:
	v_mov_b32_e32 v6, 0
	global_load_dwordx2 v[13:14], v6, s[6:7] offset:32 glc
	global_load_dwordx2 v[2:3], v6, s[6:7] offset:40
	v_mov_b32_e32 v11, s16
	v_mov_b32_e32 v12, s17
	s_waitcnt vmcnt(0)
	v_readfirstlane_b32 s20, v2
	v_readfirstlane_b32 s21, v3
	s_and_b64 s[20:21], s[20:21], s[16:17]
	s_mul_i32 s15, s21, 24
	s_mul_hi_u32 s21, s20, 24
	s_mul_i32 s20, s20, 24
	s_add_i32 s15, s21, s15
	v_mov_b32_e32 v2, s15
	v_add_co_u32_e32 v4, vcc, s20, v0
	v_addc_co_u32_e32 v5, vcc, v1, v2, vcc
	global_store_dwordx2 v[4:5], v[13:14], off
	s_waitcnt vmcnt(0)
	global_atomic_cmpswap_x2 v[2:3], v6, v[11:14], s[6:7] offset:32 glc
	s_waitcnt vmcnt(0)
	v_cmp_ne_u64_e32 vcc, v[2:3], v[13:14]
	s_and_saveexec_b64 s[20:21], vcc
	s_cbranch_execz .LBB10_276
; %bb.274:
	s_mov_b64 s[22:23], 0
.LBB10_275:                             ; =>This Inner Loop Header: Depth=1
	s_sleep 1
	global_store_dwordx2 v[4:5], v[2:3], off
	v_mov_b32_e32 v0, s16
	v_mov_b32_e32 v1, s17
	s_waitcnt vmcnt(0)
	global_atomic_cmpswap_x2 v[0:1], v6, v[0:3], s[6:7] offset:32 glc
	s_waitcnt vmcnt(0)
	v_cmp_eq_u64_e32 vcc, v[0:1], v[2:3]
	v_mov_b32_e32 v3, v1
	s_or_b64 s[22:23], vcc, s[22:23]
	v_mov_b32_e32 v2, v0
	s_andn2_b64 exec, exec, s[22:23]
	s_cbranch_execnz .LBB10_275
.LBB10_276:
	s_or_b64 exec, exec, s[20:21]
	v_mov_b32_e32 v3, 0
	global_load_dwordx2 v[0:1], v3, s[6:7] offset:16
	s_mov_b64 s[20:21], exec
	v_mbcnt_lo_u32_b32 v2, s20, 0
	v_mbcnt_hi_u32_b32 v2, s21, v2
	v_cmp_eq_u32_e32 vcc, 0, v2
	s_and_saveexec_b64 s[22:23], vcc
	s_cbranch_execz .LBB10_278
; %bb.277:
	s_bcnt1_i32_b64 s15, s[20:21]
	v_mov_b32_e32 v2, s15
	s_waitcnt vmcnt(0)
	global_atomic_add_x2 v[0:1], v[2:3], off offset:8
.LBB10_278:
	s_or_b64 exec, exec, s[22:23]
	s_waitcnt vmcnt(0)
	global_load_dwordx2 v[2:3], v[0:1], off offset:16
	s_waitcnt vmcnt(0)
	v_cmp_eq_u64_e32 vcc, 0, v[2:3]
	s_cbranch_vccnz .LBB10_280
; %bb.279:
	global_load_dword v0, v[0:1], off offset:24
	v_mov_b32_e32 v1, 0
	s_waitcnt vmcnt(0)
	global_store_dwordx2 v[2:3], v[0:1], off
	v_and_b32_e32 v0, 0xffffff, v0
	v_readfirstlane_b32 m0, v0
	s_sendmsg sendmsg(MSG_INTERRUPT)
.LBB10_280:
	s_or_b64 exec, exec, s[18:19]
	s_branch .LBB10_284
.LBB10_281:                             ;   in Loop: Header=BB10_284 Depth=1
	s_or_b64 exec, exec, s[18:19]
	v_readfirstlane_b32 s15, v0
	s_cmp_eq_u32 s15, 0
	s_cbranch_scc1 .LBB10_283
; %bb.282:                              ;   in Loop: Header=BB10_284 Depth=1
	s_sleep 1
	s_cbranch_execnz .LBB10_284
	s_branch .LBB10_286
.LBB10_283:
	s_branch .LBB10_286
.LBB10_284:                             ; =>This Inner Loop Header: Depth=1
	v_mov_b32_e32 v0, 1
	s_and_saveexec_b64 s[18:19], s[4:5]
	s_cbranch_execz .LBB10_281
; %bb.285:                              ;   in Loop: Header=BB10_284 Depth=1
	global_load_dword v0, v[7:8], off offset:20 glc
	s_waitcnt vmcnt(0)
	buffer_wbinvl1_vol
	v_and_b32_e32 v0, 1, v0
	s_branch .LBB10_281
.LBB10_286:
	global_load_dwordx2 v[0:1], v[9:10], off
	s_and_saveexec_b64 s[18:19], s[4:5]
	s_cbranch_execz .LBB10_289
; %bb.287:
	v_mov_b32_e32 v8, 0
	global_load_dwordx2 v[4:5], v8, s[6:7] offset:40
	global_load_dwordx2 v[9:10], v8, s[6:7] offset:24 glc
	global_load_dwordx2 v[6:7], v8, s[6:7]
	v_mov_b32_e32 v3, s17
	s_mov_b64 s[4:5], 0
	s_waitcnt vmcnt(2)
	v_add_co_u32_e32 v11, vcc, 1, v4
	v_addc_co_u32_e32 v12, vcc, 0, v5, vcc
	v_add_co_u32_e32 v2, vcc, s16, v11
	v_addc_co_u32_e32 v3, vcc, v12, v3, vcc
	v_cmp_eq_u64_e32 vcc, 0, v[2:3]
	v_cndmask_b32_e32 v3, v3, v12, vcc
	v_cndmask_b32_e32 v2, v2, v11, vcc
	v_and_b32_e32 v5, v3, v5
	v_and_b32_e32 v4, v2, v4
	v_mul_lo_u32 v5, v5, 24
	v_mul_hi_u32 v11, v4, 24
	v_mul_lo_u32 v12, v4, 24
	s_waitcnt vmcnt(1)
	v_mov_b32_e32 v4, v9
	v_add_u32_e32 v5, v11, v5
	s_waitcnt vmcnt(0)
	v_add_co_u32_e32 v6, vcc, v6, v12
	v_addc_co_u32_e32 v7, vcc, v7, v5, vcc
	global_store_dwordx2 v[6:7], v[9:10], off
	v_mov_b32_e32 v5, v10
	s_waitcnt vmcnt(0)
	global_atomic_cmpswap_x2 v[4:5], v8, v[2:5], s[6:7] offset:24 glc
	s_waitcnt vmcnt(0)
	v_cmp_ne_u64_e32 vcc, v[4:5], v[9:10]
	s_and_b64 exec, exec, vcc
	s_cbranch_execz .LBB10_289
.LBB10_288:                             ; =>This Inner Loop Header: Depth=1
	s_sleep 1
	global_store_dwordx2 v[6:7], v[4:5], off
	s_waitcnt vmcnt(0)
	global_atomic_cmpswap_x2 v[9:10], v8, v[2:5], s[6:7] offset:24 glc
	s_waitcnt vmcnt(0)
	v_cmp_eq_u64_e32 vcc, v[9:10], v[4:5]
	v_mov_b32_e32 v4, v9
	s_or_b64 s[4:5], vcc, s[4:5]
	v_mov_b32_e32 v5, v10
	s_andn2_b64 exec, exec, s[4:5]
	s_cbranch_execnz .LBB10_288
.LBB10_289:
	s_or_b64 exec, exec, s[18:19]
	s_getpc_b64 s[18:19]
	s_add_u32 s18, s18, .str.6@rel32@lo+4
	s_addc_u32 s19, s19, .str.6@rel32@hi+12
	s_cmp_lg_u64 s[18:19], 0
	s_cselect_b64 s[16:17], -1, 0
	s_and_b64 vcc, exec, s[16:17]
	s_cbranch_vccz .LBB10_374
; %bb.290:
	s_waitcnt vmcnt(0)
	v_and_b32_e32 v33, 2, v0
	v_mov_b32_e32 v28, 0
	v_and_b32_e32 v2, -3, v0
	v_mov_b32_e32 v3, v1
	s_mov_b64 s[20:21], 3
	v_mov_b32_e32 v6, 2
	v_mov_b32_e32 v7, 1
	s_branch .LBB10_292
.LBB10_291:                             ;   in Loop: Header=BB10_292 Depth=1
	s_or_b64 exec, exec, s[26:27]
	s_sub_u32 s20, s20, s22
	s_subb_u32 s21, s21, s23
	s_add_u32 s18, s18, s22
	s_addc_u32 s19, s19, s23
	s_cmp_lg_u64 s[20:21], 0
	s_cbranch_scc0 .LBB10_373
.LBB10_292:                             ; =>This Loop Header: Depth=1
                                        ;     Child Loop BB10_295 Depth 2
                                        ;     Child Loop BB10_302 Depth 2
	;; [unrolled: 1-line block ×11, first 2 shown]
	v_cmp_lt_u64_e64 s[4:5], s[20:21], 56
	v_cmp_gt_u64_e64 s[24:25], s[20:21], 7
	s_and_b64 s[4:5], s[4:5], exec
	s_cselect_b32 s23, s21, 0
	s_cselect_b32 s22, s20, 56
	s_and_b64 vcc, exec, s[24:25]
	s_cbranch_vccnz .LBB10_297
; %bb.293:                              ;   in Loop: Header=BB10_292 Depth=1
	v_mov_b32_e32 v10, 0
	s_cmp_eq_u64 s[20:21], 0
	v_mov_b32_e32 v11, 0
	s_mov_b64 s[4:5], 0
	s_cbranch_scc1 .LBB10_296
; %bb.294:                              ;   in Loop: Header=BB10_292 Depth=1
	v_mov_b32_e32 v10, 0
	s_lshl_b64 s[24:25], s[22:23], 3
	s_mov_b64 s[26:27], 0
	v_mov_b32_e32 v11, 0
	s_mov_b64 s[28:29], s[18:19]
.LBB10_295:                             ;   Parent Loop BB10_292 Depth=1
                                        ; =>  This Inner Loop Header: Depth=2
	global_load_ubyte v4, v28, s[28:29]
	s_waitcnt vmcnt(0)
	v_and_b32_e32 v27, 0xffff, v4
	v_lshlrev_b64 v[4:5], s26, v[27:28]
	s_add_u32 s26, s26, 8
	s_addc_u32 s27, s27, 0
	s_add_u32 s28, s28, 1
	s_addc_u32 s29, s29, 0
	v_or_b32_e32 v10, v4, v10
	s_cmp_lg_u32 s24, s26
	v_or_b32_e32 v11, v5, v11
	s_cbranch_scc1 .LBB10_295
.LBB10_296:                             ;   in Loop: Header=BB10_292 Depth=1
	s_mov_b32 s15, 0
	s_andn2_b64 vcc, exec, s[4:5]
	s_mov_b64 s[4:5], s[18:19]
	s_cbranch_vccz .LBB10_298
	s_branch .LBB10_299
.LBB10_297:                             ;   in Loop: Header=BB10_292 Depth=1
                                        ; implicit-def: $vgpr10_vgpr11
                                        ; implicit-def: $sgpr15
	s_mov_b64 s[4:5], s[18:19]
.LBB10_298:                             ;   in Loop: Header=BB10_292 Depth=1
	global_load_dwordx2 v[10:11], v28, s[18:19]
	s_add_i32 s15, s22, -8
	s_add_u32 s4, s18, 8
	s_addc_u32 s5, s19, 0
.LBB10_299:                             ;   in Loop: Header=BB10_292 Depth=1
	s_cmp_gt_u32 s15, 7
	s_cbranch_scc1 .LBB10_303
; %bb.300:                              ;   in Loop: Header=BB10_292 Depth=1
	s_cmp_eq_u32 s15, 0
	s_cbranch_scc1 .LBB10_304
; %bb.301:                              ;   in Loop: Header=BB10_292 Depth=1
	v_mov_b32_e32 v12, 0
	s_mov_b64 s[24:25], 0
	v_mov_b32_e32 v13, 0
	s_mov_b64 s[26:27], 0
.LBB10_302:                             ;   Parent Loop BB10_292 Depth=1
                                        ; =>  This Inner Loop Header: Depth=2
	s_add_u32 s28, s4, s26
	s_addc_u32 s29, s5, s27
	global_load_ubyte v4, v28, s[28:29]
	s_add_u32 s26, s26, 1
	s_addc_u32 s27, s27, 0
	s_waitcnt vmcnt(0)
	v_and_b32_e32 v27, 0xffff, v4
	v_lshlrev_b64 v[4:5], s24, v[27:28]
	s_add_u32 s24, s24, 8
	s_addc_u32 s25, s25, 0
	v_or_b32_e32 v12, v4, v12
	s_cmp_lg_u32 s15, s26
	v_or_b32_e32 v13, v5, v13
	s_cbranch_scc1 .LBB10_302
	s_branch .LBB10_305
.LBB10_303:                             ;   in Loop: Header=BB10_292 Depth=1
                                        ; implicit-def: $vgpr12_vgpr13
                                        ; implicit-def: $sgpr28
	s_branch .LBB10_306
.LBB10_304:                             ;   in Loop: Header=BB10_292 Depth=1
	v_mov_b32_e32 v12, 0
	v_mov_b32_e32 v13, 0
.LBB10_305:                             ;   in Loop: Header=BB10_292 Depth=1
	s_mov_b32 s28, 0
	s_cbranch_execnz .LBB10_307
.LBB10_306:                             ;   in Loop: Header=BB10_292 Depth=1
	global_load_dwordx2 v[12:13], v28, s[4:5]
	s_add_i32 s28, s15, -8
	s_add_u32 s4, s4, 8
	s_addc_u32 s5, s5, 0
.LBB10_307:                             ;   in Loop: Header=BB10_292 Depth=1
	s_cmp_gt_u32 s28, 7
	s_cbranch_scc1 .LBB10_311
; %bb.308:                              ;   in Loop: Header=BB10_292 Depth=1
	s_cmp_eq_u32 s28, 0
	s_cbranch_scc1 .LBB10_312
; %bb.309:                              ;   in Loop: Header=BB10_292 Depth=1
	v_mov_b32_e32 v14, 0
	s_mov_b64 s[24:25], 0
	v_mov_b32_e32 v15, 0
	s_mov_b64 s[26:27], 0
.LBB10_310:                             ;   Parent Loop BB10_292 Depth=1
                                        ; =>  This Inner Loop Header: Depth=2
	s_add_u32 vcc_lo, s4, s26
	s_addc_u32 vcc_hi, s5, s27
	global_load_ubyte v4, v28, vcc
	s_add_u32 s26, s26, 1
	s_addc_u32 s27, s27, 0
	s_waitcnt vmcnt(0)
	v_and_b32_e32 v27, 0xffff, v4
	v_lshlrev_b64 v[4:5], s24, v[27:28]
	s_add_u32 s24, s24, 8
	s_addc_u32 s25, s25, 0
	v_or_b32_e32 v14, v4, v14
	s_cmp_lg_u32 s28, s26
	v_or_b32_e32 v15, v5, v15
	s_cbranch_scc1 .LBB10_310
	s_branch .LBB10_313
.LBB10_311:                             ;   in Loop: Header=BB10_292 Depth=1
                                        ; implicit-def: $sgpr15
	s_branch .LBB10_314
.LBB10_312:                             ;   in Loop: Header=BB10_292 Depth=1
	v_mov_b32_e32 v14, 0
	v_mov_b32_e32 v15, 0
.LBB10_313:                             ;   in Loop: Header=BB10_292 Depth=1
	s_mov_b32 s15, 0
	s_cbranch_execnz .LBB10_315
.LBB10_314:                             ;   in Loop: Header=BB10_292 Depth=1
	global_load_dwordx2 v[14:15], v28, s[4:5]
	s_add_i32 s15, s28, -8
	s_add_u32 s4, s4, 8
	s_addc_u32 s5, s5, 0
.LBB10_315:                             ;   in Loop: Header=BB10_292 Depth=1
	s_cmp_gt_u32 s15, 7
	s_cbranch_scc1 .LBB10_319
; %bb.316:                              ;   in Loop: Header=BB10_292 Depth=1
	s_cmp_eq_u32 s15, 0
	s_cbranch_scc1 .LBB10_320
; %bb.317:                              ;   in Loop: Header=BB10_292 Depth=1
	v_mov_b32_e32 v16, 0
	s_mov_b64 s[24:25], 0
	v_mov_b32_e32 v17, 0
	s_mov_b64 s[26:27], 0
.LBB10_318:                             ;   Parent Loop BB10_292 Depth=1
                                        ; =>  This Inner Loop Header: Depth=2
	s_add_u32 s28, s4, s26
	s_addc_u32 s29, s5, s27
	global_load_ubyte v4, v28, s[28:29]
	s_add_u32 s26, s26, 1
	s_addc_u32 s27, s27, 0
	s_waitcnt vmcnt(0)
	v_and_b32_e32 v27, 0xffff, v4
	v_lshlrev_b64 v[4:5], s24, v[27:28]
	s_add_u32 s24, s24, 8
	s_addc_u32 s25, s25, 0
	v_or_b32_e32 v16, v4, v16
	s_cmp_lg_u32 s15, s26
	v_or_b32_e32 v17, v5, v17
	s_cbranch_scc1 .LBB10_318
	s_branch .LBB10_321
.LBB10_319:                             ;   in Loop: Header=BB10_292 Depth=1
                                        ; implicit-def: $vgpr16_vgpr17
                                        ; implicit-def: $sgpr28
	s_branch .LBB10_322
.LBB10_320:                             ;   in Loop: Header=BB10_292 Depth=1
	v_mov_b32_e32 v16, 0
	v_mov_b32_e32 v17, 0
.LBB10_321:                             ;   in Loop: Header=BB10_292 Depth=1
	s_mov_b32 s28, 0
	s_cbranch_execnz .LBB10_323
.LBB10_322:                             ;   in Loop: Header=BB10_292 Depth=1
	global_load_dwordx2 v[16:17], v28, s[4:5]
	s_add_i32 s28, s15, -8
	s_add_u32 s4, s4, 8
	s_addc_u32 s5, s5, 0
.LBB10_323:                             ;   in Loop: Header=BB10_292 Depth=1
	s_cmp_gt_u32 s28, 7
	s_cbranch_scc1 .LBB10_327
; %bb.324:                              ;   in Loop: Header=BB10_292 Depth=1
	s_cmp_eq_u32 s28, 0
	s_cbranch_scc1 .LBB10_328
; %bb.325:                              ;   in Loop: Header=BB10_292 Depth=1
	v_mov_b32_e32 v18, 0
	s_mov_b64 s[24:25], 0
	v_mov_b32_e32 v19, 0
	s_mov_b64 s[26:27], 0
.LBB10_326:                             ;   Parent Loop BB10_292 Depth=1
                                        ; =>  This Inner Loop Header: Depth=2
	s_add_u32 vcc_lo, s4, s26
	s_addc_u32 vcc_hi, s5, s27
	global_load_ubyte v4, v28, vcc
	s_add_u32 s26, s26, 1
	s_addc_u32 s27, s27, 0
	s_waitcnt vmcnt(0)
	v_and_b32_e32 v27, 0xffff, v4
	v_lshlrev_b64 v[4:5], s24, v[27:28]
	s_add_u32 s24, s24, 8
	s_addc_u32 s25, s25, 0
	v_or_b32_e32 v18, v4, v18
	s_cmp_lg_u32 s28, s26
	v_or_b32_e32 v19, v5, v19
	s_cbranch_scc1 .LBB10_326
	s_branch .LBB10_329
.LBB10_327:                             ;   in Loop: Header=BB10_292 Depth=1
                                        ; implicit-def: $sgpr15
	s_branch .LBB10_330
.LBB10_328:                             ;   in Loop: Header=BB10_292 Depth=1
	v_mov_b32_e32 v18, 0
	v_mov_b32_e32 v19, 0
.LBB10_329:                             ;   in Loop: Header=BB10_292 Depth=1
	s_mov_b32 s15, 0
	s_cbranch_execnz .LBB10_331
.LBB10_330:                             ;   in Loop: Header=BB10_292 Depth=1
	global_load_dwordx2 v[18:19], v28, s[4:5]
	s_add_i32 s15, s28, -8
	s_add_u32 s4, s4, 8
	s_addc_u32 s5, s5, 0
.LBB10_331:                             ;   in Loop: Header=BB10_292 Depth=1
	s_cmp_gt_u32 s15, 7
	s_cbranch_scc1 .LBB10_335
; %bb.332:                              ;   in Loop: Header=BB10_292 Depth=1
	s_cmp_eq_u32 s15, 0
	s_cbranch_scc1 .LBB10_336
; %bb.333:                              ;   in Loop: Header=BB10_292 Depth=1
	v_mov_b32_e32 v20, 0
	s_mov_b64 s[24:25], 0
	v_mov_b32_e32 v21, 0
	s_mov_b64 s[26:27], 0
.LBB10_334:                             ;   Parent Loop BB10_292 Depth=1
                                        ; =>  This Inner Loop Header: Depth=2
	s_add_u32 s28, s4, s26
	s_addc_u32 s29, s5, s27
	global_load_ubyte v4, v28, s[28:29]
	s_add_u32 s26, s26, 1
	s_addc_u32 s27, s27, 0
	s_waitcnt vmcnt(0)
	v_and_b32_e32 v27, 0xffff, v4
	v_lshlrev_b64 v[4:5], s24, v[27:28]
	s_add_u32 s24, s24, 8
	s_addc_u32 s25, s25, 0
	v_or_b32_e32 v20, v4, v20
	s_cmp_lg_u32 s15, s26
	v_or_b32_e32 v21, v5, v21
	s_cbranch_scc1 .LBB10_334
	s_branch .LBB10_337
.LBB10_335:                             ;   in Loop: Header=BB10_292 Depth=1
                                        ; implicit-def: $vgpr20_vgpr21
                                        ; implicit-def: $sgpr28
	s_branch .LBB10_338
.LBB10_336:                             ;   in Loop: Header=BB10_292 Depth=1
	v_mov_b32_e32 v20, 0
	v_mov_b32_e32 v21, 0
.LBB10_337:                             ;   in Loop: Header=BB10_292 Depth=1
	s_mov_b32 s28, 0
	s_cbranch_execnz .LBB10_339
.LBB10_338:                             ;   in Loop: Header=BB10_292 Depth=1
	global_load_dwordx2 v[20:21], v28, s[4:5]
	s_add_i32 s28, s15, -8
	s_add_u32 s4, s4, 8
	s_addc_u32 s5, s5, 0
.LBB10_339:                             ;   in Loop: Header=BB10_292 Depth=1
	s_cmp_gt_u32 s28, 7
	s_cbranch_scc1 .LBB10_343
; %bb.340:                              ;   in Loop: Header=BB10_292 Depth=1
	s_cmp_eq_u32 s28, 0
	s_cbranch_scc1 .LBB10_344
; %bb.341:                              ;   in Loop: Header=BB10_292 Depth=1
	v_mov_b32_e32 v22, 0
	s_mov_b64 s[24:25], 0
	v_mov_b32_e32 v23, 0
	s_mov_b64 s[26:27], s[4:5]
.LBB10_342:                             ;   Parent Loop BB10_292 Depth=1
                                        ; =>  This Inner Loop Header: Depth=2
	global_load_ubyte v4, v28, s[26:27]
	s_add_i32 s28, s28, -1
	s_waitcnt vmcnt(0)
	v_and_b32_e32 v27, 0xffff, v4
	v_lshlrev_b64 v[4:5], s24, v[27:28]
	s_add_u32 s24, s24, 8
	s_addc_u32 s25, s25, 0
	s_add_u32 s26, s26, 1
	s_addc_u32 s27, s27, 0
	v_or_b32_e32 v22, v4, v22
	s_cmp_lg_u32 s28, 0
	v_or_b32_e32 v23, v5, v23
	s_cbranch_scc1 .LBB10_342
	s_branch .LBB10_345
.LBB10_343:                             ;   in Loop: Header=BB10_292 Depth=1
	s_branch .LBB10_346
.LBB10_344:                             ;   in Loop: Header=BB10_292 Depth=1
	v_mov_b32_e32 v22, 0
	v_mov_b32_e32 v23, 0
.LBB10_345:                             ;   in Loop: Header=BB10_292 Depth=1
	s_cbranch_execnz .LBB10_347
.LBB10_346:                             ;   in Loop: Header=BB10_292 Depth=1
	global_load_dwordx2 v[22:23], v28, s[4:5]
.LBB10_347:                             ;   in Loop: Header=BB10_292 Depth=1
	v_readfirstlane_b32 s4, v32
	s_waitcnt vmcnt(0)
	v_mov_b32_e32 v4, 0
	v_mov_b32_e32 v5, 0
	v_cmp_eq_u32_e64 s[4:5], s4, v32
	s_and_saveexec_b64 s[24:25], s[4:5]
	s_cbranch_execz .LBB10_353
; %bb.348:                              ;   in Loop: Header=BB10_292 Depth=1
	global_load_dwordx2 v[26:27], v28, s[6:7] offset:24 glc
	s_waitcnt vmcnt(0)
	buffer_wbinvl1_vol
	global_load_dwordx2 v[4:5], v28, s[6:7] offset:40
	global_load_dwordx2 v[8:9], v28, s[6:7]
	s_waitcnt vmcnt(1)
	v_and_b32_e32 v4, v4, v26
	v_and_b32_e32 v5, v5, v27
	v_mul_lo_u32 v5, v5, 24
	v_mul_hi_u32 v24, v4, 24
	v_mul_lo_u32 v4, v4, 24
	v_add_u32_e32 v5, v24, v5
	s_waitcnt vmcnt(0)
	v_add_co_u32_e32 v4, vcc, v8, v4
	v_addc_co_u32_e32 v5, vcc, v9, v5, vcc
	global_load_dwordx2 v[24:25], v[4:5], off glc
	s_waitcnt vmcnt(0)
	global_atomic_cmpswap_x2 v[4:5], v28, v[24:27], s[6:7] offset:24 glc
	s_waitcnt vmcnt(0)
	buffer_wbinvl1_vol
	v_cmp_ne_u64_e32 vcc, v[4:5], v[26:27]
	s_and_saveexec_b64 s[26:27], vcc
	s_cbranch_execz .LBB10_352
; %bb.349:                              ;   in Loop: Header=BB10_292 Depth=1
	s_mov_b64 s[28:29], 0
.LBB10_350:                             ;   Parent Loop BB10_292 Depth=1
                                        ; =>  This Inner Loop Header: Depth=2
	s_sleep 1
	global_load_dwordx2 v[8:9], v28, s[6:7] offset:40
	global_load_dwordx2 v[24:25], v28, s[6:7]
	v_mov_b32_e32 v27, v5
	v_mov_b32_e32 v26, v4
	s_waitcnt vmcnt(1)
	v_and_b32_e32 v4, v8, v26
	s_waitcnt vmcnt(0)
	v_mad_u64_u32 v[4:5], vcc, v4, 24, v[24:25]
	v_and_b32_e32 v8, v9, v27
	v_mad_u64_u32 v[8:9], vcc, v8, 24, v[5:6]
	v_mov_b32_e32 v5, v8
	global_load_dwordx2 v[24:25], v[4:5], off glc
	s_waitcnt vmcnt(0)
	global_atomic_cmpswap_x2 v[4:5], v28, v[24:27], s[6:7] offset:24 glc
	s_waitcnt vmcnt(0)
	buffer_wbinvl1_vol
	v_cmp_eq_u64_e32 vcc, v[4:5], v[26:27]
	s_or_b64 s[28:29], vcc, s[28:29]
	s_andn2_b64 exec, exec, s[28:29]
	s_cbranch_execnz .LBB10_350
; %bb.351:                              ;   in Loop: Header=BB10_292 Depth=1
	s_or_b64 exec, exec, s[28:29]
.LBB10_352:                             ;   in Loop: Header=BB10_292 Depth=1
	s_or_b64 exec, exec, s[26:27]
.LBB10_353:                             ;   in Loop: Header=BB10_292 Depth=1
	s_or_b64 exec, exec, s[24:25]
	global_load_dwordx2 v[8:9], v28, s[6:7] offset:40
	global_load_dwordx4 v[24:27], v28, s[6:7]
	v_readfirstlane_b32 s24, v4
	v_readfirstlane_b32 s25, v5
	s_mov_b64 s[26:27], exec
	s_waitcnt vmcnt(1)
	v_readfirstlane_b32 s28, v8
	v_readfirstlane_b32 s29, v9
	s_and_b64 s[28:29], s[24:25], s[28:29]
	s_mul_i32 s15, s29, 24
	s_mul_hi_u32 vcc_lo, s28, 24
	s_mul_i32 vcc_hi, s28, 24
	s_add_i32 s15, vcc_lo, s15
	v_mov_b32_e32 v4, s15
	s_waitcnt vmcnt(0)
	v_add_co_u32_e32 v29, vcc, vcc_hi, v24
	v_addc_co_u32_e32 v30, vcc, v25, v4, vcc
	s_and_saveexec_b64 vcc, s[4:5]
	s_cbranch_execz .LBB10_355
; %bb.354:                              ;   in Loop: Header=BB10_292 Depth=1
	v_mov_b32_e32 v4, s26
	v_mov_b32_e32 v5, s27
	global_store_dwordx4 v[29:30], v[4:7], off offset:8
.LBB10_355:                             ;   in Loop: Header=BB10_292 Depth=1
	s_or_b64 exec, exec, vcc
	s_lshl_b64 s[26:27], s[28:29], 12
	v_mov_b32_e32 v4, s27
	v_add_co_u32_e32 v26, vcc, s26, v26
	v_addc_co_u32_e32 v34, vcc, v27, v4, vcc
	v_cmp_gt_u64_e64 vcc, s[20:21], 56
	v_or_b32_e32 v5, v2, v33
	s_lshl_b32 s15, s22, 2
	v_cndmask_b32_e32 v2, v5, v2, vcc
	s_add_i32 s15, s15, 28
	v_or_b32_e32 v4, 0, v3
	s_and_b32 s15, s15, 0x1e0
	v_and_b32_e32 v2, 0xffffff1f, v2
	v_cndmask_b32_e32 v9, v4, v3, vcc
	v_or_b32_e32 v8, s15, v2
	v_readfirstlane_b32 s26, v26
	v_readfirstlane_b32 s27, v34
	s_nop 4
	global_store_dwordx4 v31, v[8:11], s[26:27]
	global_store_dwordx4 v31, v[12:15], s[26:27] offset:16
	global_store_dwordx4 v31, v[16:19], s[26:27] offset:32
	;; [unrolled: 1-line block ×3, first 2 shown]
	s_and_saveexec_b64 s[26:27], s[4:5]
	s_cbranch_execz .LBB10_363
; %bb.356:                              ;   in Loop: Header=BB10_292 Depth=1
	global_load_dwordx2 v[12:13], v28, s[6:7] offset:32 glc
	global_load_dwordx2 v[2:3], v28, s[6:7] offset:40
	v_mov_b32_e32 v10, s24
	v_mov_b32_e32 v11, s25
	s_waitcnt vmcnt(0)
	v_readfirstlane_b32 s28, v2
	v_readfirstlane_b32 s29, v3
	s_and_b64 s[28:29], s[28:29], s[24:25]
	s_mul_i32 s15, s29, 24
	s_mul_hi_u32 s29, s28, 24
	s_mul_i32 s28, s28, 24
	s_add_i32 s15, s29, s15
	v_mov_b32_e32 v2, s15
	v_add_co_u32_e32 v8, vcc, s28, v24
	v_addc_co_u32_e32 v9, vcc, v25, v2, vcc
	global_store_dwordx2 v[8:9], v[12:13], off
	s_waitcnt vmcnt(0)
	global_atomic_cmpswap_x2 v[4:5], v28, v[10:13], s[6:7] offset:32 glc
	s_waitcnt vmcnt(0)
	v_cmp_ne_u64_e32 vcc, v[4:5], v[12:13]
	s_and_saveexec_b64 s[28:29], vcc
	s_cbranch_execz .LBB10_359
; %bb.357:                              ;   in Loop: Header=BB10_292 Depth=1
	s_mov_b64 s[30:31], 0
.LBB10_358:                             ;   Parent Loop BB10_292 Depth=1
                                        ; =>  This Inner Loop Header: Depth=2
	s_sleep 1
	global_store_dwordx2 v[8:9], v[4:5], off
	v_mov_b32_e32 v2, s24
	v_mov_b32_e32 v3, s25
	s_waitcnt vmcnt(0)
	global_atomic_cmpswap_x2 v[2:3], v28, v[2:5], s[6:7] offset:32 glc
	s_waitcnt vmcnt(0)
	v_cmp_eq_u64_e32 vcc, v[2:3], v[4:5]
	v_mov_b32_e32 v5, v3
	s_or_b64 s[30:31], vcc, s[30:31]
	v_mov_b32_e32 v4, v2
	s_andn2_b64 exec, exec, s[30:31]
	s_cbranch_execnz .LBB10_358
.LBB10_359:                             ;   in Loop: Header=BB10_292 Depth=1
	s_or_b64 exec, exec, s[28:29]
	global_load_dwordx2 v[2:3], v28, s[6:7] offset:16
	s_mov_b64 s[30:31], exec
	v_mbcnt_lo_u32_b32 v4, s30, 0
	v_mbcnt_hi_u32_b32 v4, s31, v4
	v_cmp_eq_u32_e32 vcc, 0, v4
	s_and_saveexec_b64 s[28:29], vcc
	s_cbranch_execz .LBB10_361
; %bb.360:                              ;   in Loop: Header=BB10_292 Depth=1
	s_bcnt1_i32_b64 s15, s[30:31]
	v_mov_b32_e32 v27, s15
	s_waitcnt vmcnt(0)
	global_atomic_add_x2 v[2:3], v[27:28], off offset:8
.LBB10_361:                             ;   in Loop: Header=BB10_292 Depth=1
	s_or_b64 exec, exec, s[28:29]
	s_waitcnt vmcnt(0)
	global_load_dwordx2 v[4:5], v[2:3], off offset:16
	s_waitcnt vmcnt(0)
	v_cmp_eq_u64_e32 vcc, 0, v[4:5]
	s_cbranch_vccnz .LBB10_363
; %bb.362:                              ;   in Loop: Header=BB10_292 Depth=1
	global_load_dword v27, v[2:3], off offset:24
	s_waitcnt vmcnt(0)
	v_and_b32_e32 v2, 0xffffff, v27
	v_readfirstlane_b32 m0, v2
	global_store_dwordx2 v[4:5], v[27:28], off
	s_sendmsg sendmsg(MSG_INTERRUPT)
.LBB10_363:                             ;   in Loop: Header=BB10_292 Depth=1
	s_or_b64 exec, exec, s[26:27]
	v_add_co_u32_e32 v2, vcc, v26, v31
	v_addc_co_u32_e32 v3, vcc, 0, v34, vcc
	s_branch .LBB10_367
.LBB10_364:                             ;   in Loop: Header=BB10_367 Depth=2
	s_or_b64 exec, exec, s[26:27]
	v_readfirstlane_b32 s15, v4
	s_cmp_eq_u32 s15, 0
	s_cbranch_scc1 .LBB10_366
; %bb.365:                              ;   in Loop: Header=BB10_367 Depth=2
	s_sleep 1
	s_cbranch_execnz .LBB10_367
	s_branch .LBB10_369
.LBB10_366:                             ;   in Loop: Header=BB10_292 Depth=1
	s_branch .LBB10_369
.LBB10_367:                             ;   Parent Loop BB10_292 Depth=1
                                        ; =>  This Inner Loop Header: Depth=2
	v_mov_b32_e32 v4, 1
	s_and_saveexec_b64 s[26:27], s[4:5]
	s_cbranch_execz .LBB10_364
; %bb.368:                              ;   in Loop: Header=BB10_367 Depth=2
	global_load_dword v4, v[29:30], off offset:20 glc
	s_waitcnt vmcnt(0)
	buffer_wbinvl1_vol
	v_and_b32_e32 v4, 1, v4
	s_branch .LBB10_364
.LBB10_369:                             ;   in Loop: Header=BB10_292 Depth=1
	global_load_dwordx4 v[2:5], v[2:3], off
	s_and_saveexec_b64 s[26:27], s[4:5]
	s_cbranch_execz .LBB10_291
; %bb.370:                              ;   in Loop: Header=BB10_292 Depth=1
	global_load_dwordx2 v[4:5], v28, s[6:7] offset:40
	global_load_dwordx2 v[12:13], v28, s[6:7] offset:24 glc
	global_load_dwordx2 v[14:15], v28, s[6:7]
	v_mov_b32_e32 v9, s25
	s_waitcnt vmcnt(2)
	v_add_co_u32_e32 v10, vcc, 1, v4
	v_addc_co_u32_e32 v11, vcc, 0, v5, vcc
	v_add_co_u32_e32 v8, vcc, s24, v10
	v_addc_co_u32_e32 v9, vcc, v11, v9, vcc
	v_cmp_eq_u64_e32 vcc, 0, v[8:9]
	v_cndmask_b32_e32 v9, v9, v11, vcc
	v_cndmask_b32_e32 v8, v8, v10, vcc
	v_and_b32_e32 v5, v9, v5
	v_and_b32_e32 v4, v8, v4
	v_mul_lo_u32 v5, v5, 24
	v_mul_hi_u32 v11, v4, 24
	v_mul_lo_u32 v4, v4, 24
	s_waitcnt vmcnt(1)
	v_mov_b32_e32 v10, v12
	v_add_u32_e32 v5, v11, v5
	s_waitcnt vmcnt(0)
	v_add_co_u32_e32 v4, vcc, v14, v4
	v_addc_co_u32_e32 v5, vcc, v15, v5, vcc
	global_store_dwordx2 v[4:5], v[12:13], off
	v_mov_b32_e32 v11, v13
	s_waitcnt vmcnt(0)
	global_atomic_cmpswap_x2 v[10:11], v28, v[8:11], s[6:7] offset:24 glc
	s_waitcnt vmcnt(0)
	v_cmp_ne_u64_e32 vcc, v[10:11], v[12:13]
	s_and_b64 exec, exec, vcc
	s_cbranch_execz .LBB10_291
; %bb.371:                              ;   in Loop: Header=BB10_292 Depth=1
	s_mov_b64 s[4:5], 0
.LBB10_372:                             ;   Parent Loop BB10_292 Depth=1
                                        ; =>  This Inner Loop Header: Depth=2
	s_sleep 1
	global_store_dwordx2 v[4:5], v[10:11], off
	s_waitcnt vmcnt(0)
	global_atomic_cmpswap_x2 v[12:13], v28, v[8:11], s[6:7] offset:24 glc
	s_waitcnt vmcnt(0)
	v_cmp_eq_u64_e32 vcc, v[12:13], v[10:11]
	v_mov_b32_e32 v10, v12
	s_or_b64 s[4:5], vcc, s[4:5]
	v_mov_b32_e32 v11, v13
	s_andn2_b64 exec, exec, s[4:5]
	s_cbranch_execnz .LBB10_372
	s_branch .LBB10_291
.LBB10_373:
	s_branch .LBB10_401
.LBB10_374:
                                        ; implicit-def: $vgpr2_vgpr3
	s_cbranch_execz .LBB10_401
; %bb.375:
	v_readfirstlane_b32 s4, v32
	v_mov_b32_e32 v8, 0
	v_mov_b32_e32 v9, 0
	v_cmp_eq_u32_e64 s[4:5], s4, v32
	s_and_saveexec_b64 s[18:19], s[4:5]
	s_cbranch_execz .LBB10_381
; %bb.376:
	s_waitcnt vmcnt(0)
	v_mov_b32_e32 v2, 0
	global_load_dwordx2 v[5:6], v2, s[6:7] offset:24 glc
	s_waitcnt vmcnt(0)
	buffer_wbinvl1_vol
	global_load_dwordx2 v[3:4], v2, s[6:7] offset:40
	global_load_dwordx2 v[7:8], v2, s[6:7]
	s_waitcnt vmcnt(1)
	v_and_b32_e32 v3, v3, v5
	v_and_b32_e32 v4, v4, v6
	v_mul_lo_u32 v4, v4, 24
	v_mul_hi_u32 v9, v3, 24
	v_mul_lo_u32 v3, v3, 24
	v_add_u32_e32 v4, v9, v4
	s_waitcnt vmcnt(0)
	v_add_co_u32_e32 v3, vcc, v7, v3
	v_addc_co_u32_e32 v4, vcc, v8, v4, vcc
	global_load_dwordx2 v[3:4], v[3:4], off glc
	s_waitcnt vmcnt(0)
	global_atomic_cmpswap_x2 v[8:9], v2, v[3:6], s[6:7] offset:24 glc
	s_waitcnt vmcnt(0)
	buffer_wbinvl1_vol
	v_cmp_ne_u64_e32 vcc, v[8:9], v[5:6]
	s_and_saveexec_b64 s[20:21], vcc
	s_cbranch_execz .LBB10_380
; %bb.377:
	s_mov_b64 s[22:23], 0
.LBB10_378:                             ; =>This Inner Loop Header: Depth=1
	s_sleep 1
	global_load_dwordx2 v[3:4], v2, s[6:7] offset:40
	global_load_dwordx2 v[10:11], v2, s[6:7]
	v_mov_b32_e32 v5, v8
	v_mov_b32_e32 v6, v9
	s_waitcnt vmcnt(1)
	v_and_b32_e32 v3, v3, v5
	s_waitcnt vmcnt(0)
	v_mad_u64_u32 v[7:8], s[24:25], v3, 24, v[10:11]
	v_and_b32_e32 v4, v4, v6
	v_mov_b32_e32 v3, v8
	v_mad_u64_u32 v[3:4], s[24:25], v4, 24, v[3:4]
	v_mov_b32_e32 v8, v3
	global_load_dwordx2 v[3:4], v[7:8], off glc
	s_waitcnt vmcnt(0)
	global_atomic_cmpswap_x2 v[8:9], v2, v[3:6], s[6:7] offset:24 glc
	s_waitcnt vmcnt(0)
	buffer_wbinvl1_vol
	v_cmp_eq_u64_e32 vcc, v[8:9], v[5:6]
	s_or_b64 s[22:23], vcc, s[22:23]
	s_andn2_b64 exec, exec, s[22:23]
	s_cbranch_execnz .LBB10_378
; %bb.379:
	s_or_b64 exec, exec, s[22:23]
.LBB10_380:
	s_or_b64 exec, exec, s[20:21]
.LBB10_381:
	s_or_b64 exec, exec, s[18:19]
	s_waitcnt vmcnt(0)
	v_mov_b32_e32 v2, 0
	global_load_dwordx2 v[10:11], v2, s[6:7] offset:40
	global_load_dwordx4 v[4:7], v2, s[6:7]
	v_readfirstlane_b32 s18, v8
	v_readfirstlane_b32 s19, v9
	s_mov_b64 s[20:21], exec
	s_waitcnt vmcnt(1)
	v_readfirstlane_b32 s22, v10
	v_readfirstlane_b32 s23, v11
	s_and_b64 s[22:23], s[18:19], s[22:23]
	s_mul_i32 s15, s23, 24
	s_mul_hi_u32 s24, s22, 24
	s_mul_i32 s25, s22, 24
	s_add_i32 s15, s24, s15
	v_mov_b32_e32 v3, s15
	s_waitcnt vmcnt(0)
	v_add_co_u32_e32 v8, vcc, s25, v4
	v_addc_co_u32_e32 v9, vcc, v5, v3, vcc
	s_and_saveexec_b64 s[24:25], s[4:5]
	s_cbranch_execz .LBB10_383
; %bb.382:
	v_mov_b32_e32 v10, s20
	v_mov_b32_e32 v11, s21
	;; [unrolled: 1-line block ×4, first 2 shown]
	global_store_dwordx4 v[8:9], v[10:13], off offset:8
.LBB10_383:
	s_or_b64 exec, exec, s[24:25]
	s_lshl_b64 s[20:21], s[22:23], 12
	v_mov_b32_e32 v3, s21
	v_add_co_u32_e32 v10, vcc, s20, v6
	v_addc_co_u32_e32 v11, vcc, v7, v3, vcc
	s_movk_i32 s15, 0xff1f
	v_and_or_b32 v0, v0, s15, 32
	s_mov_b32 s20, 0
	v_mov_b32_e32 v3, v2
	v_readfirstlane_b32 s24, v10
	v_readfirstlane_b32 s25, v11
	v_add_co_u32_e32 v6, vcc, v10, v31
	s_mov_b32 s21, s20
	s_mov_b32 s22, s20
	;; [unrolled: 1-line block ×3, first 2 shown]
	s_nop 0
	global_store_dwordx4 v31, v[0:3], s[24:25]
	v_addc_co_u32_e32 v7, vcc, 0, v11, vcc
	v_mov_b32_e32 v0, s20
	v_mov_b32_e32 v1, s21
	;; [unrolled: 1-line block ×4, first 2 shown]
	global_store_dwordx4 v31, v[0:3], s[24:25] offset:16
	global_store_dwordx4 v31, v[0:3], s[24:25] offset:32
	;; [unrolled: 1-line block ×3, first 2 shown]
	s_and_saveexec_b64 s[20:21], s[4:5]
	s_cbranch_execz .LBB10_391
; %bb.384:
	v_mov_b32_e32 v10, 0
	global_load_dwordx2 v[13:14], v10, s[6:7] offset:32 glc
	global_load_dwordx2 v[0:1], v10, s[6:7] offset:40
	v_mov_b32_e32 v11, s18
	v_mov_b32_e32 v12, s19
	s_waitcnt vmcnt(0)
	v_readfirstlane_b32 s22, v0
	v_readfirstlane_b32 s23, v1
	s_and_b64 s[22:23], s[22:23], s[18:19]
	s_mul_i32 s15, s23, 24
	s_mul_hi_u32 s23, s22, 24
	s_mul_i32 s22, s22, 24
	s_add_i32 s15, s23, s15
	v_mov_b32_e32 v0, s15
	v_add_co_u32_e32 v4, vcc, s22, v4
	v_addc_co_u32_e32 v5, vcc, v5, v0, vcc
	global_store_dwordx2 v[4:5], v[13:14], off
	s_waitcnt vmcnt(0)
	global_atomic_cmpswap_x2 v[2:3], v10, v[11:14], s[6:7] offset:32 glc
	s_waitcnt vmcnt(0)
	v_cmp_ne_u64_e32 vcc, v[2:3], v[13:14]
	s_and_saveexec_b64 s[22:23], vcc
	s_cbranch_execz .LBB10_387
; %bb.385:
	s_mov_b64 s[24:25], 0
.LBB10_386:                             ; =>This Inner Loop Header: Depth=1
	s_sleep 1
	global_store_dwordx2 v[4:5], v[2:3], off
	v_mov_b32_e32 v0, s18
	v_mov_b32_e32 v1, s19
	s_waitcnt vmcnt(0)
	global_atomic_cmpswap_x2 v[0:1], v10, v[0:3], s[6:7] offset:32 glc
	s_waitcnt vmcnt(0)
	v_cmp_eq_u64_e32 vcc, v[0:1], v[2:3]
	v_mov_b32_e32 v3, v1
	s_or_b64 s[24:25], vcc, s[24:25]
	v_mov_b32_e32 v2, v0
	s_andn2_b64 exec, exec, s[24:25]
	s_cbranch_execnz .LBB10_386
.LBB10_387:
	s_or_b64 exec, exec, s[22:23]
	v_mov_b32_e32 v3, 0
	global_load_dwordx2 v[0:1], v3, s[6:7] offset:16
	s_mov_b64 s[22:23], exec
	v_mbcnt_lo_u32_b32 v2, s22, 0
	v_mbcnt_hi_u32_b32 v2, s23, v2
	v_cmp_eq_u32_e32 vcc, 0, v2
	s_and_saveexec_b64 s[24:25], vcc
	s_cbranch_execz .LBB10_389
; %bb.388:
	s_bcnt1_i32_b64 s15, s[22:23]
	v_mov_b32_e32 v2, s15
	s_waitcnt vmcnt(0)
	global_atomic_add_x2 v[0:1], v[2:3], off offset:8
.LBB10_389:
	s_or_b64 exec, exec, s[24:25]
	s_waitcnt vmcnt(0)
	global_load_dwordx2 v[2:3], v[0:1], off offset:16
	s_waitcnt vmcnt(0)
	v_cmp_eq_u64_e32 vcc, 0, v[2:3]
	s_cbranch_vccnz .LBB10_391
; %bb.390:
	global_load_dword v0, v[0:1], off offset:24
	v_mov_b32_e32 v1, 0
	s_waitcnt vmcnt(0)
	global_store_dwordx2 v[2:3], v[0:1], off
	v_and_b32_e32 v0, 0xffffff, v0
	v_readfirstlane_b32 m0, v0
	s_sendmsg sendmsg(MSG_INTERRUPT)
.LBB10_391:
	s_or_b64 exec, exec, s[20:21]
	s_branch .LBB10_395
.LBB10_392:                             ;   in Loop: Header=BB10_395 Depth=1
	s_or_b64 exec, exec, s[20:21]
	v_readfirstlane_b32 s15, v0
	s_cmp_eq_u32 s15, 0
	s_cbranch_scc1 .LBB10_394
; %bb.393:                              ;   in Loop: Header=BB10_395 Depth=1
	s_sleep 1
	s_cbranch_execnz .LBB10_395
	s_branch .LBB10_397
.LBB10_394:
	s_branch .LBB10_397
.LBB10_395:                             ; =>This Inner Loop Header: Depth=1
	v_mov_b32_e32 v0, 1
	s_and_saveexec_b64 s[20:21], s[4:5]
	s_cbranch_execz .LBB10_392
; %bb.396:                              ;   in Loop: Header=BB10_395 Depth=1
	global_load_dword v0, v[8:9], off offset:20 glc
	s_waitcnt vmcnt(0)
	buffer_wbinvl1_vol
	v_and_b32_e32 v0, 1, v0
	s_branch .LBB10_392
.LBB10_397:
	global_load_dwordx2 v[2:3], v[6:7], off
	s_and_saveexec_b64 s[20:21], s[4:5]
	s_cbranch_execz .LBB10_400
; %bb.398:
	v_mov_b32_e32 v8, 0
	global_load_dwordx2 v[0:1], v8, s[6:7] offset:40
	global_load_dwordx2 v[9:10], v8, s[6:7] offset:24 glc
	global_load_dwordx2 v[11:12], v8, s[6:7]
	v_mov_b32_e32 v5, s19
	s_mov_b64 s[4:5], 0
	s_waitcnt vmcnt(2)
	v_add_co_u32_e32 v6, vcc, 1, v0
	v_addc_co_u32_e32 v7, vcc, 0, v1, vcc
	v_add_co_u32_e32 v4, vcc, s18, v6
	v_addc_co_u32_e32 v5, vcc, v7, v5, vcc
	v_cmp_eq_u64_e32 vcc, 0, v[4:5]
	v_cndmask_b32_e32 v5, v5, v7, vcc
	v_cndmask_b32_e32 v4, v4, v6, vcc
	v_and_b32_e32 v1, v5, v1
	v_and_b32_e32 v0, v4, v0
	v_mul_lo_u32 v1, v1, 24
	v_mul_hi_u32 v7, v0, 24
	v_mul_lo_u32 v0, v0, 24
	s_waitcnt vmcnt(1)
	v_mov_b32_e32 v6, v9
	v_add_u32_e32 v1, v7, v1
	s_waitcnt vmcnt(0)
	v_add_co_u32_e32 v0, vcc, v11, v0
	v_addc_co_u32_e32 v1, vcc, v12, v1, vcc
	global_store_dwordx2 v[0:1], v[9:10], off
	v_mov_b32_e32 v7, v10
	s_waitcnt vmcnt(0)
	global_atomic_cmpswap_x2 v[6:7], v8, v[4:7], s[6:7] offset:24 glc
	s_waitcnt vmcnt(0)
	v_cmp_ne_u64_e32 vcc, v[6:7], v[9:10]
	s_and_b64 exec, exec, vcc
	s_cbranch_execz .LBB10_400
.LBB10_399:                             ; =>This Inner Loop Header: Depth=1
	s_sleep 1
	global_store_dwordx2 v[0:1], v[6:7], off
	s_waitcnt vmcnt(0)
	global_atomic_cmpswap_x2 v[9:10], v8, v[4:7], s[6:7] offset:24 glc
	s_waitcnt vmcnt(0)
	v_cmp_eq_u64_e32 vcc, v[9:10], v[6:7]
	v_mov_b32_e32 v6, v9
	s_or_b64 s[4:5], vcc, s[4:5]
	v_mov_b32_e32 v7, v10
	s_andn2_b64 exec, exec, s[4:5]
	s_cbranch_execnz .LBB10_399
.LBB10_400:
	s_or_b64 exec, exec, s[20:21]
.LBB10_401:
	v_readfirstlane_b32 s4, v32
	s_waitcnt vmcnt(0)
	v_mov_b32_e32 v0, 0
	v_mov_b32_e32 v1, 0
	v_cmp_eq_u32_e64 s[4:5], s4, v32
	s_and_saveexec_b64 s[18:19], s[4:5]
	s_cbranch_execz .LBB10_407
; %bb.402:
	v_mov_b32_e32 v4, 0
	global_load_dwordx2 v[7:8], v4, s[6:7] offset:24 glc
	s_waitcnt vmcnt(0)
	buffer_wbinvl1_vol
	global_load_dwordx2 v[0:1], v4, s[6:7] offset:40
	global_load_dwordx2 v[5:6], v4, s[6:7]
	s_waitcnt vmcnt(1)
	v_and_b32_e32 v0, v0, v7
	v_and_b32_e32 v1, v1, v8
	v_mul_lo_u32 v1, v1, 24
	v_mul_hi_u32 v9, v0, 24
	v_mul_lo_u32 v0, v0, 24
	v_add_u32_e32 v1, v9, v1
	s_waitcnt vmcnt(0)
	v_add_co_u32_e32 v0, vcc, v5, v0
	v_addc_co_u32_e32 v1, vcc, v6, v1, vcc
	global_load_dwordx2 v[5:6], v[0:1], off glc
	s_waitcnt vmcnt(0)
	global_atomic_cmpswap_x2 v[0:1], v4, v[5:8], s[6:7] offset:24 glc
	s_waitcnt vmcnt(0)
	buffer_wbinvl1_vol
	v_cmp_ne_u64_e32 vcc, v[0:1], v[7:8]
	s_and_saveexec_b64 s[20:21], vcc
	s_cbranch_execz .LBB10_406
; %bb.403:
	s_mov_b64 s[22:23], 0
.LBB10_404:                             ; =>This Inner Loop Header: Depth=1
	s_sleep 1
	global_load_dwordx2 v[5:6], v4, s[6:7] offset:40
	global_load_dwordx2 v[9:10], v4, s[6:7]
	v_mov_b32_e32 v8, v1
	v_mov_b32_e32 v7, v0
	s_waitcnt vmcnt(1)
	v_and_b32_e32 v0, v5, v7
	s_waitcnt vmcnt(0)
	v_mad_u64_u32 v[0:1], s[24:25], v0, 24, v[9:10]
	v_and_b32_e32 v5, v6, v8
	v_mad_u64_u32 v[5:6], s[24:25], v5, 24, v[1:2]
	v_mov_b32_e32 v1, v5
	global_load_dwordx2 v[5:6], v[0:1], off glc
	s_waitcnt vmcnt(0)
	global_atomic_cmpswap_x2 v[0:1], v4, v[5:8], s[6:7] offset:24 glc
	s_waitcnt vmcnt(0)
	buffer_wbinvl1_vol
	v_cmp_eq_u64_e32 vcc, v[0:1], v[7:8]
	s_or_b64 s[22:23], vcc, s[22:23]
	s_andn2_b64 exec, exec, s[22:23]
	s_cbranch_execnz .LBB10_404
; %bb.405:
	s_or_b64 exec, exec, s[22:23]
.LBB10_406:
	s_or_b64 exec, exec, s[20:21]
.LBB10_407:
	s_or_b64 exec, exec, s[18:19]
	v_mov_b32_e32 v5, 0
	global_load_dwordx2 v[10:11], v5, s[6:7] offset:40
	global_load_dwordx4 v[6:9], v5, s[6:7]
	v_readfirstlane_b32 s18, v0
	v_readfirstlane_b32 s19, v1
	s_mov_b64 s[20:21], exec
	s_waitcnt vmcnt(1)
	v_readfirstlane_b32 s22, v10
	v_readfirstlane_b32 s23, v11
	s_and_b64 s[22:23], s[18:19], s[22:23]
	s_mul_i32 s15, s23, 24
	s_mul_hi_u32 s24, s22, 24
	s_mul_i32 s25, s22, 24
	s_add_i32 s15, s24, s15
	v_mov_b32_e32 v0, s15
	s_waitcnt vmcnt(0)
	v_add_co_u32_e32 v10, vcc, s25, v6
	v_addc_co_u32_e32 v11, vcc, v7, v0, vcc
	s_and_saveexec_b64 s[24:25], s[4:5]
	s_cbranch_execz .LBB10_409
; %bb.408:
	v_mov_b32_e32 v12, s20
	v_mov_b32_e32 v13, s21
	v_mov_b32_e32 v14, 2
	v_mov_b32_e32 v15, 1
	global_store_dwordx4 v[10:11], v[12:15], off offset:8
.LBB10_409:
	s_or_b64 exec, exec, s[24:25]
	s_lshl_b64 s[20:21], s[22:23], 12
	v_mov_b32_e32 v0, s21
	v_add_co_u32_e32 v1, vcc, s20, v8
	v_addc_co_u32_e32 v0, vcc, v9, v0, vcc
	s_movk_i32 s15, 0xff1d
	v_and_or_b32 v2, v2, s15, 34
	s_mov_b32 s20, 0
	v_mov_b32_e32 v4, 10
	v_readfirstlane_b32 s24, v1
	v_readfirstlane_b32 s25, v0
	s_mov_b32 s21, s20
	s_mov_b32 s22, s20
	s_mov_b32 s23, s20
	s_nop 1
	global_store_dwordx4 v31, v[2:5], s[24:25]
	v_mov_b32_e32 v0, s20
	v_mov_b32_e32 v1, s21
	;; [unrolled: 1-line block ×4, first 2 shown]
	global_store_dwordx4 v31, v[0:3], s[24:25] offset:16
	global_store_dwordx4 v31, v[0:3], s[24:25] offset:32
	;; [unrolled: 1-line block ×3, first 2 shown]
	s_and_saveexec_b64 s[20:21], s[4:5]
	s_cbranch_execz .LBB10_417
; %bb.410:
	v_mov_b32_e32 v8, 0
	global_load_dwordx2 v[14:15], v8, s[6:7] offset:32 glc
	global_load_dwordx2 v[0:1], v8, s[6:7] offset:40
	v_mov_b32_e32 v12, s18
	v_mov_b32_e32 v13, s19
	s_waitcnt vmcnt(0)
	v_readfirstlane_b32 s22, v0
	v_readfirstlane_b32 s23, v1
	s_and_b64 s[22:23], s[22:23], s[18:19]
	s_mul_i32 s15, s23, 24
	s_mul_hi_u32 s23, s22, 24
	s_mul_i32 s22, s22, 24
	s_add_i32 s15, s23, s15
	v_mov_b32_e32 v0, s15
	v_add_co_u32_e32 v4, vcc, s22, v6
	v_addc_co_u32_e32 v5, vcc, v7, v0, vcc
	global_store_dwordx2 v[4:5], v[14:15], off
	s_waitcnt vmcnt(0)
	global_atomic_cmpswap_x2 v[2:3], v8, v[12:15], s[6:7] offset:32 glc
	s_waitcnt vmcnt(0)
	v_cmp_ne_u64_e32 vcc, v[2:3], v[14:15]
	s_and_saveexec_b64 s[22:23], vcc
	s_cbranch_execz .LBB10_413
; %bb.411:
	s_mov_b64 s[24:25], 0
.LBB10_412:                             ; =>This Inner Loop Header: Depth=1
	s_sleep 1
	global_store_dwordx2 v[4:5], v[2:3], off
	v_mov_b32_e32 v0, s18
	v_mov_b32_e32 v1, s19
	s_waitcnt vmcnt(0)
	global_atomic_cmpswap_x2 v[0:1], v8, v[0:3], s[6:7] offset:32 glc
	s_waitcnt vmcnt(0)
	v_cmp_eq_u64_e32 vcc, v[0:1], v[2:3]
	v_mov_b32_e32 v3, v1
	s_or_b64 s[24:25], vcc, s[24:25]
	v_mov_b32_e32 v2, v0
	s_andn2_b64 exec, exec, s[24:25]
	s_cbranch_execnz .LBB10_412
.LBB10_413:
	s_or_b64 exec, exec, s[22:23]
	v_mov_b32_e32 v3, 0
	global_load_dwordx2 v[0:1], v3, s[6:7] offset:16
	s_mov_b64 s[22:23], exec
	v_mbcnt_lo_u32_b32 v2, s22, 0
	v_mbcnt_hi_u32_b32 v2, s23, v2
	v_cmp_eq_u32_e32 vcc, 0, v2
	s_and_saveexec_b64 s[24:25], vcc
	s_cbranch_execz .LBB10_415
; %bb.414:
	s_bcnt1_i32_b64 s15, s[22:23]
	v_mov_b32_e32 v2, s15
	s_waitcnt vmcnt(0)
	global_atomic_add_x2 v[0:1], v[2:3], off offset:8
.LBB10_415:
	s_or_b64 exec, exec, s[24:25]
	s_waitcnt vmcnt(0)
	global_load_dwordx2 v[2:3], v[0:1], off offset:16
	s_waitcnt vmcnt(0)
	v_cmp_eq_u64_e32 vcc, 0, v[2:3]
	s_cbranch_vccnz .LBB10_417
; %bb.416:
	global_load_dword v0, v[0:1], off offset:24
	v_mov_b32_e32 v1, 0
	s_waitcnt vmcnt(0)
	global_store_dwordx2 v[2:3], v[0:1], off
	v_and_b32_e32 v0, 0xffffff, v0
	v_readfirstlane_b32 m0, v0
	s_sendmsg sendmsg(MSG_INTERRUPT)
.LBB10_417:
	s_or_b64 exec, exec, s[20:21]
	s_branch .LBB10_421
.LBB10_418:                             ;   in Loop: Header=BB10_421 Depth=1
	s_or_b64 exec, exec, s[20:21]
	v_readfirstlane_b32 s15, v0
	s_cmp_eq_u32 s15, 0
	s_cbranch_scc1 .LBB10_420
; %bb.419:                              ;   in Loop: Header=BB10_421 Depth=1
	s_sleep 1
	s_cbranch_execnz .LBB10_421
	s_branch .LBB10_423
.LBB10_420:
	s_branch .LBB10_423
.LBB10_421:                             ; =>This Inner Loop Header: Depth=1
	v_mov_b32_e32 v0, 1
	s_and_saveexec_b64 s[20:21], s[4:5]
	s_cbranch_execz .LBB10_418
; %bb.422:                              ;   in Loop: Header=BB10_421 Depth=1
	global_load_dword v0, v[10:11], off offset:20 glc
	s_waitcnt vmcnt(0)
	buffer_wbinvl1_vol
	v_and_b32_e32 v0, 1, v0
	s_branch .LBB10_418
.LBB10_423:
	s_and_saveexec_b64 s[20:21], s[4:5]
	s_cbranch_execz .LBB10_426
; %bb.424:
	v_mov_b32_e32 v6, 0
	global_load_dwordx2 v[2:3], v6, s[6:7] offset:40
	global_load_dwordx2 v[7:8], v6, s[6:7] offset:24 glc
	global_load_dwordx2 v[4:5], v6, s[6:7]
	v_mov_b32_e32 v1, s19
	s_mov_b64 s[4:5], 0
	s_waitcnt vmcnt(2)
	v_add_co_u32_e32 v9, vcc, 1, v2
	v_addc_co_u32_e32 v10, vcc, 0, v3, vcc
	v_add_co_u32_e32 v0, vcc, s18, v9
	v_addc_co_u32_e32 v1, vcc, v10, v1, vcc
	v_cmp_eq_u64_e32 vcc, 0, v[0:1]
	v_cndmask_b32_e32 v1, v1, v10, vcc
	v_cndmask_b32_e32 v0, v0, v9, vcc
	v_and_b32_e32 v3, v1, v3
	v_and_b32_e32 v2, v0, v2
	v_mul_lo_u32 v3, v3, 24
	v_mul_hi_u32 v9, v2, 24
	v_mul_lo_u32 v10, v2, 24
	s_waitcnt vmcnt(1)
	v_mov_b32_e32 v2, v7
	v_add_u32_e32 v3, v9, v3
	s_waitcnt vmcnt(0)
	v_add_co_u32_e32 v4, vcc, v4, v10
	v_addc_co_u32_e32 v5, vcc, v5, v3, vcc
	global_store_dwordx2 v[4:5], v[7:8], off
	v_mov_b32_e32 v3, v8
	s_waitcnt vmcnt(0)
	global_atomic_cmpswap_x2 v[2:3], v6, v[0:3], s[6:7] offset:24 glc
	s_waitcnt vmcnt(0)
	v_cmp_ne_u64_e32 vcc, v[2:3], v[7:8]
	s_and_b64 exec, exec, vcc
	s_cbranch_execz .LBB10_426
.LBB10_425:                             ; =>This Inner Loop Header: Depth=1
	s_sleep 1
	global_store_dwordx2 v[4:5], v[2:3], off
	s_waitcnt vmcnt(0)
	global_atomic_cmpswap_x2 v[7:8], v6, v[0:3], s[6:7] offset:24 glc
	s_waitcnt vmcnt(0)
	v_cmp_eq_u64_e32 vcc, v[7:8], v[2:3]
	v_mov_b32_e32 v2, v7
	s_or_b64 s[4:5], vcc, s[4:5]
	v_mov_b32_e32 v3, v8
	s_andn2_b64 exec, exec, s[4:5]
	s_cbranch_execnz .LBB10_425
.LBB10_426:
	s_or_b64 exec, exec, s[20:21]
	v_readfirstlane_b32 s4, v32
	v_mov_b32_e32 v5, 0
	v_mov_b32_e32 v6, 0
	v_cmp_eq_u32_e64 s[4:5], s4, v32
	s_and_saveexec_b64 s[18:19], s[4:5]
	s_cbranch_execz .LBB10_432
; %bb.427:
	v_mov_b32_e32 v0, 0
	global_load_dwordx2 v[3:4], v0, s[6:7] offset:24 glc
	s_waitcnt vmcnt(0)
	buffer_wbinvl1_vol
	global_load_dwordx2 v[1:2], v0, s[6:7] offset:40
	global_load_dwordx2 v[5:6], v0, s[6:7]
	s_waitcnt vmcnt(1)
	v_and_b32_e32 v1, v1, v3
	v_and_b32_e32 v2, v2, v4
	v_mul_lo_u32 v2, v2, 24
	v_mul_hi_u32 v7, v1, 24
	v_mul_lo_u32 v1, v1, 24
	v_add_u32_e32 v2, v7, v2
	s_waitcnt vmcnt(0)
	v_add_co_u32_e32 v1, vcc, v5, v1
	v_addc_co_u32_e32 v2, vcc, v6, v2, vcc
	global_load_dwordx2 v[1:2], v[1:2], off glc
	s_waitcnt vmcnt(0)
	global_atomic_cmpswap_x2 v[5:6], v0, v[1:4], s[6:7] offset:24 glc
	s_waitcnt vmcnt(0)
	buffer_wbinvl1_vol
	v_cmp_ne_u64_e32 vcc, v[5:6], v[3:4]
	s_and_saveexec_b64 s[20:21], vcc
	s_cbranch_execz .LBB10_431
; %bb.428:
	s_mov_b64 s[22:23], 0
.LBB10_429:                             ; =>This Inner Loop Header: Depth=1
	s_sleep 1
	global_load_dwordx2 v[1:2], v0, s[6:7] offset:40
	global_load_dwordx2 v[7:8], v0, s[6:7]
	v_mov_b32_e32 v3, v5
	v_mov_b32_e32 v4, v6
	s_waitcnt vmcnt(1)
	v_and_b32_e32 v1, v1, v3
	s_waitcnt vmcnt(0)
	v_mad_u64_u32 v[5:6], s[24:25], v1, 24, v[7:8]
	v_and_b32_e32 v2, v2, v4
	v_mov_b32_e32 v1, v6
	v_mad_u64_u32 v[1:2], s[24:25], v2, 24, v[1:2]
	v_mov_b32_e32 v6, v1
	global_load_dwordx2 v[1:2], v[5:6], off glc
	s_waitcnt vmcnt(0)
	global_atomic_cmpswap_x2 v[5:6], v0, v[1:4], s[6:7] offset:24 glc
	s_waitcnt vmcnt(0)
	buffer_wbinvl1_vol
	v_cmp_eq_u64_e32 vcc, v[5:6], v[3:4]
	s_or_b64 s[22:23], vcc, s[22:23]
	s_andn2_b64 exec, exec, s[22:23]
	s_cbranch_execnz .LBB10_429
; %bb.430:
	s_or_b64 exec, exec, s[22:23]
.LBB10_431:
	s_or_b64 exec, exec, s[20:21]
.LBB10_432:
	s_or_b64 exec, exec, s[18:19]
	v_mov_b32_e32 v4, 0
	global_load_dwordx2 v[7:8], v4, s[6:7] offset:40
	global_load_dwordx4 v[0:3], v4, s[6:7]
	v_readfirstlane_b32 s18, v5
	v_readfirstlane_b32 s19, v6
	s_mov_b64 s[20:21], exec
	s_waitcnt vmcnt(1)
	v_readfirstlane_b32 s22, v7
	v_readfirstlane_b32 s23, v8
	s_and_b64 s[22:23], s[18:19], s[22:23]
	s_mul_i32 s15, s23, 24
	s_mul_hi_u32 s24, s22, 24
	s_mul_i32 s25, s22, 24
	s_add_i32 s15, s24, s15
	v_mov_b32_e32 v5, s15
	s_waitcnt vmcnt(0)
	v_add_co_u32_e32 v7, vcc, s25, v0
	v_addc_co_u32_e32 v8, vcc, v1, v5, vcc
	s_and_saveexec_b64 s[24:25], s[4:5]
	s_cbranch_execz .LBB10_434
; %bb.433:
	v_mov_b32_e32 v9, s20
	v_mov_b32_e32 v10, s21
	;; [unrolled: 1-line block ×4, first 2 shown]
	global_store_dwordx4 v[7:8], v[9:12], off offset:8
.LBB10_434:
	s_or_b64 exec, exec, s[24:25]
	s_lshl_b64 s[20:21], s[22:23], 12
	v_mov_b32_e32 v5, s21
	v_add_co_u32_e32 v2, vcc, s20, v2
	v_addc_co_u32_e32 v11, vcc, v3, v5, vcc
	s_mov_b32 s20, 0
	v_mov_b32_e32 v3, 33
	v_mov_b32_e32 v5, v4
	;; [unrolled: 1-line block ×3, first 2 shown]
	v_readfirstlane_b32 s24, v2
	v_readfirstlane_b32 s25, v11
	v_add_co_u32_e32 v9, vcc, v2, v31
	s_mov_b32 s21, s20
	s_mov_b32 s22, s20
	;; [unrolled: 1-line block ×3, first 2 shown]
	s_nop 0
	global_store_dwordx4 v31, v[3:6], s[24:25]
	v_mov_b32_e32 v2, s20
	v_addc_co_u32_e32 v10, vcc, 0, v11, vcc
	v_mov_b32_e32 v3, s21
	v_mov_b32_e32 v4, s22
	;; [unrolled: 1-line block ×3, first 2 shown]
	global_store_dwordx4 v31, v[2:5], s[24:25] offset:16
	global_store_dwordx4 v31, v[2:5], s[24:25] offset:32
	;; [unrolled: 1-line block ×3, first 2 shown]
	s_and_saveexec_b64 s[20:21], s[4:5]
	s_cbranch_execz .LBB10_442
; %bb.435:
	v_mov_b32_e32 v6, 0
	global_load_dwordx2 v[13:14], v6, s[6:7] offset:32 glc
	global_load_dwordx2 v[2:3], v6, s[6:7] offset:40
	v_mov_b32_e32 v11, s18
	v_mov_b32_e32 v12, s19
	s_waitcnt vmcnt(0)
	v_readfirstlane_b32 s22, v2
	v_readfirstlane_b32 s23, v3
	s_and_b64 s[22:23], s[22:23], s[18:19]
	s_mul_i32 s15, s23, 24
	s_mul_hi_u32 s23, s22, 24
	s_mul_i32 s22, s22, 24
	s_add_i32 s15, s23, s15
	v_mov_b32_e32 v2, s15
	v_add_co_u32_e32 v4, vcc, s22, v0
	v_addc_co_u32_e32 v5, vcc, v1, v2, vcc
	global_store_dwordx2 v[4:5], v[13:14], off
	s_waitcnt vmcnt(0)
	global_atomic_cmpswap_x2 v[2:3], v6, v[11:14], s[6:7] offset:32 glc
	s_waitcnt vmcnt(0)
	v_cmp_ne_u64_e32 vcc, v[2:3], v[13:14]
	s_and_saveexec_b64 s[22:23], vcc
	s_cbranch_execz .LBB10_438
; %bb.436:
	s_mov_b64 s[24:25], 0
.LBB10_437:                             ; =>This Inner Loop Header: Depth=1
	s_sleep 1
	global_store_dwordx2 v[4:5], v[2:3], off
	v_mov_b32_e32 v0, s18
	v_mov_b32_e32 v1, s19
	s_waitcnt vmcnt(0)
	global_atomic_cmpswap_x2 v[0:1], v6, v[0:3], s[6:7] offset:32 glc
	s_waitcnt vmcnt(0)
	v_cmp_eq_u64_e32 vcc, v[0:1], v[2:3]
	v_mov_b32_e32 v3, v1
	s_or_b64 s[24:25], vcc, s[24:25]
	v_mov_b32_e32 v2, v0
	s_andn2_b64 exec, exec, s[24:25]
	s_cbranch_execnz .LBB10_437
.LBB10_438:
	s_or_b64 exec, exec, s[22:23]
	v_mov_b32_e32 v3, 0
	global_load_dwordx2 v[0:1], v3, s[6:7] offset:16
	s_mov_b64 s[22:23], exec
	v_mbcnt_lo_u32_b32 v2, s22, 0
	v_mbcnt_hi_u32_b32 v2, s23, v2
	v_cmp_eq_u32_e32 vcc, 0, v2
	s_and_saveexec_b64 s[24:25], vcc
	s_cbranch_execz .LBB10_440
; %bb.439:
	s_bcnt1_i32_b64 s15, s[22:23]
	v_mov_b32_e32 v2, s15
	s_waitcnt vmcnt(0)
	global_atomic_add_x2 v[0:1], v[2:3], off offset:8
.LBB10_440:
	s_or_b64 exec, exec, s[24:25]
	s_waitcnt vmcnt(0)
	global_load_dwordx2 v[2:3], v[0:1], off offset:16
	s_waitcnt vmcnt(0)
	v_cmp_eq_u64_e32 vcc, 0, v[2:3]
	s_cbranch_vccnz .LBB10_442
; %bb.441:
	global_load_dword v0, v[0:1], off offset:24
	v_mov_b32_e32 v1, 0
	s_waitcnt vmcnt(0)
	global_store_dwordx2 v[2:3], v[0:1], off
	v_and_b32_e32 v0, 0xffffff, v0
	v_readfirstlane_b32 m0, v0
	s_sendmsg sendmsg(MSG_INTERRUPT)
.LBB10_442:
	s_or_b64 exec, exec, s[20:21]
	s_branch .LBB10_446
.LBB10_443:                             ;   in Loop: Header=BB10_446 Depth=1
	s_or_b64 exec, exec, s[20:21]
	v_readfirstlane_b32 s15, v0
	s_cmp_eq_u32 s15, 0
	s_cbranch_scc1 .LBB10_445
; %bb.444:                              ;   in Loop: Header=BB10_446 Depth=1
	s_sleep 1
	s_cbranch_execnz .LBB10_446
	s_branch .LBB10_448
.LBB10_445:
	s_branch .LBB10_448
.LBB10_446:                             ; =>This Inner Loop Header: Depth=1
	v_mov_b32_e32 v0, 1
	s_and_saveexec_b64 s[20:21], s[4:5]
	s_cbranch_execz .LBB10_443
; %bb.447:                              ;   in Loop: Header=BB10_446 Depth=1
	global_load_dword v0, v[7:8], off offset:20 glc
	s_waitcnt vmcnt(0)
	buffer_wbinvl1_vol
	v_and_b32_e32 v0, 1, v0
	s_branch .LBB10_443
.LBB10_448:
	global_load_dwordx2 v[4:5], v[9:10], off
	s_and_saveexec_b64 s[20:21], s[4:5]
	s_cbranch_execz .LBB10_451
; %bb.449:
	v_mov_b32_e32 v8, 0
	global_load_dwordx2 v[2:3], v8, s[6:7] offset:40
	global_load_dwordx2 v[9:10], v8, s[6:7] offset:24 glc
	global_load_dwordx2 v[6:7], v8, s[6:7]
	v_mov_b32_e32 v1, s19
	s_mov_b64 s[4:5], 0
	s_waitcnt vmcnt(2)
	v_add_co_u32_e32 v11, vcc, 1, v2
	v_addc_co_u32_e32 v12, vcc, 0, v3, vcc
	v_add_co_u32_e32 v0, vcc, s18, v11
	v_addc_co_u32_e32 v1, vcc, v12, v1, vcc
	v_cmp_eq_u64_e32 vcc, 0, v[0:1]
	v_cndmask_b32_e32 v1, v1, v12, vcc
	v_cndmask_b32_e32 v0, v0, v11, vcc
	v_and_b32_e32 v3, v1, v3
	v_and_b32_e32 v2, v0, v2
	v_mul_lo_u32 v3, v3, 24
	v_mul_hi_u32 v11, v2, 24
	v_mul_lo_u32 v12, v2, 24
	s_waitcnt vmcnt(1)
	v_mov_b32_e32 v2, v9
	v_add_u32_e32 v3, v11, v3
	s_waitcnt vmcnt(0)
	v_add_co_u32_e32 v6, vcc, v6, v12
	v_addc_co_u32_e32 v7, vcc, v7, v3, vcc
	global_store_dwordx2 v[6:7], v[9:10], off
	v_mov_b32_e32 v3, v10
	s_waitcnt vmcnt(0)
	global_atomic_cmpswap_x2 v[2:3], v8, v[0:3], s[6:7] offset:24 glc
	s_waitcnt vmcnt(0)
	v_cmp_ne_u64_e32 vcc, v[2:3], v[9:10]
	s_and_b64 exec, exec, vcc
	s_cbranch_execz .LBB10_451
.LBB10_450:                             ; =>This Inner Loop Header: Depth=1
	s_sleep 1
	global_store_dwordx2 v[6:7], v[2:3], off
	s_waitcnt vmcnt(0)
	global_atomic_cmpswap_x2 v[9:10], v8, v[0:3], s[6:7] offset:24 glc
	s_waitcnt vmcnt(0)
	v_cmp_eq_u64_e32 vcc, v[9:10], v[2:3]
	v_mov_b32_e32 v2, v9
	s_or_b64 s[4:5], vcc, s[4:5]
	v_mov_b32_e32 v3, v10
	s_andn2_b64 exec, exec, s[4:5]
	s_cbranch_execnz .LBB10_450
.LBB10_451:
	s_or_b64 exec, exec, s[20:21]
	s_and_b64 vcc, exec, s[10:11]
	s_cbranch_vccz .LBB10_536
; %bb.452:
	s_waitcnt vmcnt(0)
	v_and_b32_e32 v29, 2, v4
	v_mov_b32_e32 v26, 0
	v_and_b32_e32 v0, -3, v4
	v_mov_b32_e32 v1, v5
	s_mov_b64 s[20:21], 3
	v_mov_b32_e32 v8, 2
	v_mov_b32_e32 v9, 1
	s_getpc_b64 s[18:19]
	s_add_u32 s18, s18, .str.5@rel32@lo+4
	s_addc_u32 s19, s19, .str.5@rel32@hi+12
	s_branch .LBB10_454
.LBB10_453:                             ;   in Loop: Header=BB10_454 Depth=1
	s_or_b64 exec, exec, s[26:27]
	s_sub_u32 s20, s20, s22
	s_subb_u32 s21, s21, s23
	s_add_u32 s18, s18, s22
	s_addc_u32 s19, s19, s23
	s_cmp_lg_u64 s[20:21], 0
	s_cbranch_scc0 .LBB10_535
.LBB10_454:                             ; =>This Loop Header: Depth=1
                                        ;     Child Loop BB10_457 Depth 2
                                        ;     Child Loop BB10_464 Depth 2
	;; [unrolled: 1-line block ×11, first 2 shown]
	v_cmp_lt_u64_e64 s[4:5], s[20:21], 56
	v_cmp_gt_u64_e64 s[24:25], s[20:21], 7
	s_and_b64 s[4:5], s[4:5], exec
	s_cselect_b32 s23, s21, 0
	s_cselect_b32 s22, s20, 56
	s_and_b64 vcc, exec, s[24:25]
	s_cbranch_vccnz .LBB10_459
; %bb.455:                              ;   in Loop: Header=BB10_454 Depth=1
	s_waitcnt vmcnt(0)
	v_mov_b32_e32 v2, 0
	s_cmp_eq_u64 s[20:21], 0
	v_mov_b32_e32 v3, 0
	s_mov_b64 s[4:5], 0
	s_cbranch_scc1 .LBB10_458
; %bb.456:                              ;   in Loop: Header=BB10_454 Depth=1
	v_mov_b32_e32 v2, 0
	s_lshl_b64 s[24:25], s[22:23], 3
	s_mov_b64 s[26:27], 0
	v_mov_b32_e32 v3, 0
	s_mov_b64 s[28:29], s[18:19]
.LBB10_457:                             ;   Parent Loop BB10_454 Depth=1
                                        ; =>  This Inner Loop Header: Depth=2
	global_load_ubyte v6, v26, s[28:29]
	s_waitcnt vmcnt(0)
	v_and_b32_e32 v25, 0xffff, v6
	v_lshlrev_b64 v[6:7], s26, v[25:26]
	s_add_u32 s26, s26, 8
	s_addc_u32 s27, s27, 0
	s_add_u32 s28, s28, 1
	s_addc_u32 s29, s29, 0
	v_or_b32_e32 v2, v6, v2
	s_cmp_lg_u32 s24, s26
	v_or_b32_e32 v3, v7, v3
	s_cbranch_scc1 .LBB10_457
.LBB10_458:                             ;   in Loop: Header=BB10_454 Depth=1
	s_mov_b32 s15, 0
	s_andn2_b64 vcc, exec, s[4:5]
	s_mov_b64 s[4:5], s[18:19]
	s_cbranch_vccz .LBB10_460
	s_branch .LBB10_461
.LBB10_459:                             ;   in Loop: Header=BB10_454 Depth=1
                                        ; implicit-def: $vgpr2_vgpr3
                                        ; implicit-def: $sgpr15
	s_mov_b64 s[4:5], s[18:19]
.LBB10_460:                             ;   in Loop: Header=BB10_454 Depth=1
	global_load_dwordx2 v[2:3], v26, s[18:19]
	s_add_i32 s15, s22, -8
	s_add_u32 s4, s18, 8
	s_addc_u32 s5, s19, 0
.LBB10_461:                             ;   in Loop: Header=BB10_454 Depth=1
	s_cmp_gt_u32 s15, 7
	s_cbranch_scc1 .LBB10_465
; %bb.462:                              ;   in Loop: Header=BB10_454 Depth=1
	s_cmp_eq_u32 s15, 0
	s_cbranch_scc1 .LBB10_466
; %bb.463:                              ;   in Loop: Header=BB10_454 Depth=1
	v_mov_b32_e32 v10, 0
	s_mov_b64 s[24:25], 0
	v_mov_b32_e32 v11, 0
	s_mov_b64 s[26:27], 0
.LBB10_464:                             ;   Parent Loop BB10_454 Depth=1
                                        ; =>  This Inner Loop Header: Depth=2
	s_add_u32 s28, s4, s26
	s_addc_u32 s29, s5, s27
	global_load_ubyte v6, v26, s[28:29]
	s_add_u32 s26, s26, 1
	s_addc_u32 s27, s27, 0
	s_waitcnt vmcnt(0)
	v_and_b32_e32 v25, 0xffff, v6
	v_lshlrev_b64 v[6:7], s24, v[25:26]
	s_add_u32 s24, s24, 8
	s_addc_u32 s25, s25, 0
	v_or_b32_e32 v10, v6, v10
	s_cmp_lg_u32 s15, s26
	v_or_b32_e32 v11, v7, v11
	s_cbranch_scc1 .LBB10_464
	s_branch .LBB10_467
.LBB10_465:                             ;   in Loop: Header=BB10_454 Depth=1
                                        ; implicit-def: $vgpr10_vgpr11
                                        ; implicit-def: $sgpr28
	s_branch .LBB10_468
.LBB10_466:                             ;   in Loop: Header=BB10_454 Depth=1
	v_mov_b32_e32 v10, 0
	v_mov_b32_e32 v11, 0
.LBB10_467:                             ;   in Loop: Header=BB10_454 Depth=1
	s_mov_b32 s28, 0
	s_cbranch_execnz .LBB10_469
.LBB10_468:                             ;   in Loop: Header=BB10_454 Depth=1
	global_load_dwordx2 v[10:11], v26, s[4:5]
	s_add_i32 s28, s15, -8
	s_add_u32 s4, s4, 8
	s_addc_u32 s5, s5, 0
.LBB10_469:                             ;   in Loop: Header=BB10_454 Depth=1
	s_cmp_gt_u32 s28, 7
	s_cbranch_scc1 .LBB10_473
; %bb.470:                              ;   in Loop: Header=BB10_454 Depth=1
	s_cmp_eq_u32 s28, 0
	s_cbranch_scc1 .LBB10_474
; %bb.471:                              ;   in Loop: Header=BB10_454 Depth=1
	v_mov_b32_e32 v12, 0
	s_mov_b64 s[24:25], 0
	v_mov_b32_e32 v13, 0
	s_mov_b64 s[26:27], 0
.LBB10_472:                             ;   Parent Loop BB10_454 Depth=1
                                        ; =>  This Inner Loop Header: Depth=2
	s_add_u32 vcc_lo, s4, s26
	s_addc_u32 vcc_hi, s5, s27
	global_load_ubyte v6, v26, vcc
	s_add_u32 s26, s26, 1
	s_addc_u32 s27, s27, 0
	s_waitcnt vmcnt(0)
	v_and_b32_e32 v25, 0xffff, v6
	v_lshlrev_b64 v[6:7], s24, v[25:26]
	s_add_u32 s24, s24, 8
	s_addc_u32 s25, s25, 0
	v_or_b32_e32 v12, v6, v12
	s_cmp_lg_u32 s28, s26
	v_or_b32_e32 v13, v7, v13
	s_cbranch_scc1 .LBB10_472
	s_branch .LBB10_475
.LBB10_473:                             ;   in Loop: Header=BB10_454 Depth=1
                                        ; implicit-def: $sgpr15
	s_branch .LBB10_476
.LBB10_474:                             ;   in Loop: Header=BB10_454 Depth=1
	v_mov_b32_e32 v12, 0
	v_mov_b32_e32 v13, 0
.LBB10_475:                             ;   in Loop: Header=BB10_454 Depth=1
	s_mov_b32 s15, 0
	s_cbranch_execnz .LBB10_477
.LBB10_476:                             ;   in Loop: Header=BB10_454 Depth=1
	global_load_dwordx2 v[12:13], v26, s[4:5]
	s_add_i32 s15, s28, -8
	s_add_u32 s4, s4, 8
	s_addc_u32 s5, s5, 0
.LBB10_477:                             ;   in Loop: Header=BB10_454 Depth=1
	s_cmp_gt_u32 s15, 7
	s_cbranch_scc1 .LBB10_481
; %bb.478:                              ;   in Loop: Header=BB10_454 Depth=1
	s_cmp_eq_u32 s15, 0
	s_cbranch_scc1 .LBB10_482
; %bb.479:                              ;   in Loop: Header=BB10_454 Depth=1
	v_mov_b32_e32 v14, 0
	s_mov_b64 s[24:25], 0
	v_mov_b32_e32 v15, 0
	s_mov_b64 s[26:27], 0
.LBB10_480:                             ;   Parent Loop BB10_454 Depth=1
                                        ; =>  This Inner Loop Header: Depth=2
	s_add_u32 s28, s4, s26
	s_addc_u32 s29, s5, s27
	global_load_ubyte v6, v26, s[28:29]
	s_add_u32 s26, s26, 1
	s_addc_u32 s27, s27, 0
	s_waitcnt vmcnt(0)
	v_and_b32_e32 v25, 0xffff, v6
	v_lshlrev_b64 v[6:7], s24, v[25:26]
	s_add_u32 s24, s24, 8
	s_addc_u32 s25, s25, 0
	v_or_b32_e32 v14, v6, v14
	s_cmp_lg_u32 s15, s26
	v_or_b32_e32 v15, v7, v15
	s_cbranch_scc1 .LBB10_480
	s_branch .LBB10_483
.LBB10_481:                             ;   in Loop: Header=BB10_454 Depth=1
                                        ; implicit-def: $vgpr14_vgpr15
                                        ; implicit-def: $sgpr28
	s_branch .LBB10_484
.LBB10_482:                             ;   in Loop: Header=BB10_454 Depth=1
	v_mov_b32_e32 v14, 0
	v_mov_b32_e32 v15, 0
.LBB10_483:                             ;   in Loop: Header=BB10_454 Depth=1
	s_mov_b32 s28, 0
	s_cbranch_execnz .LBB10_485
.LBB10_484:                             ;   in Loop: Header=BB10_454 Depth=1
	global_load_dwordx2 v[14:15], v26, s[4:5]
	s_add_i32 s28, s15, -8
	s_add_u32 s4, s4, 8
	s_addc_u32 s5, s5, 0
.LBB10_485:                             ;   in Loop: Header=BB10_454 Depth=1
	s_cmp_gt_u32 s28, 7
	s_cbranch_scc1 .LBB10_489
; %bb.486:                              ;   in Loop: Header=BB10_454 Depth=1
	s_cmp_eq_u32 s28, 0
	s_cbranch_scc1 .LBB10_490
; %bb.487:                              ;   in Loop: Header=BB10_454 Depth=1
	v_mov_b32_e32 v16, 0
	s_mov_b64 s[24:25], 0
	v_mov_b32_e32 v17, 0
	s_mov_b64 s[26:27], 0
.LBB10_488:                             ;   Parent Loop BB10_454 Depth=1
                                        ; =>  This Inner Loop Header: Depth=2
	s_add_u32 vcc_lo, s4, s26
	s_addc_u32 vcc_hi, s5, s27
	global_load_ubyte v6, v26, vcc
	s_add_u32 s26, s26, 1
	s_addc_u32 s27, s27, 0
	s_waitcnt vmcnt(0)
	v_and_b32_e32 v25, 0xffff, v6
	v_lshlrev_b64 v[6:7], s24, v[25:26]
	s_add_u32 s24, s24, 8
	s_addc_u32 s25, s25, 0
	v_or_b32_e32 v16, v6, v16
	s_cmp_lg_u32 s28, s26
	v_or_b32_e32 v17, v7, v17
	s_cbranch_scc1 .LBB10_488
	s_branch .LBB10_491
.LBB10_489:                             ;   in Loop: Header=BB10_454 Depth=1
                                        ; implicit-def: $sgpr15
	s_branch .LBB10_492
.LBB10_490:                             ;   in Loop: Header=BB10_454 Depth=1
	v_mov_b32_e32 v16, 0
	v_mov_b32_e32 v17, 0
.LBB10_491:                             ;   in Loop: Header=BB10_454 Depth=1
	s_mov_b32 s15, 0
	s_cbranch_execnz .LBB10_493
.LBB10_492:                             ;   in Loop: Header=BB10_454 Depth=1
	global_load_dwordx2 v[16:17], v26, s[4:5]
	s_add_i32 s15, s28, -8
	s_add_u32 s4, s4, 8
	s_addc_u32 s5, s5, 0
.LBB10_493:                             ;   in Loop: Header=BB10_454 Depth=1
	s_cmp_gt_u32 s15, 7
	s_cbranch_scc1 .LBB10_497
; %bb.494:                              ;   in Loop: Header=BB10_454 Depth=1
	s_cmp_eq_u32 s15, 0
	s_cbranch_scc1 .LBB10_498
; %bb.495:                              ;   in Loop: Header=BB10_454 Depth=1
	v_mov_b32_e32 v18, 0
	s_mov_b64 s[24:25], 0
	v_mov_b32_e32 v19, 0
	s_mov_b64 s[26:27], 0
.LBB10_496:                             ;   Parent Loop BB10_454 Depth=1
                                        ; =>  This Inner Loop Header: Depth=2
	s_add_u32 s28, s4, s26
	s_addc_u32 s29, s5, s27
	global_load_ubyte v6, v26, s[28:29]
	s_add_u32 s26, s26, 1
	s_addc_u32 s27, s27, 0
	s_waitcnt vmcnt(0)
	v_and_b32_e32 v25, 0xffff, v6
	v_lshlrev_b64 v[6:7], s24, v[25:26]
	s_add_u32 s24, s24, 8
	s_addc_u32 s25, s25, 0
	v_or_b32_e32 v18, v6, v18
	s_cmp_lg_u32 s15, s26
	v_or_b32_e32 v19, v7, v19
	s_cbranch_scc1 .LBB10_496
	s_branch .LBB10_499
.LBB10_497:                             ;   in Loop: Header=BB10_454 Depth=1
                                        ; implicit-def: $vgpr18_vgpr19
                                        ; implicit-def: $sgpr28
	s_branch .LBB10_500
.LBB10_498:                             ;   in Loop: Header=BB10_454 Depth=1
	v_mov_b32_e32 v18, 0
	v_mov_b32_e32 v19, 0
.LBB10_499:                             ;   in Loop: Header=BB10_454 Depth=1
	s_mov_b32 s28, 0
	s_cbranch_execnz .LBB10_501
.LBB10_500:                             ;   in Loop: Header=BB10_454 Depth=1
	global_load_dwordx2 v[18:19], v26, s[4:5]
	s_add_i32 s28, s15, -8
	s_add_u32 s4, s4, 8
	s_addc_u32 s5, s5, 0
.LBB10_501:                             ;   in Loop: Header=BB10_454 Depth=1
	s_cmp_gt_u32 s28, 7
	s_cbranch_scc1 .LBB10_505
; %bb.502:                              ;   in Loop: Header=BB10_454 Depth=1
	s_cmp_eq_u32 s28, 0
	s_cbranch_scc1 .LBB10_506
; %bb.503:                              ;   in Loop: Header=BB10_454 Depth=1
	v_mov_b32_e32 v20, 0
	s_mov_b64 s[24:25], 0
	v_mov_b32_e32 v21, 0
	s_mov_b64 s[26:27], s[4:5]
.LBB10_504:                             ;   Parent Loop BB10_454 Depth=1
                                        ; =>  This Inner Loop Header: Depth=2
	global_load_ubyte v6, v26, s[26:27]
	s_add_i32 s28, s28, -1
	s_waitcnt vmcnt(0)
	v_and_b32_e32 v25, 0xffff, v6
	v_lshlrev_b64 v[6:7], s24, v[25:26]
	s_add_u32 s24, s24, 8
	s_addc_u32 s25, s25, 0
	s_add_u32 s26, s26, 1
	s_addc_u32 s27, s27, 0
	v_or_b32_e32 v20, v6, v20
	s_cmp_lg_u32 s28, 0
	v_or_b32_e32 v21, v7, v21
	s_cbranch_scc1 .LBB10_504
	s_branch .LBB10_507
.LBB10_505:                             ;   in Loop: Header=BB10_454 Depth=1
	s_branch .LBB10_508
.LBB10_506:                             ;   in Loop: Header=BB10_454 Depth=1
	v_mov_b32_e32 v20, 0
	v_mov_b32_e32 v21, 0
.LBB10_507:                             ;   in Loop: Header=BB10_454 Depth=1
	s_cbranch_execnz .LBB10_509
.LBB10_508:                             ;   in Loop: Header=BB10_454 Depth=1
	global_load_dwordx2 v[20:21], v26, s[4:5]
.LBB10_509:                             ;   in Loop: Header=BB10_454 Depth=1
	v_readfirstlane_b32 s4, v32
	v_mov_b32_e32 v6, 0
	v_mov_b32_e32 v7, 0
	v_cmp_eq_u32_e64 s[4:5], s4, v32
	s_and_saveexec_b64 s[24:25], s[4:5]
	s_cbranch_execz .LBB10_515
; %bb.510:                              ;   in Loop: Header=BB10_454 Depth=1
	global_load_dwordx2 v[24:25], v26, s[6:7] offset:24 glc
	s_waitcnt vmcnt(0)
	buffer_wbinvl1_vol
	global_load_dwordx2 v[6:7], v26, s[6:7] offset:40
	global_load_dwordx2 v[22:23], v26, s[6:7]
	s_waitcnt vmcnt(1)
	v_and_b32_e32 v6, v6, v24
	v_and_b32_e32 v7, v7, v25
	v_mul_lo_u32 v7, v7, 24
	v_mul_hi_u32 v27, v6, 24
	v_mul_lo_u32 v6, v6, 24
	v_add_u32_e32 v7, v27, v7
	s_waitcnt vmcnt(0)
	v_add_co_u32_e32 v6, vcc, v22, v6
	v_addc_co_u32_e32 v7, vcc, v23, v7, vcc
	global_load_dwordx2 v[22:23], v[6:7], off glc
	s_waitcnt vmcnt(0)
	global_atomic_cmpswap_x2 v[6:7], v26, v[22:25], s[6:7] offset:24 glc
	s_waitcnt vmcnt(0)
	buffer_wbinvl1_vol
	v_cmp_ne_u64_e32 vcc, v[6:7], v[24:25]
	s_and_saveexec_b64 s[26:27], vcc
	s_cbranch_execz .LBB10_514
; %bb.511:                              ;   in Loop: Header=BB10_454 Depth=1
	s_mov_b64 s[28:29], 0
.LBB10_512:                             ;   Parent Loop BB10_454 Depth=1
                                        ; =>  This Inner Loop Header: Depth=2
	s_sleep 1
	global_load_dwordx2 v[22:23], v26, s[6:7] offset:40
	global_load_dwordx2 v[27:28], v26, s[6:7]
	v_mov_b32_e32 v25, v7
	v_mov_b32_e32 v24, v6
	s_waitcnt vmcnt(1)
	v_and_b32_e32 v6, v22, v24
	s_waitcnt vmcnt(0)
	v_mad_u64_u32 v[6:7], vcc, v6, 24, v[27:28]
	v_and_b32_e32 v22, v23, v25
	v_mad_u64_u32 v[22:23], vcc, v22, 24, v[7:8]
	v_mov_b32_e32 v7, v22
	global_load_dwordx2 v[22:23], v[6:7], off glc
	s_waitcnt vmcnt(0)
	global_atomic_cmpswap_x2 v[6:7], v26, v[22:25], s[6:7] offset:24 glc
	s_waitcnt vmcnt(0)
	buffer_wbinvl1_vol
	v_cmp_eq_u64_e32 vcc, v[6:7], v[24:25]
	s_or_b64 s[28:29], vcc, s[28:29]
	s_andn2_b64 exec, exec, s[28:29]
	s_cbranch_execnz .LBB10_512
; %bb.513:                              ;   in Loop: Header=BB10_454 Depth=1
	s_or_b64 exec, exec, s[28:29]
.LBB10_514:                             ;   in Loop: Header=BB10_454 Depth=1
	s_or_b64 exec, exec, s[26:27]
.LBB10_515:                             ;   in Loop: Header=BB10_454 Depth=1
	s_or_b64 exec, exec, s[24:25]
	global_load_dwordx2 v[27:28], v26, s[6:7] offset:40
	global_load_dwordx4 v[22:25], v26, s[6:7]
	v_readfirstlane_b32 s24, v6
	v_readfirstlane_b32 s25, v7
	s_mov_b64 s[26:27], exec
	s_waitcnt vmcnt(1)
	v_readfirstlane_b32 s28, v27
	v_readfirstlane_b32 s29, v28
	s_and_b64 s[28:29], s[24:25], s[28:29]
	s_mul_i32 s15, s29, 24
	s_mul_hi_u32 vcc_lo, s28, 24
	s_mul_i32 vcc_hi, s28, 24
	s_add_i32 s15, vcc_lo, s15
	v_mov_b32_e32 v6, s15
	s_waitcnt vmcnt(0)
	v_add_co_u32_e32 v27, vcc, vcc_hi, v22
	v_addc_co_u32_e32 v28, vcc, v23, v6, vcc
	s_and_saveexec_b64 vcc, s[4:5]
	s_cbranch_execz .LBB10_517
; %bb.516:                              ;   in Loop: Header=BB10_454 Depth=1
	v_mov_b32_e32 v6, s26
	v_mov_b32_e32 v7, s27
	global_store_dwordx4 v[27:28], v[6:9], off offset:8
.LBB10_517:                             ;   in Loop: Header=BB10_454 Depth=1
	s_or_b64 exec, exec, vcc
	s_lshl_b64 s[26:27], s[28:29], 12
	v_mov_b32_e32 v6, s27
	v_add_co_u32_e32 v24, vcc, s26, v24
	v_addc_co_u32_e32 v30, vcc, v25, v6, vcc
	v_cmp_gt_u64_e64 vcc, s[20:21], 56
	v_or_b32_e32 v7, v0, v29
	s_lshl_b32 s15, s22, 2
	v_cndmask_b32_e32 v0, v7, v0, vcc
	s_add_i32 s15, s15, 28
	v_or_b32_e32 v6, 0, v1
	s_and_b32 s15, s15, 0x1e0
	v_and_b32_e32 v0, 0xffffff1f, v0
	v_cndmask_b32_e32 v1, v6, v1, vcc
	v_or_b32_e32 v0, s15, v0
	v_readfirstlane_b32 s26, v24
	v_readfirstlane_b32 s27, v30
	s_nop 4
	global_store_dwordx4 v31, v[0:3], s[26:27]
	global_store_dwordx4 v31, v[10:13], s[26:27] offset:16
	global_store_dwordx4 v31, v[14:17], s[26:27] offset:32
	;; [unrolled: 1-line block ×3, first 2 shown]
	s_and_saveexec_b64 s[26:27], s[4:5]
	s_cbranch_execz .LBB10_525
; %bb.518:                              ;   in Loop: Header=BB10_454 Depth=1
	global_load_dwordx2 v[12:13], v26, s[6:7] offset:32 glc
	global_load_dwordx2 v[0:1], v26, s[6:7] offset:40
	v_mov_b32_e32 v10, s24
	v_mov_b32_e32 v11, s25
	s_waitcnt vmcnt(0)
	v_readfirstlane_b32 s28, v0
	v_readfirstlane_b32 s29, v1
	s_and_b64 s[28:29], s[28:29], s[24:25]
	s_mul_i32 s15, s29, 24
	s_mul_hi_u32 s29, s28, 24
	s_mul_i32 s28, s28, 24
	s_add_i32 s15, s29, s15
	v_mov_b32_e32 v0, s15
	v_add_co_u32_e32 v6, vcc, s28, v22
	v_addc_co_u32_e32 v7, vcc, v23, v0, vcc
	global_store_dwordx2 v[6:7], v[12:13], off
	s_waitcnt vmcnt(0)
	global_atomic_cmpswap_x2 v[2:3], v26, v[10:13], s[6:7] offset:32 glc
	s_waitcnt vmcnt(0)
	v_cmp_ne_u64_e32 vcc, v[2:3], v[12:13]
	s_and_saveexec_b64 s[28:29], vcc
	s_cbranch_execz .LBB10_521
; %bb.519:                              ;   in Loop: Header=BB10_454 Depth=1
	s_mov_b64 s[30:31], 0
.LBB10_520:                             ;   Parent Loop BB10_454 Depth=1
                                        ; =>  This Inner Loop Header: Depth=2
	s_sleep 1
	global_store_dwordx2 v[6:7], v[2:3], off
	v_mov_b32_e32 v0, s24
	v_mov_b32_e32 v1, s25
	s_waitcnt vmcnt(0)
	global_atomic_cmpswap_x2 v[0:1], v26, v[0:3], s[6:7] offset:32 glc
	s_waitcnt vmcnt(0)
	v_cmp_eq_u64_e32 vcc, v[0:1], v[2:3]
	v_mov_b32_e32 v3, v1
	s_or_b64 s[30:31], vcc, s[30:31]
	v_mov_b32_e32 v2, v0
	s_andn2_b64 exec, exec, s[30:31]
	s_cbranch_execnz .LBB10_520
.LBB10_521:                             ;   in Loop: Header=BB10_454 Depth=1
	s_or_b64 exec, exec, s[28:29]
	global_load_dwordx2 v[0:1], v26, s[6:7] offset:16
	s_mov_b64 s[30:31], exec
	v_mbcnt_lo_u32_b32 v2, s30, 0
	v_mbcnt_hi_u32_b32 v2, s31, v2
	v_cmp_eq_u32_e32 vcc, 0, v2
	s_and_saveexec_b64 s[28:29], vcc
	s_cbranch_execz .LBB10_523
; %bb.522:                              ;   in Loop: Header=BB10_454 Depth=1
	s_bcnt1_i32_b64 s15, s[30:31]
	v_mov_b32_e32 v25, s15
	s_waitcnt vmcnt(0)
	global_atomic_add_x2 v[0:1], v[25:26], off offset:8
.LBB10_523:                             ;   in Loop: Header=BB10_454 Depth=1
	s_or_b64 exec, exec, s[28:29]
	s_waitcnt vmcnt(0)
	global_load_dwordx2 v[2:3], v[0:1], off offset:16
	s_waitcnt vmcnt(0)
	v_cmp_eq_u64_e32 vcc, 0, v[2:3]
	s_cbranch_vccnz .LBB10_525
; %bb.524:                              ;   in Loop: Header=BB10_454 Depth=1
	global_load_dword v25, v[0:1], off offset:24
	s_waitcnt vmcnt(0)
	v_and_b32_e32 v0, 0xffffff, v25
	v_readfirstlane_b32 m0, v0
	global_store_dwordx2 v[2:3], v[25:26], off
	s_sendmsg sendmsg(MSG_INTERRUPT)
.LBB10_525:                             ;   in Loop: Header=BB10_454 Depth=1
	s_or_b64 exec, exec, s[26:27]
	v_add_co_u32_e32 v0, vcc, v24, v31
	v_addc_co_u32_e32 v1, vcc, 0, v30, vcc
	s_branch .LBB10_529
.LBB10_526:                             ;   in Loop: Header=BB10_529 Depth=2
	s_or_b64 exec, exec, s[26:27]
	v_readfirstlane_b32 s15, v2
	s_cmp_eq_u32 s15, 0
	s_cbranch_scc1 .LBB10_528
; %bb.527:                              ;   in Loop: Header=BB10_529 Depth=2
	s_sleep 1
	s_cbranch_execnz .LBB10_529
	s_branch .LBB10_531
.LBB10_528:                             ;   in Loop: Header=BB10_454 Depth=1
	s_branch .LBB10_531
.LBB10_529:                             ;   Parent Loop BB10_454 Depth=1
                                        ; =>  This Inner Loop Header: Depth=2
	v_mov_b32_e32 v2, 1
	s_and_saveexec_b64 s[26:27], s[4:5]
	s_cbranch_execz .LBB10_526
; %bb.530:                              ;   in Loop: Header=BB10_529 Depth=2
	global_load_dword v2, v[27:28], off offset:20 glc
	s_waitcnt vmcnt(0)
	buffer_wbinvl1_vol
	v_and_b32_e32 v2, 1, v2
	s_branch .LBB10_526
.LBB10_531:                             ;   in Loop: Header=BB10_454 Depth=1
	global_load_dwordx4 v[0:3], v[0:1], off
	s_and_saveexec_b64 s[26:27], s[4:5]
	s_cbranch_execz .LBB10_453
; %bb.532:                              ;   in Loop: Header=BB10_454 Depth=1
	global_load_dwordx2 v[2:3], v26, s[6:7] offset:40
	global_load_dwordx2 v[6:7], v26, s[6:7] offset:24 glc
	global_load_dwordx2 v[13:14], v26, s[6:7]
	v_mov_b32_e32 v11, s25
	s_waitcnt vmcnt(2)
	v_add_co_u32_e32 v12, vcc, 1, v2
	v_addc_co_u32_e32 v15, vcc, 0, v3, vcc
	v_add_co_u32_e32 v10, vcc, s24, v12
	v_addc_co_u32_e32 v11, vcc, v15, v11, vcc
	v_cmp_eq_u64_e32 vcc, 0, v[10:11]
	v_cndmask_b32_e32 v11, v11, v15, vcc
	v_cndmask_b32_e32 v10, v10, v12, vcc
	v_and_b32_e32 v3, v11, v3
	v_and_b32_e32 v2, v10, v2
	v_mul_lo_u32 v3, v3, 24
	v_mul_hi_u32 v15, v2, 24
	v_mul_lo_u32 v2, v2, 24
	s_waitcnt vmcnt(1)
	v_mov_b32_e32 v12, v6
	v_add_u32_e32 v3, v15, v3
	s_waitcnt vmcnt(0)
	v_add_co_u32_e32 v2, vcc, v13, v2
	v_addc_co_u32_e32 v3, vcc, v14, v3, vcc
	global_store_dwordx2 v[2:3], v[6:7], off
	v_mov_b32_e32 v13, v7
	s_waitcnt vmcnt(0)
	global_atomic_cmpswap_x2 v[12:13], v26, v[10:13], s[6:7] offset:24 glc
	s_waitcnt vmcnt(0)
	v_cmp_ne_u64_e32 vcc, v[12:13], v[6:7]
	s_and_b64 exec, exec, vcc
	s_cbranch_execz .LBB10_453
; %bb.533:                              ;   in Loop: Header=BB10_454 Depth=1
	s_mov_b64 s[4:5], 0
.LBB10_534:                             ;   Parent Loop BB10_454 Depth=1
                                        ; =>  This Inner Loop Header: Depth=2
	s_sleep 1
	global_store_dwordx2 v[2:3], v[12:13], off
	s_waitcnt vmcnt(0)
	global_atomic_cmpswap_x2 v[6:7], v26, v[10:13], s[6:7] offset:24 glc
	s_waitcnt vmcnt(0)
	v_cmp_eq_u64_e32 vcc, v[6:7], v[12:13]
	v_mov_b32_e32 v13, v7
	s_or_b64 s[4:5], vcc, s[4:5]
	v_mov_b32_e32 v12, v6
	s_andn2_b64 exec, exec, s[4:5]
	s_cbranch_execnz .LBB10_534
	s_branch .LBB10_453
.LBB10_535:
	s_branch .LBB10_563
.LBB10_536:
                                        ; implicit-def: $vgpr0_vgpr1
	s_cbranch_execz .LBB10_563
; %bb.537:
	v_readfirstlane_b32 s4, v32
	v_mov_b32_e32 v7, 0
	v_mov_b32_e32 v8, 0
	v_cmp_eq_u32_e64 s[4:5], s4, v32
	s_and_saveexec_b64 s[18:19], s[4:5]
	s_cbranch_execz .LBB10_543
; %bb.538:
	s_waitcnt vmcnt(0)
	v_mov_b32_e32 v0, 0
	global_load_dwordx2 v[9:10], v0, s[6:7] offset:24 glc
	s_waitcnt vmcnt(0)
	buffer_wbinvl1_vol
	global_load_dwordx2 v[1:2], v0, s[6:7] offset:40
	global_load_dwordx2 v[6:7], v0, s[6:7]
	s_waitcnt vmcnt(1)
	v_and_b32_e32 v1, v1, v9
	v_and_b32_e32 v2, v2, v10
	v_mul_lo_u32 v2, v2, 24
	v_mul_hi_u32 v3, v1, 24
	v_mul_lo_u32 v1, v1, 24
	v_add_u32_e32 v2, v3, v2
	s_waitcnt vmcnt(0)
	v_add_co_u32_e32 v1, vcc, v6, v1
	v_addc_co_u32_e32 v2, vcc, v7, v2, vcc
	global_load_dwordx2 v[7:8], v[1:2], off glc
	s_waitcnt vmcnt(0)
	global_atomic_cmpswap_x2 v[7:8], v0, v[7:10], s[6:7] offset:24 glc
	s_waitcnt vmcnt(0)
	buffer_wbinvl1_vol
	v_cmp_ne_u64_e32 vcc, v[7:8], v[9:10]
	s_and_saveexec_b64 s[20:21], vcc
	s_cbranch_execz .LBB10_542
; %bb.539:
	s_mov_b64 s[22:23], 0
.LBB10_540:                             ; =>This Inner Loop Header: Depth=1
	s_sleep 1
	global_load_dwordx2 v[1:2], v0, s[6:7] offset:40
	global_load_dwordx2 v[11:12], v0, s[6:7]
	v_mov_b32_e32 v10, v8
	v_mov_b32_e32 v9, v7
	s_waitcnt vmcnt(1)
	v_and_b32_e32 v1, v1, v9
	s_waitcnt vmcnt(0)
	v_mad_u64_u32 v[6:7], s[24:25], v1, 24, v[11:12]
	v_and_b32_e32 v2, v2, v10
	v_mov_b32_e32 v1, v7
	v_mad_u64_u32 v[1:2], s[24:25], v2, 24, v[1:2]
	v_mov_b32_e32 v7, v1
	global_load_dwordx2 v[7:8], v[6:7], off glc
	s_waitcnt vmcnt(0)
	global_atomic_cmpswap_x2 v[7:8], v0, v[7:10], s[6:7] offset:24 glc
	s_waitcnt vmcnt(0)
	buffer_wbinvl1_vol
	v_cmp_eq_u64_e32 vcc, v[7:8], v[9:10]
	s_or_b64 s[22:23], vcc, s[22:23]
	s_andn2_b64 exec, exec, s[22:23]
	s_cbranch_execnz .LBB10_540
; %bb.541:
	s_or_b64 exec, exec, s[22:23]
.LBB10_542:
	s_or_b64 exec, exec, s[20:21]
.LBB10_543:
	s_or_b64 exec, exec, s[18:19]
	v_mov_b32_e32 v6, 0
	global_load_dwordx2 v[9:10], v6, s[6:7] offset:40
	global_load_dwordx4 v[0:3], v6, s[6:7]
	v_readfirstlane_b32 s18, v7
	v_readfirstlane_b32 s19, v8
	s_mov_b64 s[20:21], exec
	s_waitcnt vmcnt(1)
	v_readfirstlane_b32 s22, v9
	v_readfirstlane_b32 s23, v10
	s_and_b64 s[22:23], s[18:19], s[22:23]
	s_mul_i32 s15, s23, 24
	s_mul_hi_u32 s24, s22, 24
	s_mul_i32 s25, s22, 24
	s_add_i32 s15, s24, s15
	v_mov_b32_e32 v7, s15
	s_waitcnt vmcnt(0)
	v_add_co_u32_e32 v8, vcc, s25, v0
	v_addc_co_u32_e32 v9, vcc, v1, v7, vcc
	s_and_saveexec_b64 s[24:25], s[4:5]
	s_cbranch_execz .LBB10_545
; %bb.544:
	v_mov_b32_e32 v10, s20
	v_mov_b32_e32 v11, s21
	;; [unrolled: 1-line block ×4, first 2 shown]
	global_store_dwordx4 v[8:9], v[10:13], off offset:8
.LBB10_545:
	s_or_b64 exec, exec, s[24:25]
	s_lshl_b64 s[20:21], s[22:23], 12
	v_mov_b32_e32 v7, s21
	v_add_co_u32_e32 v2, vcc, s20, v2
	v_addc_co_u32_e32 v3, vcc, v3, v7, vcc
	s_movk_i32 s15, 0xff1f
	v_and_or_b32 v4, v4, s15, 32
	v_add_co_u32_e32 v10, vcc, v2, v31
	s_mov_b32 s20, 0
	v_mov_b32_e32 v7, v6
	v_readfirstlane_b32 s24, v2
	v_readfirstlane_b32 s25, v3
	v_addc_co_u32_e32 v11, vcc, 0, v3, vcc
	s_mov_b32 s21, s20
	s_mov_b32 s22, s20
	;; [unrolled: 1-line block ×3, first 2 shown]
	s_nop 0
	global_store_dwordx4 v31, v[4:7], s[24:25]
	v_mov_b32_e32 v2, s20
	v_mov_b32_e32 v3, s21
	;; [unrolled: 1-line block ×4, first 2 shown]
	global_store_dwordx4 v31, v[2:5], s[24:25] offset:16
	global_store_dwordx4 v31, v[2:5], s[24:25] offset:32
	;; [unrolled: 1-line block ×3, first 2 shown]
	s_and_saveexec_b64 s[20:21], s[4:5]
	s_cbranch_execz .LBB10_553
; %bb.546:
	v_mov_b32_e32 v6, 0
	global_load_dwordx2 v[14:15], v6, s[6:7] offset:32 glc
	global_load_dwordx2 v[2:3], v6, s[6:7] offset:40
	v_mov_b32_e32 v12, s18
	v_mov_b32_e32 v13, s19
	s_waitcnt vmcnt(0)
	v_readfirstlane_b32 s22, v2
	v_readfirstlane_b32 s23, v3
	s_and_b64 s[22:23], s[22:23], s[18:19]
	s_mul_i32 s15, s23, 24
	s_mul_hi_u32 s23, s22, 24
	s_mul_i32 s22, s22, 24
	s_add_i32 s15, s23, s15
	v_mov_b32_e32 v2, s15
	v_add_co_u32_e32 v4, vcc, s22, v0
	v_addc_co_u32_e32 v5, vcc, v1, v2, vcc
	global_store_dwordx2 v[4:5], v[14:15], off
	s_waitcnt vmcnt(0)
	global_atomic_cmpswap_x2 v[2:3], v6, v[12:15], s[6:7] offset:32 glc
	s_waitcnt vmcnt(0)
	v_cmp_ne_u64_e32 vcc, v[2:3], v[14:15]
	s_and_saveexec_b64 s[22:23], vcc
	s_cbranch_execz .LBB10_549
; %bb.547:
	s_mov_b64 s[24:25], 0
.LBB10_548:                             ; =>This Inner Loop Header: Depth=1
	s_sleep 1
	global_store_dwordx2 v[4:5], v[2:3], off
	v_mov_b32_e32 v0, s18
	v_mov_b32_e32 v1, s19
	s_waitcnt vmcnt(0)
	global_atomic_cmpswap_x2 v[0:1], v6, v[0:3], s[6:7] offset:32 glc
	s_waitcnt vmcnt(0)
	v_cmp_eq_u64_e32 vcc, v[0:1], v[2:3]
	v_mov_b32_e32 v3, v1
	s_or_b64 s[24:25], vcc, s[24:25]
	v_mov_b32_e32 v2, v0
	s_andn2_b64 exec, exec, s[24:25]
	s_cbranch_execnz .LBB10_548
.LBB10_549:
	s_or_b64 exec, exec, s[22:23]
	v_mov_b32_e32 v3, 0
	global_load_dwordx2 v[0:1], v3, s[6:7] offset:16
	s_mov_b64 s[22:23], exec
	v_mbcnt_lo_u32_b32 v2, s22, 0
	v_mbcnt_hi_u32_b32 v2, s23, v2
	v_cmp_eq_u32_e32 vcc, 0, v2
	s_and_saveexec_b64 s[24:25], vcc
	s_cbranch_execz .LBB10_551
; %bb.550:
	s_bcnt1_i32_b64 s15, s[22:23]
	v_mov_b32_e32 v2, s15
	s_waitcnt vmcnt(0)
	global_atomic_add_x2 v[0:1], v[2:3], off offset:8
.LBB10_551:
	s_or_b64 exec, exec, s[24:25]
	s_waitcnt vmcnt(0)
	global_load_dwordx2 v[2:3], v[0:1], off offset:16
	s_waitcnt vmcnt(0)
	v_cmp_eq_u64_e32 vcc, 0, v[2:3]
	s_cbranch_vccnz .LBB10_553
; %bb.552:
	global_load_dword v0, v[0:1], off offset:24
	v_mov_b32_e32 v1, 0
	s_waitcnt vmcnt(0)
	global_store_dwordx2 v[2:3], v[0:1], off
	v_and_b32_e32 v0, 0xffffff, v0
	v_readfirstlane_b32 m0, v0
	s_sendmsg sendmsg(MSG_INTERRUPT)
.LBB10_553:
	s_or_b64 exec, exec, s[20:21]
	s_branch .LBB10_557
.LBB10_554:                             ;   in Loop: Header=BB10_557 Depth=1
	s_or_b64 exec, exec, s[20:21]
	v_readfirstlane_b32 s15, v0
	s_cmp_eq_u32 s15, 0
	s_cbranch_scc1 .LBB10_556
; %bb.555:                              ;   in Loop: Header=BB10_557 Depth=1
	s_sleep 1
	s_cbranch_execnz .LBB10_557
	s_branch .LBB10_559
.LBB10_556:
	s_branch .LBB10_559
.LBB10_557:                             ; =>This Inner Loop Header: Depth=1
	v_mov_b32_e32 v0, 1
	s_and_saveexec_b64 s[20:21], s[4:5]
	s_cbranch_execz .LBB10_554
; %bb.558:                              ;   in Loop: Header=BB10_557 Depth=1
	global_load_dword v0, v[8:9], off offset:20 glc
	s_waitcnt vmcnt(0)
	buffer_wbinvl1_vol
	v_and_b32_e32 v0, 1, v0
	s_branch .LBB10_554
.LBB10_559:
	global_load_dwordx2 v[0:1], v[10:11], off
	s_and_saveexec_b64 s[20:21], s[4:5]
	s_cbranch_execz .LBB10_562
; %bb.560:
	v_mov_b32_e32 v8, 0
	global_load_dwordx2 v[4:5], v8, s[6:7] offset:40
	global_load_dwordx2 v[9:10], v8, s[6:7] offset:24 glc
	global_load_dwordx2 v[6:7], v8, s[6:7]
	v_mov_b32_e32 v3, s19
	s_mov_b64 s[4:5], 0
	s_waitcnt vmcnt(2)
	v_add_co_u32_e32 v11, vcc, 1, v4
	v_addc_co_u32_e32 v12, vcc, 0, v5, vcc
	v_add_co_u32_e32 v2, vcc, s18, v11
	v_addc_co_u32_e32 v3, vcc, v12, v3, vcc
	v_cmp_eq_u64_e32 vcc, 0, v[2:3]
	v_cndmask_b32_e32 v3, v3, v12, vcc
	v_cndmask_b32_e32 v2, v2, v11, vcc
	v_and_b32_e32 v5, v3, v5
	v_and_b32_e32 v4, v2, v4
	v_mul_lo_u32 v5, v5, 24
	v_mul_hi_u32 v11, v4, 24
	v_mul_lo_u32 v12, v4, 24
	s_waitcnt vmcnt(1)
	v_mov_b32_e32 v4, v9
	v_add_u32_e32 v5, v11, v5
	s_waitcnt vmcnt(0)
	v_add_co_u32_e32 v6, vcc, v6, v12
	v_addc_co_u32_e32 v7, vcc, v7, v5, vcc
	global_store_dwordx2 v[6:7], v[9:10], off
	v_mov_b32_e32 v5, v10
	s_waitcnt vmcnt(0)
	global_atomic_cmpswap_x2 v[4:5], v8, v[2:5], s[6:7] offset:24 glc
	s_waitcnt vmcnt(0)
	v_cmp_ne_u64_e32 vcc, v[4:5], v[9:10]
	s_and_b64 exec, exec, vcc
	s_cbranch_execz .LBB10_562
.LBB10_561:                             ; =>This Inner Loop Header: Depth=1
	s_sleep 1
	global_store_dwordx2 v[6:7], v[4:5], off
	s_waitcnt vmcnt(0)
	global_atomic_cmpswap_x2 v[9:10], v8, v[2:5], s[6:7] offset:24 glc
	s_waitcnt vmcnt(0)
	v_cmp_eq_u64_e32 vcc, v[9:10], v[4:5]
	v_mov_b32_e32 v4, v9
	s_or_b64 s[4:5], vcc, s[4:5]
	v_mov_b32_e32 v5, v10
	s_andn2_b64 exec, exec, s[4:5]
	s_cbranch_execnz .LBB10_561
.LBB10_562:
	s_or_b64 exec, exec, s[20:21]
.LBB10_563:
	s_getpc_b64 s[18:19]
	s_add_u32 s18, s18, .str.1@rel32@lo+4
	s_addc_u32 s19, s19, .str.1@rel32@hi+12
	s_cmp_lg_u64 s[18:19], 0
	s_cbranch_scc0 .LBB10_648
; %bb.564:
	s_waitcnt vmcnt(0)
	v_and_b32_e32 v6, -3, v0
	v_mov_b32_e32 v7, v1
	s_mov_b64 s[20:21], 0x53
	v_mov_b32_e32 v26, 0
	v_mov_b32_e32 v4, 2
	v_mov_b32_e32 v5, 1
	s_branch .LBB10_566
.LBB10_565:                             ;   in Loop: Header=BB10_566 Depth=1
	s_or_b64 exec, exec, s[26:27]
	s_sub_u32 s20, s20, s22
	s_subb_u32 s21, s21, s23
	s_add_u32 s18, s18, s22
	s_addc_u32 s19, s19, s23
	s_cmp_lg_u64 s[20:21], 0
	s_cbranch_scc0 .LBB10_647
.LBB10_566:                             ; =>This Loop Header: Depth=1
                                        ;     Child Loop BB10_569 Depth 2
                                        ;     Child Loop BB10_576 Depth 2
	;; [unrolled: 1-line block ×11, first 2 shown]
	v_cmp_lt_u64_e64 s[4:5], s[20:21], 56
	v_cmp_gt_u64_e64 s[24:25], s[20:21], 7
	s_and_b64 s[4:5], s[4:5], exec
	s_cselect_b32 s23, s21, 0
	s_cselect_b32 s22, s20, 56
	s_and_b64 vcc, exec, s[24:25]
	s_cbranch_vccnz .LBB10_571
; %bb.567:                              ;   in Loop: Header=BB10_566 Depth=1
	s_waitcnt vmcnt(0)
	v_mov_b32_e32 v8, 0
	s_cmp_eq_u64 s[20:21], 0
	v_mov_b32_e32 v9, 0
	s_mov_b64 s[4:5], 0
	s_cbranch_scc1 .LBB10_570
; %bb.568:                              ;   in Loop: Header=BB10_566 Depth=1
	v_mov_b32_e32 v8, 0
	s_lshl_b64 s[24:25], s[22:23], 3
	s_mov_b64 s[26:27], 0
	v_mov_b32_e32 v9, 0
	s_mov_b64 s[28:29], s[18:19]
.LBB10_569:                             ;   Parent Loop BB10_566 Depth=1
                                        ; =>  This Inner Loop Header: Depth=2
	global_load_ubyte v2, v26, s[28:29]
	s_waitcnt vmcnt(0)
	v_and_b32_e32 v25, 0xffff, v2
	v_lshlrev_b64 v[2:3], s26, v[25:26]
	s_add_u32 s26, s26, 8
	s_addc_u32 s27, s27, 0
	s_add_u32 s28, s28, 1
	s_addc_u32 s29, s29, 0
	v_or_b32_e32 v8, v2, v8
	s_cmp_lg_u32 s24, s26
	v_or_b32_e32 v9, v3, v9
	s_cbranch_scc1 .LBB10_569
.LBB10_570:                             ;   in Loop: Header=BB10_566 Depth=1
	s_mov_b32 s15, 0
	s_andn2_b64 vcc, exec, s[4:5]
	s_mov_b64 s[4:5], s[18:19]
	s_cbranch_vccz .LBB10_572
	s_branch .LBB10_573
.LBB10_571:                             ;   in Loop: Header=BB10_566 Depth=1
                                        ; implicit-def: $sgpr15
	s_mov_b64 s[4:5], s[18:19]
.LBB10_572:                             ;   in Loop: Header=BB10_566 Depth=1
	global_load_dwordx2 v[8:9], v26, s[18:19]
	s_add_i32 s15, s22, -8
	s_add_u32 s4, s18, 8
	s_addc_u32 s5, s19, 0
.LBB10_573:                             ;   in Loop: Header=BB10_566 Depth=1
	s_cmp_gt_u32 s15, 7
	s_cbranch_scc1 .LBB10_577
; %bb.574:                              ;   in Loop: Header=BB10_566 Depth=1
	s_cmp_eq_u32 s15, 0
	s_cbranch_scc1 .LBB10_578
; %bb.575:                              ;   in Loop: Header=BB10_566 Depth=1
	v_mov_b32_e32 v10, 0
	s_mov_b64 s[24:25], 0
	v_mov_b32_e32 v11, 0
	s_mov_b64 s[26:27], 0
.LBB10_576:                             ;   Parent Loop BB10_566 Depth=1
                                        ; =>  This Inner Loop Header: Depth=2
	s_add_u32 s28, s4, s26
	s_addc_u32 s29, s5, s27
	global_load_ubyte v2, v26, s[28:29]
	s_add_u32 s26, s26, 1
	s_addc_u32 s27, s27, 0
	s_waitcnt vmcnt(0)
	v_and_b32_e32 v25, 0xffff, v2
	v_lshlrev_b64 v[2:3], s24, v[25:26]
	s_add_u32 s24, s24, 8
	s_addc_u32 s25, s25, 0
	v_or_b32_e32 v10, v2, v10
	s_cmp_lg_u32 s15, s26
	v_or_b32_e32 v11, v3, v11
	s_cbranch_scc1 .LBB10_576
	s_branch .LBB10_579
.LBB10_577:                             ;   in Loop: Header=BB10_566 Depth=1
                                        ; implicit-def: $vgpr10_vgpr11
                                        ; implicit-def: $sgpr28
	s_branch .LBB10_580
.LBB10_578:                             ;   in Loop: Header=BB10_566 Depth=1
	v_mov_b32_e32 v10, 0
	v_mov_b32_e32 v11, 0
.LBB10_579:                             ;   in Loop: Header=BB10_566 Depth=1
	s_mov_b32 s28, 0
	s_cbranch_execnz .LBB10_581
.LBB10_580:                             ;   in Loop: Header=BB10_566 Depth=1
	global_load_dwordx2 v[10:11], v26, s[4:5]
	s_add_i32 s28, s15, -8
	s_add_u32 s4, s4, 8
	s_addc_u32 s5, s5, 0
.LBB10_581:                             ;   in Loop: Header=BB10_566 Depth=1
	s_cmp_gt_u32 s28, 7
	s_cbranch_scc1 .LBB10_585
; %bb.582:                              ;   in Loop: Header=BB10_566 Depth=1
	s_cmp_eq_u32 s28, 0
	s_cbranch_scc1 .LBB10_586
; %bb.583:                              ;   in Loop: Header=BB10_566 Depth=1
	v_mov_b32_e32 v12, 0
	s_mov_b64 s[24:25], 0
	v_mov_b32_e32 v13, 0
	s_mov_b64 s[26:27], 0
.LBB10_584:                             ;   Parent Loop BB10_566 Depth=1
                                        ; =>  This Inner Loop Header: Depth=2
	s_add_u32 vcc_lo, s4, s26
	s_addc_u32 vcc_hi, s5, s27
	global_load_ubyte v2, v26, vcc
	s_add_u32 s26, s26, 1
	s_addc_u32 s27, s27, 0
	s_waitcnt vmcnt(0)
	v_and_b32_e32 v25, 0xffff, v2
	v_lshlrev_b64 v[2:3], s24, v[25:26]
	s_add_u32 s24, s24, 8
	s_addc_u32 s25, s25, 0
	v_or_b32_e32 v12, v2, v12
	s_cmp_lg_u32 s28, s26
	v_or_b32_e32 v13, v3, v13
	s_cbranch_scc1 .LBB10_584
	s_branch .LBB10_587
.LBB10_585:                             ;   in Loop: Header=BB10_566 Depth=1
                                        ; implicit-def: $sgpr15
	s_branch .LBB10_588
.LBB10_586:                             ;   in Loop: Header=BB10_566 Depth=1
	v_mov_b32_e32 v12, 0
	v_mov_b32_e32 v13, 0
.LBB10_587:                             ;   in Loop: Header=BB10_566 Depth=1
	s_mov_b32 s15, 0
	s_cbranch_execnz .LBB10_589
.LBB10_588:                             ;   in Loop: Header=BB10_566 Depth=1
	global_load_dwordx2 v[12:13], v26, s[4:5]
	s_add_i32 s15, s28, -8
	s_add_u32 s4, s4, 8
	s_addc_u32 s5, s5, 0
.LBB10_589:                             ;   in Loop: Header=BB10_566 Depth=1
	s_cmp_gt_u32 s15, 7
	s_cbranch_scc1 .LBB10_593
; %bb.590:                              ;   in Loop: Header=BB10_566 Depth=1
	s_cmp_eq_u32 s15, 0
	s_cbranch_scc1 .LBB10_594
; %bb.591:                              ;   in Loop: Header=BB10_566 Depth=1
	v_mov_b32_e32 v14, 0
	s_mov_b64 s[24:25], 0
	v_mov_b32_e32 v15, 0
	s_mov_b64 s[26:27], 0
.LBB10_592:                             ;   Parent Loop BB10_566 Depth=1
                                        ; =>  This Inner Loop Header: Depth=2
	s_add_u32 s28, s4, s26
	s_addc_u32 s29, s5, s27
	global_load_ubyte v2, v26, s[28:29]
	s_add_u32 s26, s26, 1
	s_addc_u32 s27, s27, 0
	s_waitcnt vmcnt(0)
	v_and_b32_e32 v25, 0xffff, v2
	v_lshlrev_b64 v[2:3], s24, v[25:26]
	s_add_u32 s24, s24, 8
	s_addc_u32 s25, s25, 0
	v_or_b32_e32 v14, v2, v14
	s_cmp_lg_u32 s15, s26
	v_or_b32_e32 v15, v3, v15
	s_cbranch_scc1 .LBB10_592
	s_branch .LBB10_595
.LBB10_593:                             ;   in Loop: Header=BB10_566 Depth=1
                                        ; implicit-def: $vgpr14_vgpr15
                                        ; implicit-def: $sgpr28
	s_branch .LBB10_596
.LBB10_594:                             ;   in Loop: Header=BB10_566 Depth=1
	v_mov_b32_e32 v14, 0
	v_mov_b32_e32 v15, 0
.LBB10_595:                             ;   in Loop: Header=BB10_566 Depth=1
	s_mov_b32 s28, 0
	s_cbranch_execnz .LBB10_597
.LBB10_596:                             ;   in Loop: Header=BB10_566 Depth=1
	global_load_dwordx2 v[14:15], v26, s[4:5]
	s_add_i32 s28, s15, -8
	s_add_u32 s4, s4, 8
	s_addc_u32 s5, s5, 0
.LBB10_597:                             ;   in Loop: Header=BB10_566 Depth=1
	s_cmp_gt_u32 s28, 7
	s_cbranch_scc1 .LBB10_601
; %bb.598:                              ;   in Loop: Header=BB10_566 Depth=1
	s_cmp_eq_u32 s28, 0
	s_cbranch_scc1 .LBB10_602
; %bb.599:                              ;   in Loop: Header=BB10_566 Depth=1
	v_mov_b32_e32 v16, 0
	s_mov_b64 s[24:25], 0
	v_mov_b32_e32 v17, 0
	s_mov_b64 s[26:27], 0
.LBB10_600:                             ;   Parent Loop BB10_566 Depth=1
                                        ; =>  This Inner Loop Header: Depth=2
	s_add_u32 vcc_lo, s4, s26
	s_addc_u32 vcc_hi, s5, s27
	global_load_ubyte v2, v26, vcc
	s_add_u32 s26, s26, 1
	s_addc_u32 s27, s27, 0
	s_waitcnt vmcnt(0)
	v_and_b32_e32 v25, 0xffff, v2
	v_lshlrev_b64 v[2:3], s24, v[25:26]
	s_add_u32 s24, s24, 8
	s_addc_u32 s25, s25, 0
	v_or_b32_e32 v16, v2, v16
	s_cmp_lg_u32 s28, s26
	v_or_b32_e32 v17, v3, v17
	s_cbranch_scc1 .LBB10_600
	s_branch .LBB10_603
.LBB10_601:                             ;   in Loop: Header=BB10_566 Depth=1
                                        ; implicit-def: $sgpr15
	s_branch .LBB10_604
.LBB10_602:                             ;   in Loop: Header=BB10_566 Depth=1
	v_mov_b32_e32 v16, 0
	v_mov_b32_e32 v17, 0
.LBB10_603:                             ;   in Loop: Header=BB10_566 Depth=1
	s_mov_b32 s15, 0
	s_cbranch_execnz .LBB10_605
.LBB10_604:                             ;   in Loop: Header=BB10_566 Depth=1
	global_load_dwordx2 v[16:17], v26, s[4:5]
	s_add_i32 s15, s28, -8
	s_add_u32 s4, s4, 8
	s_addc_u32 s5, s5, 0
.LBB10_605:                             ;   in Loop: Header=BB10_566 Depth=1
	s_cmp_gt_u32 s15, 7
	s_cbranch_scc1 .LBB10_609
; %bb.606:                              ;   in Loop: Header=BB10_566 Depth=1
	s_cmp_eq_u32 s15, 0
	s_cbranch_scc1 .LBB10_610
; %bb.607:                              ;   in Loop: Header=BB10_566 Depth=1
	v_mov_b32_e32 v18, 0
	s_mov_b64 s[24:25], 0
	v_mov_b32_e32 v19, 0
	s_mov_b64 s[26:27], 0
.LBB10_608:                             ;   Parent Loop BB10_566 Depth=1
                                        ; =>  This Inner Loop Header: Depth=2
	s_add_u32 s28, s4, s26
	s_addc_u32 s29, s5, s27
	global_load_ubyte v2, v26, s[28:29]
	s_add_u32 s26, s26, 1
	s_addc_u32 s27, s27, 0
	s_waitcnt vmcnt(0)
	v_and_b32_e32 v25, 0xffff, v2
	v_lshlrev_b64 v[2:3], s24, v[25:26]
	s_add_u32 s24, s24, 8
	s_addc_u32 s25, s25, 0
	v_or_b32_e32 v18, v2, v18
	s_cmp_lg_u32 s15, s26
	v_or_b32_e32 v19, v3, v19
	s_cbranch_scc1 .LBB10_608
	s_branch .LBB10_611
.LBB10_609:                             ;   in Loop: Header=BB10_566 Depth=1
                                        ; implicit-def: $vgpr18_vgpr19
                                        ; implicit-def: $sgpr28
	s_branch .LBB10_612
.LBB10_610:                             ;   in Loop: Header=BB10_566 Depth=1
	v_mov_b32_e32 v18, 0
	v_mov_b32_e32 v19, 0
.LBB10_611:                             ;   in Loop: Header=BB10_566 Depth=1
	s_mov_b32 s28, 0
	s_cbranch_execnz .LBB10_613
.LBB10_612:                             ;   in Loop: Header=BB10_566 Depth=1
	global_load_dwordx2 v[18:19], v26, s[4:5]
	s_add_i32 s28, s15, -8
	s_add_u32 s4, s4, 8
	s_addc_u32 s5, s5, 0
.LBB10_613:                             ;   in Loop: Header=BB10_566 Depth=1
	s_cmp_gt_u32 s28, 7
	s_cbranch_scc1 .LBB10_617
; %bb.614:                              ;   in Loop: Header=BB10_566 Depth=1
	s_cmp_eq_u32 s28, 0
	s_cbranch_scc1 .LBB10_618
; %bb.615:                              ;   in Loop: Header=BB10_566 Depth=1
	v_mov_b32_e32 v20, 0
	s_mov_b64 s[24:25], 0
	v_mov_b32_e32 v21, 0
	s_mov_b64 s[26:27], s[4:5]
.LBB10_616:                             ;   Parent Loop BB10_566 Depth=1
                                        ; =>  This Inner Loop Header: Depth=2
	global_load_ubyte v2, v26, s[26:27]
	s_add_i32 s28, s28, -1
	s_waitcnt vmcnt(0)
	v_and_b32_e32 v25, 0xffff, v2
	v_lshlrev_b64 v[2:3], s24, v[25:26]
	s_add_u32 s24, s24, 8
	s_addc_u32 s25, s25, 0
	s_add_u32 s26, s26, 1
	s_addc_u32 s27, s27, 0
	v_or_b32_e32 v20, v2, v20
	s_cmp_lg_u32 s28, 0
	v_or_b32_e32 v21, v3, v21
	s_cbranch_scc1 .LBB10_616
	s_branch .LBB10_619
.LBB10_617:                             ;   in Loop: Header=BB10_566 Depth=1
	s_branch .LBB10_620
.LBB10_618:                             ;   in Loop: Header=BB10_566 Depth=1
	v_mov_b32_e32 v20, 0
	v_mov_b32_e32 v21, 0
.LBB10_619:                             ;   in Loop: Header=BB10_566 Depth=1
	s_cbranch_execnz .LBB10_621
.LBB10_620:                             ;   in Loop: Header=BB10_566 Depth=1
	global_load_dwordx2 v[20:21], v26, s[4:5]
.LBB10_621:                             ;   in Loop: Header=BB10_566 Depth=1
	v_readfirstlane_b32 s4, v32
	v_mov_b32_e32 v2, 0
	v_mov_b32_e32 v3, 0
	v_cmp_eq_u32_e64 s[4:5], s4, v32
	s_and_saveexec_b64 s[24:25], s[4:5]
	s_cbranch_execz .LBB10_627
; %bb.622:                              ;   in Loop: Header=BB10_566 Depth=1
	global_load_dwordx2 v[24:25], v26, s[6:7] offset:24 glc
	s_waitcnt vmcnt(0)
	buffer_wbinvl1_vol
	global_load_dwordx2 v[2:3], v26, s[6:7] offset:40
	global_load_dwordx2 v[22:23], v26, s[6:7]
	s_waitcnt vmcnt(1)
	v_and_b32_e32 v2, v2, v24
	v_and_b32_e32 v3, v3, v25
	v_mul_lo_u32 v3, v3, 24
	v_mul_hi_u32 v27, v2, 24
	v_mul_lo_u32 v2, v2, 24
	v_add_u32_e32 v3, v27, v3
	s_waitcnt vmcnt(0)
	v_add_co_u32_e32 v2, vcc, v22, v2
	v_addc_co_u32_e32 v3, vcc, v23, v3, vcc
	global_load_dwordx2 v[22:23], v[2:3], off glc
	s_waitcnt vmcnt(0)
	global_atomic_cmpswap_x2 v[2:3], v26, v[22:25], s[6:7] offset:24 glc
	s_waitcnt vmcnt(0)
	buffer_wbinvl1_vol
	v_cmp_ne_u64_e32 vcc, v[2:3], v[24:25]
	s_and_saveexec_b64 s[26:27], vcc
	s_cbranch_execz .LBB10_626
; %bb.623:                              ;   in Loop: Header=BB10_566 Depth=1
	s_mov_b64 s[28:29], 0
.LBB10_624:                             ;   Parent Loop BB10_566 Depth=1
                                        ; =>  This Inner Loop Header: Depth=2
	s_sleep 1
	global_load_dwordx2 v[22:23], v26, s[6:7] offset:40
	global_load_dwordx2 v[27:28], v26, s[6:7]
	v_mov_b32_e32 v25, v3
	v_mov_b32_e32 v24, v2
	s_waitcnt vmcnt(1)
	v_and_b32_e32 v2, v22, v24
	s_waitcnt vmcnt(0)
	v_mad_u64_u32 v[2:3], vcc, v2, 24, v[27:28]
	v_and_b32_e32 v22, v23, v25
	v_mad_u64_u32 v[22:23], vcc, v22, 24, v[3:4]
	v_mov_b32_e32 v3, v22
	global_load_dwordx2 v[22:23], v[2:3], off glc
	s_waitcnt vmcnt(0)
	global_atomic_cmpswap_x2 v[2:3], v26, v[22:25], s[6:7] offset:24 glc
	s_waitcnt vmcnt(0)
	buffer_wbinvl1_vol
	v_cmp_eq_u64_e32 vcc, v[2:3], v[24:25]
	s_or_b64 s[28:29], vcc, s[28:29]
	s_andn2_b64 exec, exec, s[28:29]
	s_cbranch_execnz .LBB10_624
; %bb.625:                              ;   in Loop: Header=BB10_566 Depth=1
	s_or_b64 exec, exec, s[28:29]
.LBB10_626:                             ;   in Loop: Header=BB10_566 Depth=1
	s_or_b64 exec, exec, s[26:27]
.LBB10_627:                             ;   in Loop: Header=BB10_566 Depth=1
	s_or_b64 exec, exec, s[24:25]
	global_load_dwordx2 v[27:28], v26, s[6:7] offset:40
	global_load_dwordx4 v[22:25], v26, s[6:7]
	v_readfirstlane_b32 s24, v2
	v_readfirstlane_b32 s25, v3
	s_mov_b64 s[26:27], exec
	s_waitcnt vmcnt(1)
	v_readfirstlane_b32 s28, v27
	v_readfirstlane_b32 s29, v28
	s_and_b64 s[28:29], s[24:25], s[28:29]
	s_mul_i32 s15, s29, 24
	s_mul_hi_u32 vcc_lo, s28, 24
	s_mul_i32 vcc_hi, s28, 24
	s_add_i32 s15, vcc_lo, s15
	v_mov_b32_e32 v2, s15
	s_waitcnt vmcnt(0)
	v_add_co_u32_e32 v27, vcc, vcc_hi, v22
	v_addc_co_u32_e32 v28, vcc, v23, v2, vcc
	s_and_saveexec_b64 vcc, s[4:5]
	s_cbranch_execz .LBB10_629
; %bb.628:                              ;   in Loop: Header=BB10_566 Depth=1
	v_mov_b32_e32 v2, s26
	v_mov_b32_e32 v3, s27
	global_store_dwordx4 v[27:28], v[2:5], off offset:8
.LBB10_629:                             ;   in Loop: Header=BB10_566 Depth=1
	s_or_b64 exec, exec, vcc
	s_lshl_b64 s[26:27], s[28:29], 12
	v_mov_b32_e32 v2, s27
	v_add_co_u32_e32 v24, vcc, s26, v24
	v_addc_co_u32_e32 v29, vcc, v25, v2, vcc
	v_cmp_gt_u64_e64 vcc, s[20:21], 56
	v_or_b32_e32 v2, 2, v6
	s_lshl_b32 s15, s22, 2
	v_cndmask_b32_e32 v2, v2, v6, vcc
	s_add_i32 s15, s15, 28
	s_and_b32 s15, s15, 0x1e0
	v_and_b32_e32 v2, 0xffffff1f, v2
	v_or_b32_e32 v6, s15, v2
	v_readfirstlane_b32 s26, v24
	v_readfirstlane_b32 s27, v29
	s_nop 4
	global_store_dwordx4 v31, v[6:9], s[26:27]
	global_store_dwordx4 v31, v[10:13], s[26:27] offset:16
	global_store_dwordx4 v31, v[14:17], s[26:27] offset:32
	;; [unrolled: 1-line block ×3, first 2 shown]
	s_and_saveexec_b64 s[26:27], s[4:5]
	s_cbranch_execz .LBB10_637
; %bb.630:                              ;   in Loop: Header=BB10_566 Depth=1
	global_load_dwordx2 v[10:11], v26, s[6:7] offset:32 glc
	global_load_dwordx2 v[2:3], v26, s[6:7] offset:40
	v_mov_b32_e32 v8, s24
	v_mov_b32_e32 v9, s25
	s_waitcnt vmcnt(0)
	v_readfirstlane_b32 s28, v2
	v_readfirstlane_b32 s29, v3
	s_and_b64 s[28:29], s[28:29], s[24:25]
	s_mul_i32 s15, s29, 24
	s_mul_hi_u32 s29, s28, 24
	s_mul_i32 s28, s28, 24
	s_add_i32 s15, s29, s15
	v_mov_b32_e32 v3, s15
	v_add_co_u32_e32 v2, vcc, s28, v22
	v_addc_co_u32_e32 v3, vcc, v23, v3, vcc
	global_store_dwordx2 v[2:3], v[10:11], off
	s_waitcnt vmcnt(0)
	global_atomic_cmpswap_x2 v[8:9], v26, v[8:11], s[6:7] offset:32 glc
	s_waitcnt vmcnt(0)
	v_cmp_ne_u64_e32 vcc, v[8:9], v[10:11]
	s_and_saveexec_b64 s[28:29], vcc
	s_cbranch_execz .LBB10_633
; %bb.631:                              ;   in Loop: Header=BB10_566 Depth=1
	s_mov_b64 s[30:31], 0
.LBB10_632:                             ;   Parent Loop BB10_566 Depth=1
                                        ; =>  This Inner Loop Header: Depth=2
	s_sleep 1
	global_store_dwordx2 v[2:3], v[8:9], off
	v_mov_b32_e32 v6, s24
	v_mov_b32_e32 v7, s25
	s_waitcnt vmcnt(0)
	global_atomic_cmpswap_x2 v[6:7], v26, v[6:9], s[6:7] offset:32 glc
	s_waitcnt vmcnt(0)
	v_cmp_eq_u64_e32 vcc, v[6:7], v[8:9]
	v_mov_b32_e32 v9, v7
	s_or_b64 s[30:31], vcc, s[30:31]
	v_mov_b32_e32 v8, v6
	s_andn2_b64 exec, exec, s[30:31]
	s_cbranch_execnz .LBB10_632
.LBB10_633:                             ;   in Loop: Header=BB10_566 Depth=1
	s_or_b64 exec, exec, s[28:29]
	global_load_dwordx2 v[2:3], v26, s[6:7] offset:16
	s_mov_b64 s[30:31], exec
	v_mbcnt_lo_u32_b32 v6, s30, 0
	v_mbcnt_hi_u32_b32 v6, s31, v6
	v_cmp_eq_u32_e32 vcc, 0, v6
	s_and_saveexec_b64 s[28:29], vcc
	s_cbranch_execz .LBB10_635
; %bb.634:                              ;   in Loop: Header=BB10_566 Depth=1
	s_bcnt1_i32_b64 s15, s[30:31]
	v_mov_b32_e32 v25, s15
	s_waitcnt vmcnt(0)
	global_atomic_add_x2 v[2:3], v[25:26], off offset:8
.LBB10_635:                             ;   in Loop: Header=BB10_566 Depth=1
	s_or_b64 exec, exec, s[28:29]
	s_waitcnt vmcnt(0)
	global_load_dwordx2 v[6:7], v[2:3], off offset:16
	s_waitcnt vmcnt(0)
	v_cmp_eq_u64_e32 vcc, 0, v[6:7]
	s_cbranch_vccnz .LBB10_637
; %bb.636:                              ;   in Loop: Header=BB10_566 Depth=1
	global_load_dword v25, v[2:3], off offset:24
	s_waitcnt vmcnt(0)
	v_and_b32_e32 v2, 0xffffff, v25
	v_readfirstlane_b32 m0, v2
	global_store_dwordx2 v[6:7], v[25:26], off
	s_sendmsg sendmsg(MSG_INTERRUPT)
.LBB10_637:                             ;   in Loop: Header=BB10_566 Depth=1
	s_or_b64 exec, exec, s[26:27]
	v_add_co_u32_e32 v2, vcc, v24, v31
	v_addc_co_u32_e32 v3, vcc, 0, v29, vcc
	s_branch .LBB10_641
.LBB10_638:                             ;   in Loop: Header=BB10_641 Depth=2
	s_or_b64 exec, exec, s[26:27]
	v_readfirstlane_b32 s15, v6
	s_cmp_eq_u32 s15, 0
	s_cbranch_scc1 .LBB10_640
; %bb.639:                              ;   in Loop: Header=BB10_641 Depth=2
	s_sleep 1
	s_cbranch_execnz .LBB10_641
	s_branch .LBB10_643
.LBB10_640:                             ;   in Loop: Header=BB10_566 Depth=1
	s_branch .LBB10_643
.LBB10_641:                             ;   Parent Loop BB10_566 Depth=1
                                        ; =>  This Inner Loop Header: Depth=2
	v_mov_b32_e32 v6, 1
	s_and_saveexec_b64 s[26:27], s[4:5]
	s_cbranch_execz .LBB10_638
; %bb.642:                              ;   in Loop: Header=BB10_641 Depth=2
	global_load_dword v6, v[27:28], off offset:20 glc
	s_waitcnt vmcnt(0)
	buffer_wbinvl1_vol
	v_and_b32_e32 v6, 1, v6
	s_branch .LBB10_638
.LBB10_643:                             ;   in Loop: Header=BB10_566 Depth=1
	global_load_dwordx4 v[6:9], v[2:3], off
	s_and_saveexec_b64 s[26:27], s[4:5]
	s_cbranch_execz .LBB10_565
; %bb.644:                              ;   in Loop: Header=BB10_566 Depth=1
	global_load_dwordx2 v[2:3], v26, s[6:7] offset:40
	global_load_dwordx2 v[12:13], v26, s[6:7] offset:24 glc
	global_load_dwordx2 v[14:15], v26, s[6:7]
	s_waitcnt vmcnt(3)
	v_mov_b32_e32 v9, s25
	s_waitcnt vmcnt(2)
	v_add_co_u32_e32 v10, vcc, 1, v2
	v_addc_co_u32_e32 v11, vcc, 0, v3, vcc
	v_add_co_u32_e32 v8, vcc, s24, v10
	v_addc_co_u32_e32 v9, vcc, v11, v9, vcc
	v_cmp_eq_u64_e32 vcc, 0, v[8:9]
	v_cndmask_b32_e32 v9, v9, v11, vcc
	v_cndmask_b32_e32 v8, v8, v10, vcc
	v_and_b32_e32 v3, v9, v3
	v_and_b32_e32 v2, v8, v2
	v_mul_lo_u32 v3, v3, 24
	v_mul_hi_u32 v11, v2, 24
	v_mul_lo_u32 v2, v2, 24
	s_waitcnt vmcnt(1)
	v_mov_b32_e32 v10, v12
	v_add_u32_e32 v3, v11, v3
	s_waitcnt vmcnt(0)
	v_add_co_u32_e32 v2, vcc, v14, v2
	v_addc_co_u32_e32 v3, vcc, v15, v3, vcc
	global_store_dwordx2 v[2:3], v[12:13], off
	v_mov_b32_e32 v11, v13
	s_waitcnt vmcnt(0)
	global_atomic_cmpswap_x2 v[10:11], v26, v[8:11], s[6:7] offset:24 glc
	s_waitcnt vmcnt(0)
	v_cmp_ne_u64_e32 vcc, v[10:11], v[12:13]
	s_and_b64 exec, exec, vcc
	s_cbranch_execz .LBB10_565
; %bb.645:                              ;   in Loop: Header=BB10_566 Depth=1
	s_mov_b64 s[4:5], 0
.LBB10_646:                             ;   Parent Loop BB10_566 Depth=1
                                        ; =>  This Inner Loop Header: Depth=2
	s_sleep 1
	global_store_dwordx2 v[2:3], v[10:11], off
	s_waitcnt vmcnt(0)
	global_atomic_cmpswap_x2 v[12:13], v26, v[8:11], s[6:7] offset:24 glc
	s_waitcnt vmcnt(0)
	v_cmp_eq_u64_e32 vcc, v[12:13], v[10:11]
	v_mov_b32_e32 v10, v12
	s_or_b64 s[4:5], vcc, s[4:5]
	v_mov_b32_e32 v11, v13
	s_andn2_b64 exec, exec, s[4:5]
	s_cbranch_execnz .LBB10_646
	s_branch .LBB10_565
.LBB10_647:
	s_branch .LBB10_675
.LBB10_648:
	s_cbranch_execz .LBB10_675
; %bb.649:
	v_readfirstlane_b32 s4, v32
	s_waitcnt vmcnt(0)
	v_mov_b32_e32 v8, 0
	v_mov_b32_e32 v9, 0
	v_cmp_eq_u32_e64 s[4:5], s4, v32
	s_and_saveexec_b64 s[18:19], s[4:5]
	s_cbranch_execz .LBB10_655
; %bb.650:
	v_mov_b32_e32 v2, 0
	global_load_dwordx2 v[5:6], v2, s[6:7] offset:24 glc
	s_waitcnt vmcnt(0)
	buffer_wbinvl1_vol
	global_load_dwordx2 v[3:4], v2, s[6:7] offset:40
	global_load_dwordx2 v[7:8], v2, s[6:7]
	s_waitcnt vmcnt(1)
	v_and_b32_e32 v3, v3, v5
	v_and_b32_e32 v4, v4, v6
	v_mul_lo_u32 v4, v4, 24
	v_mul_hi_u32 v9, v3, 24
	v_mul_lo_u32 v3, v3, 24
	v_add_u32_e32 v4, v9, v4
	s_waitcnt vmcnt(0)
	v_add_co_u32_e32 v3, vcc, v7, v3
	v_addc_co_u32_e32 v4, vcc, v8, v4, vcc
	global_load_dwordx2 v[3:4], v[3:4], off glc
	s_waitcnt vmcnt(0)
	global_atomic_cmpswap_x2 v[8:9], v2, v[3:6], s[6:7] offset:24 glc
	s_waitcnt vmcnt(0)
	buffer_wbinvl1_vol
	v_cmp_ne_u64_e32 vcc, v[8:9], v[5:6]
	s_and_saveexec_b64 s[20:21], vcc
	s_cbranch_execz .LBB10_654
; %bb.651:
	s_mov_b64 s[22:23], 0
.LBB10_652:                             ; =>This Inner Loop Header: Depth=1
	s_sleep 1
	global_load_dwordx2 v[3:4], v2, s[6:7] offset:40
	global_load_dwordx2 v[10:11], v2, s[6:7]
	v_mov_b32_e32 v5, v8
	v_mov_b32_e32 v6, v9
	s_waitcnt vmcnt(1)
	v_and_b32_e32 v3, v3, v5
	s_waitcnt vmcnt(0)
	v_mad_u64_u32 v[7:8], s[24:25], v3, 24, v[10:11]
	v_and_b32_e32 v4, v4, v6
	v_mov_b32_e32 v3, v8
	v_mad_u64_u32 v[3:4], s[24:25], v4, 24, v[3:4]
	v_mov_b32_e32 v8, v3
	global_load_dwordx2 v[3:4], v[7:8], off glc
	s_waitcnt vmcnt(0)
	global_atomic_cmpswap_x2 v[8:9], v2, v[3:6], s[6:7] offset:24 glc
	s_waitcnt vmcnt(0)
	buffer_wbinvl1_vol
	v_cmp_eq_u64_e32 vcc, v[8:9], v[5:6]
	s_or_b64 s[22:23], vcc, s[22:23]
	s_andn2_b64 exec, exec, s[22:23]
	s_cbranch_execnz .LBB10_652
; %bb.653:
	s_or_b64 exec, exec, s[22:23]
.LBB10_654:
	s_or_b64 exec, exec, s[20:21]
.LBB10_655:
	s_or_b64 exec, exec, s[18:19]
	v_mov_b32_e32 v2, 0
	global_load_dwordx2 v[10:11], v2, s[6:7] offset:40
	global_load_dwordx4 v[4:7], v2, s[6:7]
	v_readfirstlane_b32 s18, v8
	v_readfirstlane_b32 s19, v9
	s_mov_b64 s[20:21], exec
	s_waitcnt vmcnt(1)
	v_readfirstlane_b32 s22, v10
	v_readfirstlane_b32 s23, v11
	s_and_b64 s[22:23], s[18:19], s[22:23]
	s_mul_i32 s15, s23, 24
	s_mul_hi_u32 s24, s22, 24
	s_mul_i32 s25, s22, 24
	s_add_i32 s15, s24, s15
	v_mov_b32_e32 v3, s15
	s_waitcnt vmcnt(0)
	v_add_co_u32_e32 v8, vcc, s25, v4
	v_addc_co_u32_e32 v9, vcc, v5, v3, vcc
	s_and_saveexec_b64 s[24:25], s[4:5]
	s_cbranch_execz .LBB10_657
; %bb.656:
	v_mov_b32_e32 v10, s20
	v_mov_b32_e32 v11, s21
	;; [unrolled: 1-line block ×4, first 2 shown]
	global_store_dwordx4 v[8:9], v[10:13], off offset:8
.LBB10_657:
	s_or_b64 exec, exec, s[24:25]
	s_lshl_b64 s[20:21], s[22:23], 12
	v_mov_b32_e32 v3, s21
	v_add_co_u32_e32 v6, vcc, s20, v6
	v_addc_co_u32_e32 v7, vcc, v7, v3, vcc
	s_movk_i32 s15, 0xff1d
	v_and_or_b32 v0, v0, s15, 34
	s_mov_b32 s20, 0
	v_mov_b32_e32 v3, v2
	v_readfirstlane_b32 s24, v6
	v_readfirstlane_b32 s25, v7
	s_mov_b32 s21, s20
	s_mov_b32 s22, s20
	;; [unrolled: 1-line block ×3, first 2 shown]
	s_nop 1
	global_store_dwordx4 v31, v[0:3], s[24:25]
	s_nop 0
	v_mov_b32_e32 v0, s20
	v_mov_b32_e32 v1, s21
	;; [unrolled: 1-line block ×4, first 2 shown]
	global_store_dwordx4 v31, v[0:3], s[24:25] offset:16
	global_store_dwordx4 v31, v[0:3], s[24:25] offset:32
	;; [unrolled: 1-line block ×3, first 2 shown]
	s_and_saveexec_b64 s[20:21], s[4:5]
	s_cbranch_execz .LBB10_665
; %bb.658:
	v_mov_b32_e32 v6, 0
	global_load_dwordx2 v[12:13], v6, s[6:7] offset:32 glc
	global_load_dwordx2 v[0:1], v6, s[6:7] offset:40
	v_mov_b32_e32 v10, s18
	v_mov_b32_e32 v11, s19
	s_waitcnt vmcnt(0)
	v_readfirstlane_b32 s22, v0
	v_readfirstlane_b32 s23, v1
	s_and_b64 s[22:23], s[22:23], s[18:19]
	s_mul_i32 s15, s23, 24
	s_mul_hi_u32 s23, s22, 24
	s_mul_i32 s22, s22, 24
	s_add_i32 s15, s23, s15
	v_mov_b32_e32 v0, s15
	v_add_co_u32_e32 v4, vcc, s22, v4
	v_addc_co_u32_e32 v5, vcc, v5, v0, vcc
	global_store_dwordx2 v[4:5], v[12:13], off
	s_waitcnt vmcnt(0)
	global_atomic_cmpswap_x2 v[2:3], v6, v[10:13], s[6:7] offset:32 glc
	s_waitcnt vmcnt(0)
	v_cmp_ne_u64_e32 vcc, v[2:3], v[12:13]
	s_and_saveexec_b64 s[22:23], vcc
	s_cbranch_execz .LBB10_661
; %bb.659:
	s_mov_b64 s[24:25], 0
.LBB10_660:                             ; =>This Inner Loop Header: Depth=1
	s_sleep 1
	global_store_dwordx2 v[4:5], v[2:3], off
	v_mov_b32_e32 v0, s18
	v_mov_b32_e32 v1, s19
	s_waitcnt vmcnt(0)
	global_atomic_cmpswap_x2 v[0:1], v6, v[0:3], s[6:7] offset:32 glc
	s_waitcnt vmcnt(0)
	v_cmp_eq_u64_e32 vcc, v[0:1], v[2:3]
	v_mov_b32_e32 v3, v1
	s_or_b64 s[24:25], vcc, s[24:25]
	v_mov_b32_e32 v2, v0
	s_andn2_b64 exec, exec, s[24:25]
	s_cbranch_execnz .LBB10_660
.LBB10_661:
	s_or_b64 exec, exec, s[22:23]
	v_mov_b32_e32 v3, 0
	global_load_dwordx2 v[0:1], v3, s[6:7] offset:16
	s_mov_b64 s[22:23], exec
	v_mbcnt_lo_u32_b32 v2, s22, 0
	v_mbcnt_hi_u32_b32 v2, s23, v2
	v_cmp_eq_u32_e32 vcc, 0, v2
	s_and_saveexec_b64 s[24:25], vcc
	s_cbranch_execz .LBB10_663
; %bb.662:
	s_bcnt1_i32_b64 s15, s[22:23]
	v_mov_b32_e32 v2, s15
	s_waitcnt vmcnt(0)
	global_atomic_add_x2 v[0:1], v[2:3], off offset:8
.LBB10_663:
	s_or_b64 exec, exec, s[24:25]
	s_waitcnt vmcnt(0)
	global_load_dwordx2 v[2:3], v[0:1], off offset:16
	s_waitcnt vmcnt(0)
	v_cmp_eq_u64_e32 vcc, 0, v[2:3]
	s_cbranch_vccnz .LBB10_665
; %bb.664:
	global_load_dword v0, v[0:1], off offset:24
	v_mov_b32_e32 v1, 0
	s_waitcnt vmcnt(0)
	global_store_dwordx2 v[2:3], v[0:1], off
	v_and_b32_e32 v0, 0xffffff, v0
	v_readfirstlane_b32 m0, v0
	s_sendmsg sendmsg(MSG_INTERRUPT)
.LBB10_665:
	s_or_b64 exec, exec, s[20:21]
	s_branch .LBB10_669
.LBB10_666:                             ;   in Loop: Header=BB10_669 Depth=1
	s_or_b64 exec, exec, s[20:21]
	v_readfirstlane_b32 s15, v0
	s_cmp_eq_u32 s15, 0
	s_cbranch_scc1 .LBB10_668
; %bb.667:                              ;   in Loop: Header=BB10_669 Depth=1
	s_sleep 1
	s_cbranch_execnz .LBB10_669
	s_branch .LBB10_671
.LBB10_668:
	s_branch .LBB10_671
.LBB10_669:                             ; =>This Inner Loop Header: Depth=1
	v_mov_b32_e32 v0, 1
	s_and_saveexec_b64 s[20:21], s[4:5]
	s_cbranch_execz .LBB10_666
; %bb.670:                              ;   in Loop: Header=BB10_669 Depth=1
	global_load_dword v0, v[8:9], off offset:20 glc
	s_waitcnt vmcnt(0)
	buffer_wbinvl1_vol
	v_and_b32_e32 v0, 1, v0
	s_branch .LBB10_666
.LBB10_671:
	s_and_saveexec_b64 s[20:21], s[4:5]
	s_cbranch_execz .LBB10_674
; %bb.672:
	v_mov_b32_e32 v6, 0
	global_load_dwordx2 v[2:3], v6, s[6:7] offset:40
	global_load_dwordx2 v[7:8], v6, s[6:7] offset:24 glc
	global_load_dwordx2 v[4:5], v6, s[6:7]
	v_mov_b32_e32 v1, s19
	s_mov_b64 s[4:5], 0
	s_waitcnt vmcnt(2)
	v_add_co_u32_e32 v9, vcc, 1, v2
	v_addc_co_u32_e32 v10, vcc, 0, v3, vcc
	v_add_co_u32_e32 v0, vcc, s18, v9
	v_addc_co_u32_e32 v1, vcc, v10, v1, vcc
	v_cmp_eq_u64_e32 vcc, 0, v[0:1]
	v_cndmask_b32_e32 v1, v1, v10, vcc
	v_cndmask_b32_e32 v0, v0, v9, vcc
	v_and_b32_e32 v3, v1, v3
	v_and_b32_e32 v2, v0, v2
	v_mul_lo_u32 v3, v3, 24
	v_mul_hi_u32 v9, v2, 24
	v_mul_lo_u32 v10, v2, 24
	s_waitcnt vmcnt(1)
	v_mov_b32_e32 v2, v7
	v_add_u32_e32 v3, v9, v3
	s_waitcnt vmcnt(0)
	v_add_co_u32_e32 v4, vcc, v4, v10
	v_addc_co_u32_e32 v5, vcc, v5, v3, vcc
	global_store_dwordx2 v[4:5], v[7:8], off
	v_mov_b32_e32 v3, v8
	s_waitcnt vmcnt(0)
	global_atomic_cmpswap_x2 v[2:3], v6, v[0:3], s[6:7] offset:24 glc
	s_waitcnt vmcnt(0)
	v_cmp_ne_u64_e32 vcc, v[2:3], v[7:8]
	s_and_b64 exec, exec, vcc
	s_cbranch_execz .LBB10_674
.LBB10_673:                             ; =>This Inner Loop Header: Depth=1
	s_sleep 1
	global_store_dwordx2 v[4:5], v[2:3], off
	s_waitcnt vmcnt(0)
	global_atomic_cmpswap_x2 v[7:8], v6, v[0:3], s[6:7] offset:24 glc
	s_waitcnt vmcnt(0)
	v_cmp_eq_u64_e32 vcc, v[7:8], v[2:3]
	v_mov_b32_e32 v2, v7
	s_or_b64 s[4:5], vcc, s[4:5]
	v_mov_b32_e32 v3, v8
	s_andn2_b64 exec, exec, s[4:5]
	s_cbranch_execnz .LBB10_673
.LBB10_674:
	s_or_b64 exec, exec, s[20:21]
.LBB10_675:
	v_readfirstlane_b32 s4, v32
	s_waitcnt vmcnt(0)
	v_mov_b32_e32 v5, 0
	v_mov_b32_e32 v6, 0
	v_cmp_eq_u32_e64 s[4:5], s4, v32
	s_and_saveexec_b64 s[18:19], s[4:5]
	s_cbranch_execz .LBB10_681
; %bb.676:
	v_mov_b32_e32 v0, 0
	global_load_dwordx2 v[3:4], v0, s[6:7] offset:24 glc
	s_waitcnt vmcnt(0)
	buffer_wbinvl1_vol
	global_load_dwordx2 v[1:2], v0, s[6:7] offset:40
	global_load_dwordx2 v[5:6], v0, s[6:7]
	s_waitcnt vmcnt(1)
	v_and_b32_e32 v1, v1, v3
	v_and_b32_e32 v2, v2, v4
	v_mul_lo_u32 v2, v2, 24
	v_mul_hi_u32 v7, v1, 24
	v_mul_lo_u32 v1, v1, 24
	v_add_u32_e32 v2, v7, v2
	s_waitcnt vmcnt(0)
	v_add_co_u32_e32 v1, vcc, v5, v1
	v_addc_co_u32_e32 v2, vcc, v6, v2, vcc
	global_load_dwordx2 v[1:2], v[1:2], off glc
	s_waitcnt vmcnt(0)
	global_atomic_cmpswap_x2 v[5:6], v0, v[1:4], s[6:7] offset:24 glc
	s_waitcnt vmcnt(0)
	buffer_wbinvl1_vol
	v_cmp_ne_u64_e32 vcc, v[5:6], v[3:4]
	s_and_saveexec_b64 s[20:21], vcc
	s_cbranch_execz .LBB10_680
; %bb.677:
	s_mov_b64 s[22:23], 0
.LBB10_678:                             ; =>This Inner Loop Header: Depth=1
	s_sleep 1
	global_load_dwordx2 v[1:2], v0, s[6:7] offset:40
	global_load_dwordx2 v[7:8], v0, s[6:7]
	v_mov_b32_e32 v3, v5
	v_mov_b32_e32 v4, v6
	s_waitcnt vmcnt(1)
	v_and_b32_e32 v1, v1, v3
	s_waitcnt vmcnt(0)
	v_mad_u64_u32 v[5:6], s[24:25], v1, 24, v[7:8]
	v_and_b32_e32 v2, v2, v4
	v_mov_b32_e32 v1, v6
	v_mad_u64_u32 v[1:2], s[24:25], v2, 24, v[1:2]
	v_mov_b32_e32 v6, v1
	global_load_dwordx2 v[1:2], v[5:6], off glc
	s_waitcnt vmcnt(0)
	global_atomic_cmpswap_x2 v[5:6], v0, v[1:4], s[6:7] offset:24 glc
	s_waitcnt vmcnt(0)
	buffer_wbinvl1_vol
	v_cmp_eq_u64_e32 vcc, v[5:6], v[3:4]
	s_or_b64 s[22:23], vcc, s[22:23]
	s_andn2_b64 exec, exec, s[22:23]
	s_cbranch_execnz .LBB10_678
; %bb.679:
	s_or_b64 exec, exec, s[22:23]
.LBB10_680:
	s_or_b64 exec, exec, s[20:21]
.LBB10_681:
	s_or_b64 exec, exec, s[18:19]
	v_mov_b32_e32 v4, 0
	global_load_dwordx2 v[7:8], v4, s[6:7] offset:40
	global_load_dwordx4 v[0:3], v4, s[6:7]
	v_readfirstlane_b32 s18, v5
	v_readfirstlane_b32 s19, v6
	s_mov_b64 s[20:21], exec
	s_waitcnt vmcnt(1)
	v_readfirstlane_b32 s22, v7
	v_readfirstlane_b32 s23, v8
	s_and_b64 s[22:23], s[18:19], s[22:23]
	s_mul_i32 s15, s23, 24
	s_mul_hi_u32 s24, s22, 24
	s_mul_i32 s25, s22, 24
	s_add_i32 s15, s24, s15
	v_mov_b32_e32 v5, s15
	s_waitcnt vmcnt(0)
	v_add_co_u32_e32 v7, vcc, s25, v0
	v_addc_co_u32_e32 v8, vcc, v1, v5, vcc
	s_and_saveexec_b64 s[24:25], s[4:5]
	s_cbranch_execz .LBB10_683
; %bb.682:
	v_mov_b32_e32 v9, s20
	v_mov_b32_e32 v10, s21
	;; [unrolled: 1-line block ×4, first 2 shown]
	global_store_dwordx4 v[7:8], v[9:12], off offset:8
.LBB10_683:
	s_or_b64 exec, exec, s[24:25]
	s_lshl_b64 s[20:21], s[22:23], 12
	v_mov_b32_e32 v5, s21
	v_add_co_u32_e32 v2, vcc, s20, v2
	v_addc_co_u32_e32 v11, vcc, v3, v5, vcc
	s_mov_b32 s20, 0
	v_mov_b32_e32 v3, 33
	v_mov_b32_e32 v5, v4
	;; [unrolled: 1-line block ×3, first 2 shown]
	v_readfirstlane_b32 s24, v2
	v_readfirstlane_b32 s25, v11
	v_add_co_u32_e32 v9, vcc, v2, v31
	s_mov_b32 s21, s20
	s_mov_b32 s22, s20
	;; [unrolled: 1-line block ×3, first 2 shown]
	s_nop 0
	global_store_dwordx4 v31, v[3:6], s[24:25]
	v_mov_b32_e32 v2, s20
	v_addc_co_u32_e32 v10, vcc, 0, v11, vcc
	v_mov_b32_e32 v3, s21
	v_mov_b32_e32 v4, s22
	;; [unrolled: 1-line block ×3, first 2 shown]
	global_store_dwordx4 v31, v[2:5], s[24:25] offset:16
	global_store_dwordx4 v31, v[2:5], s[24:25] offset:32
	;; [unrolled: 1-line block ×3, first 2 shown]
	s_and_saveexec_b64 s[20:21], s[4:5]
	s_cbranch_execz .LBB10_691
; %bb.684:
	v_mov_b32_e32 v6, 0
	global_load_dwordx2 v[13:14], v6, s[6:7] offset:32 glc
	global_load_dwordx2 v[2:3], v6, s[6:7] offset:40
	v_mov_b32_e32 v11, s18
	v_mov_b32_e32 v12, s19
	s_waitcnt vmcnt(0)
	v_readfirstlane_b32 s22, v2
	v_readfirstlane_b32 s23, v3
	s_and_b64 s[22:23], s[22:23], s[18:19]
	s_mul_i32 s15, s23, 24
	s_mul_hi_u32 s23, s22, 24
	s_mul_i32 s22, s22, 24
	s_add_i32 s15, s23, s15
	v_mov_b32_e32 v2, s15
	v_add_co_u32_e32 v4, vcc, s22, v0
	v_addc_co_u32_e32 v5, vcc, v1, v2, vcc
	global_store_dwordx2 v[4:5], v[13:14], off
	s_waitcnt vmcnt(0)
	global_atomic_cmpswap_x2 v[2:3], v6, v[11:14], s[6:7] offset:32 glc
	s_waitcnt vmcnt(0)
	v_cmp_ne_u64_e32 vcc, v[2:3], v[13:14]
	s_and_saveexec_b64 s[22:23], vcc
	s_cbranch_execz .LBB10_687
; %bb.685:
	s_mov_b64 s[24:25], 0
.LBB10_686:                             ; =>This Inner Loop Header: Depth=1
	s_sleep 1
	global_store_dwordx2 v[4:5], v[2:3], off
	v_mov_b32_e32 v0, s18
	v_mov_b32_e32 v1, s19
	s_waitcnt vmcnt(0)
	global_atomic_cmpswap_x2 v[0:1], v6, v[0:3], s[6:7] offset:32 glc
	s_waitcnt vmcnt(0)
	v_cmp_eq_u64_e32 vcc, v[0:1], v[2:3]
	v_mov_b32_e32 v3, v1
	s_or_b64 s[24:25], vcc, s[24:25]
	v_mov_b32_e32 v2, v0
	s_andn2_b64 exec, exec, s[24:25]
	s_cbranch_execnz .LBB10_686
.LBB10_687:
	s_or_b64 exec, exec, s[22:23]
	v_mov_b32_e32 v3, 0
	global_load_dwordx2 v[0:1], v3, s[6:7] offset:16
	s_mov_b64 s[22:23], exec
	v_mbcnt_lo_u32_b32 v2, s22, 0
	v_mbcnt_hi_u32_b32 v2, s23, v2
	v_cmp_eq_u32_e32 vcc, 0, v2
	s_and_saveexec_b64 s[24:25], vcc
	s_cbranch_execz .LBB10_689
; %bb.688:
	s_bcnt1_i32_b64 s15, s[22:23]
	v_mov_b32_e32 v2, s15
	s_waitcnt vmcnt(0)
	global_atomic_add_x2 v[0:1], v[2:3], off offset:8
.LBB10_689:
	s_or_b64 exec, exec, s[24:25]
	s_waitcnt vmcnt(0)
	global_load_dwordx2 v[2:3], v[0:1], off offset:16
	s_waitcnt vmcnt(0)
	v_cmp_eq_u64_e32 vcc, 0, v[2:3]
	s_cbranch_vccnz .LBB10_691
; %bb.690:
	global_load_dword v0, v[0:1], off offset:24
	v_mov_b32_e32 v1, 0
	s_waitcnt vmcnt(0)
	global_store_dwordx2 v[2:3], v[0:1], off
	v_and_b32_e32 v0, 0xffffff, v0
	v_readfirstlane_b32 m0, v0
	s_sendmsg sendmsg(MSG_INTERRUPT)
.LBB10_691:
	s_or_b64 exec, exec, s[20:21]
	s_branch .LBB10_695
.LBB10_692:                             ;   in Loop: Header=BB10_695 Depth=1
	s_or_b64 exec, exec, s[20:21]
	v_readfirstlane_b32 s15, v0
	s_cmp_eq_u32 s15, 0
	s_cbranch_scc1 .LBB10_694
; %bb.693:                              ;   in Loop: Header=BB10_695 Depth=1
	s_sleep 1
	s_cbranch_execnz .LBB10_695
	s_branch .LBB10_697
.LBB10_694:
	s_branch .LBB10_697
.LBB10_695:                             ; =>This Inner Loop Header: Depth=1
	v_mov_b32_e32 v0, 1
	s_and_saveexec_b64 s[20:21], s[4:5]
	s_cbranch_execz .LBB10_692
; %bb.696:                              ;   in Loop: Header=BB10_695 Depth=1
	global_load_dword v0, v[7:8], off offset:20 glc
	s_waitcnt vmcnt(0)
	buffer_wbinvl1_vol
	v_and_b32_e32 v0, 1, v0
	s_branch .LBB10_692
.LBB10_697:
	global_load_dwordx2 v[0:1], v[9:10], off
	s_and_saveexec_b64 s[20:21], s[4:5]
	s_cbranch_execz .LBB10_700
; %bb.698:
	v_mov_b32_e32 v8, 0
	global_load_dwordx2 v[4:5], v8, s[6:7] offset:40
	global_load_dwordx2 v[9:10], v8, s[6:7] offset:24 glc
	global_load_dwordx2 v[6:7], v8, s[6:7]
	v_mov_b32_e32 v3, s19
	s_mov_b64 s[4:5], 0
	s_waitcnt vmcnt(2)
	v_add_co_u32_e32 v11, vcc, 1, v4
	v_addc_co_u32_e32 v12, vcc, 0, v5, vcc
	v_add_co_u32_e32 v2, vcc, s18, v11
	v_addc_co_u32_e32 v3, vcc, v12, v3, vcc
	v_cmp_eq_u64_e32 vcc, 0, v[2:3]
	v_cndmask_b32_e32 v3, v3, v12, vcc
	v_cndmask_b32_e32 v2, v2, v11, vcc
	v_and_b32_e32 v5, v3, v5
	v_and_b32_e32 v4, v2, v4
	v_mul_lo_u32 v5, v5, 24
	v_mul_hi_u32 v11, v4, 24
	v_mul_lo_u32 v12, v4, 24
	s_waitcnt vmcnt(1)
	v_mov_b32_e32 v4, v9
	v_add_u32_e32 v5, v11, v5
	s_waitcnt vmcnt(0)
	v_add_co_u32_e32 v6, vcc, v6, v12
	v_addc_co_u32_e32 v7, vcc, v7, v5, vcc
	global_store_dwordx2 v[6:7], v[9:10], off
	v_mov_b32_e32 v5, v10
	s_waitcnt vmcnt(0)
	global_atomic_cmpswap_x2 v[4:5], v8, v[2:5], s[6:7] offset:24 glc
	s_waitcnt vmcnt(0)
	v_cmp_ne_u64_e32 vcc, v[4:5], v[9:10]
	s_and_b64 exec, exec, vcc
	s_cbranch_execz .LBB10_700
.LBB10_699:                             ; =>This Inner Loop Header: Depth=1
	s_sleep 1
	global_store_dwordx2 v[6:7], v[4:5], off
	s_waitcnt vmcnt(0)
	global_atomic_cmpswap_x2 v[9:10], v8, v[2:5], s[6:7] offset:24 glc
	s_waitcnt vmcnt(0)
	v_cmp_eq_u64_e32 vcc, v[9:10], v[4:5]
	v_mov_b32_e32 v4, v9
	s_or_b64 s[4:5], vcc, s[4:5]
	v_mov_b32_e32 v5, v10
	s_andn2_b64 exec, exec, s[4:5]
	s_cbranch_execnz .LBB10_699
.LBB10_700:
	s_or_b64 exec, exec, s[20:21]
	s_and_b64 vcc, exec, s[16:17]
	s_cbranch_vccz .LBB10_785
; %bb.701:
	s_waitcnt vmcnt(0)
	v_and_b32_e32 v33, 2, v0
	v_mov_b32_e32 v28, 0
	v_and_b32_e32 v2, -3, v0
	v_mov_b32_e32 v3, v1
	s_mov_b64 s[20:21], 3
	v_mov_b32_e32 v6, 2
	v_mov_b32_e32 v7, 1
	s_getpc_b64 s[18:19]
	s_add_u32 s18, s18, .str.6@rel32@lo+4
	s_addc_u32 s19, s19, .str.6@rel32@hi+12
	s_branch .LBB10_703
.LBB10_702:                             ;   in Loop: Header=BB10_703 Depth=1
	s_or_b64 exec, exec, s[26:27]
	s_sub_u32 s20, s20, s22
	s_subb_u32 s21, s21, s23
	s_add_u32 s18, s18, s22
	s_addc_u32 s19, s19, s23
	s_cmp_lg_u64 s[20:21], 0
	s_cbranch_scc0 .LBB10_784
.LBB10_703:                             ; =>This Loop Header: Depth=1
                                        ;     Child Loop BB10_706 Depth 2
                                        ;     Child Loop BB10_713 Depth 2
	;; [unrolled: 1-line block ×11, first 2 shown]
	v_cmp_lt_u64_e64 s[4:5], s[20:21], 56
	v_cmp_gt_u64_e64 s[24:25], s[20:21], 7
	s_and_b64 s[4:5], s[4:5], exec
	s_cselect_b32 s23, s21, 0
	s_cselect_b32 s22, s20, 56
	s_and_b64 vcc, exec, s[24:25]
	s_cbranch_vccnz .LBB10_708
; %bb.704:                              ;   in Loop: Header=BB10_703 Depth=1
	v_mov_b32_e32 v10, 0
	s_cmp_eq_u64 s[20:21], 0
	v_mov_b32_e32 v11, 0
	s_mov_b64 s[4:5], 0
	s_cbranch_scc1 .LBB10_707
; %bb.705:                              ;   in Loop: Header=BB10_703 Depth=1
	v_mov_b32_e32 v10, 0
	s_lshl_b64 s[24:25], s[22:23], 3
	s_mov_b64 s[26:27], 0
	v_mov_b32_e32 v11, 0
	s_mov_b64 s[28:29], s[18:19]
.LBB10_706:                             ;   Parent Loop BB10_703 Depth=1
                                        ; =>  This Inner Loop Header: Depth=2
	global_load_ubyte v4, v28, s[28:29]
	s_waitcnt vmcnt(0)
	v_and_b32_e32 v27, 0xffff, v4
	v_lshlrev_b64 v[4:5], s26, v[27:28]
	s_add_u32 s26, s26, 8
	s_addc_u32 s27, s27, 0
	s_add_u32 s28, s28, 1
	s_addc_u32 s29, s29, 0
	v_or_b32_e32 v10, v4, v10
	s_cmp_lg_u32 s24, s26
	v_or_b32_e32 v11, v5, v11
	s_cbranch_scc1 .LBB10_706
.LBB10_707:                             ;   in Loop: Header=BB10_703 Depth=1
	s_mov_b32 s15, 0
	s_andn2_b64 vcc, exec, s[4:5]
	s_mov_b64 s[4:5], s[18:19]
	s_cbranch_vccz .LBB10_709
	s_branch .LBB10_710
.LBB10_708:                             ;   in Loop: Header=BB10_703 Depth=1
                                        ; implicit-def: $vgpr10_vgpr11
                                        ; implicit-def: $sgpr15
	s_mov_b64 s[4:5], s[18:19]
.LBB10_709:                             ;   in Loop: Header=BB10_703 Depth=1
	global_load_dwordx2 v[10:11], v28, s[18:19]
	s_add_i32 s15, s22, -8
	s_add_u32 s4, s18, 8
	s_addc_u32 s5, s19, 0
.LBB10_710:                             ;   in Loop: Header=BB10_703 Depth=1
	s_cmp_gt_u32 s15, 7
	s_cbranch_scc1 .LBB10_714
; %bb.711:                              ;   in Loop: Header=BB10_703 Depth=1
	s_cmp_eq_u32 s15, 0
	s_cbranch_scc1 .LBB10_715
; %bb.712:                              ;   in Loop: Header=BB10_703 Depth=1
	v_mov_b32_e32 v12, 0
	s_mov_b64 s[24:25], 0
	v_mov_b32_e32 v13, 0
	s_mov_b64 s[26:27], 0
.LBB10_713:                             ;   Parent Loop BB10_703 Depth=1
                                        ; =>  This Inner Loop Header: Depth=2
	s_add_u32 s28, s4, s26
	s_addc_u32 s29, s5, s27
	global_load_ubyte v4, v28, s[28:29]
	s_add_u32 s26, s26, 1
	s_addc_u32 s27, s27, 0
	s_waitcnt vmcnt(0)
	v_and_b32_e32 v27, 0xffff, v4
	v_lshlrev_b64 v[4:5], s24, v[27:28]
	s_add_u32 s24, s24, 8
	s_addc_u32 s25, s25, 0
	v_or_b32_e32 v12, v4, v12
	s_cmp_lg_u32 s15, s26
	v_or_b32_e32 v13, v5, v13
	s_cbranch_scc1 .LBB10_713
	s_branch .LBB10_716
.LBB10_714:                             ;   in Loop: Header=BB10_703 Depth=1
                                        ; implicit-def: $vgpr12_vgpr13
                                        ; implicit-def: $sgpr28
	s_branch .LBB10_717
.LBB10_715:                             ;   in Loop: Header=BB10_703 Depth=1
	v_mov_b32_e32 v12, 0
	v_mov_b32_e32 v13, 0
.LBB10_716:                             ;   in Loop: Header=BB10_703 Depth=1
	s_mov_b32 s28, 0
	s_cbranch_execnz .LBB10_718
.LBB10_717:                             ;   in Loop: Header=BB10_703 Depth=1
	global_load_dwordx2 v[12:13], v28, s[4:5]
	s_add_i32 s28, s15, -8
	s_add_u32 s4, s4, 8
	s_addc_u32 s5, s5, 0
.LBB10_718:                             ;   in Loop: Header=BB10_703 Depth=1
	s_cmp_gt_u32 s28, 7
	s_cbranch_scc1 .LBB10_722
; %bb.719:                              ;   in Loop: Header=BB10_703 Depth=1
	s_cmp_eq_u32 s28, 0
	s_cbranch_scc1 .LBB10_723
; %bb.720:                              ;   in Loop: Header=BB10_703 Depth=1
	v_mov_b32_e32 v14, 0
	s_mov_b64 s[24:25], 0
	v_mov_b32_e32 v15, 0
	s_mov_b64 s[26:27], 0
.LBB10_721:                             ;   Parent Loop BB10_703 Depth=1
                                        ; =>  This Inner Loop Header: Depth=2
	s_add_u32 vcc_lo, s4, s26
	s_addc_u32 vcc_hi, s5, s27
	global_load_ubyte v4, v28, vcc
	s_add_u32 s26, s26, 1
	s_addc_u32 s27, s27, 0
	s_waitcnt vmcnt(0)
	v_and_b32_e32 v27, 0xffff, v4
	v_lshlrev_b64 v[4:5], s24, v[27:28]
	s_add_u32 s24, s24, 8
	s_addc_u32 s25, s25, 0
	v_or_b32_e32 v14, v4, v14
	s_cmp_lg_u32 s28, s26
	v_or_b32_e32 v15, v5, v15
	s_cbranch_scc1 .LBB10_721
	s_branch .LBB10_724
.LBB10_722:                             ;   in Loop: Header=BB10_703 Depth=1
                                        ; implicit-def: $sgpr15
	s_branch .LBB10_725
.LBB10_723:                             ;   in Loop: Header=BB10_703 Depth=1
	v_mov_b32_e32 v14, 0
	v_mov_b32_e32 v15, 0
.LBB10_724:                             ;   in Loop: Header=BB10_703 Depth=1
	s_mov_b32 s15, 0
	s_cbranch_execnz .LBB10_726
.LBB10_725:                             ;   in Loop: Header=BB10_703 Depth=1
	global_load_dwordx2 v[14:15], v28, s[4:5]
	s_add_i32 s15, s28, -8
	s_add_u32 s4, s4, 8
	s_addc_u32 s5, s5, 0
.LBB10_726:                             ;   in Loop: Header=BB10_703 Depth=1
	s_cmp_gt_u32 s15, 7
	s_cbranch_scc1 .LBB10_730
; %bb.727:                              ;   in Loop: Header=BB10_703 Depth=1
	s_cmp_eq_u32 s15, 0
	s_cbranch_scc1 .LBB10_731
; %bb.728:                              ;   in Loop: Header=BB10_703 Depth=1
	v_mov_b32_e32 v16, 0
	s_mov_b64 s[24:25], 0
	v_mov_b32_e32 v17, 0
	s_mov_b64 s[26:27], 0
.LBB10_729:                             ;   Parent Loop BB10_703 Depth=1
                                        ; =>  This Inner Loop Header: Depth=2
	s_add_u32 s28, s4, s26
	s_addc_u32 s29, s5, s27
	global_load_ubyte v4, v28, s[28:29]
	s_add_u32 s26, s26, 1
	s_addc_u32 s27, s27, 0
	s_waitcnt vmcnt(0)
	v_and_b32_e32 v27, 0xffff, v4
	v_lshlrev_b64 v[4:5], s24, v[27:28]
	s_add_u32 s24, s24, 8
	s_addc_u32 s25, s25, 0
	v_or_b32_e32 v16, v4, v16
	s_cmp_lg_u32 s15, s26
	v_or_b32_e32 v17, v5, v17
	s_cbranch_scc1 .LBB10_729
	s_branch .LBB10_732
.LBB10_730:                             ;   in Loop: Header=BB10_703 Depth=1
                                        ; implicit-def: $vgpr16_vgpr17
                                        ; implicit-def: $sgpr28
	s_branch .LBB10_733
.LBB10_731:                             ;   in Loop: Header=BB10_703 Depth=1
	v_mov_b32_e32 v16, 0
	v_mov_b32_e32 v17, 0
.LBB10_732:                             ;   in Loop: Header=BB10_703 Depth=1
	s_mov_b32 s28, 0
	s_cbranch_execnz .LBB10_734
.LBB10_733:                             ;   in Loop: Header=BB10_703 Depth=1
	global_load_dwordx2 v[16:17], v28, s[4:5]
	s_add_i32 s28, s15, -8
	s_add_u32 s4, s4, 8
	s_addc_u32 s5, s5, 0
.LBB10_734:                             ;   in Loop: Header=BB10_703 Depth=1
	s_cmp_gt_u32 s28, 7
	s_cbranch_scc1 .LBB10_738
; %bb.735:                              ;   in Loop: Header=BB10_703 Depth=1
	s_cmp_eq_u32 s28, 0
	s_cbranch_scc1 .LBB10_739
; %bb.736:                              ;   in Loop: Header=BB10_703 Depth=1
	v_mov_b32_e32 v18, 0
	s_mov_b64 s[24:25], 0
	v_mov_b32_e32 v19, 0
	s_mov_b64 s[26:27], 0
.LBB10_737:                             ;   Parent Loop BB10_703 Depth=1
                                        ; =>  This Inner Loop Header: Depth=2
	s_add_u32 vcc_lo, s4, s26
	s_addc_u32 vcc_hi, s5, s27
	global_load_ubyte v4, v28, vcc
	s_add_u32 s26, s26, 1
	s_addc_u32 s27, s27, 0
	s_waitcnt vmcnt(0)
	v_and_b32_e32 v27, 0xffff, v4
	v_lshlrev_b64 v[4:5], s24, v[27:28]
	s_add_u32 s24, s24, 8
	s_addc_u32 s25, s25, 0
	v_or_b32_e32 v18, v4, v18
	s_cmp_lg_u32 s28, s26
	v_or_b32_e32 v19, v5, v19
	s_cbranch_scc1 .LBB10_737
	s_branch .LBB10_740
.LBB10_738:                             ;   in Loop: Header=BB10_703 Depth=1
                                        ; implicit-def: $sgpr15
	s_branch .LBB10_741
.LBB10_739:                             ;   in Loop: Header=BB10_703 Depth=1
	v_mov_b32_e32 v18, 0
	v_mov_b32_e32 v19, 0
.LBB10_740:                             ;   in Loop: Header=BB10_703 Depth=1
	s_mov_b32 s15, 0
	s_cbranch_execnz .LBB10_742
.LBB10_741:                             ;   in Loop: Header=BB10_703 Depth=1
	global_load_dwordx2 v[18:19], v28, s[4:5]
	s_add_i32 s15, s28, -8
	s_add_u32 s4, s4, 8
	s_addc_u32 s5, s5, 0
.LBB10_742:                             ;   in Loop: Header=BB10_703 Depth=1
	s_cmp_gt_u32 s15, 7
	s_cbranch_scc1 .LBB10_746
; %bb.743:                              ;   in Loop: Header=BB10_703 Depth=1
	s_cmp_eq_u32 s15, 0
	s_cbranch_scc1 .LBB10_747
; %bb.744:                              ;   in Loop: Header=BB10_703 Depth=1
	v_mov_b32_e32 v20, 0
	s_mov_b64 s[24:25], 0
	v_mov_b32_e32 v21, 0
	s_mov_b64 s[26:27], 0
.LBB10_745:                             ;   Parent Loop BB10_703 Depth=1
                                        ; =>  This Inner Loop Header: Depth=2
	s_add_u32 s28, s4, s26
	s_addc_u32 s29, s5, s27
	global_load_ubyte v4, v28, s[28:29]
	s_add_u32 s26, s26, 1
	s_addc_u32 s27, s27, 0
	s_waitcnt vmcnt(0)
	v_and_b32_e32 v27, 0xffff, v4
	v_lshlrev_b64 v[4:5], s24, v[27:28]
	s_add_u32 s24, s24, 8
	s_addc_u32 s25, s25, 0
	v_or_b32_e32 v20, v4, v20
	s_cmp_lg_u32 s15, s26
	v_or_b32_e32 v21, v5, v21
	s_cbranch_scc1 .LBB10_745
	s_branch .LBB10_748
.LBB10_746:                             ;   in Loop: Header=BB10_703 Depth=1
                                        ; implicit-def: $vgpr20_vgpr21
                                        ; implicit-def: $sgpr28
	s_branch .LBB10_749
.LBB10_747:                             ;   in Loop: Header=BB10_703 Depth=1
	v_mov_b32_e32 v20, 0
	v_mov_b32_e32 v21, 0
.LBB10_748:                             ;   in Loop: Header=BB10_703 Depth=1
	s_mov_b32 s28, 0
	s_cbranch_execnz .LBB10_750
.LBB10_749:                             ;   in Loop: Header=BB10_703 Depth=1
	global_load_dwordx2 v[20:21], v28, s[4:5]
	s_add_i32 s28, s15, -8
	s_add_u32 s4, s4, 8
	s_addc_u32 s5, s5, 0
.LBB10_750:                             ;   in Loop: Header=BB10_703 Depth=1
	s_cmp_gt_u32 s28, 7
	s_cbranch_scc1 .LBB10_754
; %bb.751:                              ;   in Loop: Header=BB10_703 Depth=1
	s_cmp_eq_u32 s28, 0
	s_cbranch_scc1 .LBB10_755
; %bb.752:                              ;   in Loop: Header=BB10_703 Depth=1
	v_mov_b32_e32 v22, 0
	s_mov_b64 s[24:25], 0
	v_mov_b32_e32 v23, 0
	s_mov_b64 s[26:27], s[4:5]
.LBB10_753:                             ;   Parent Loop BB10_703 Depth=1
                                        ; =>  This Inner Loop Header: Depth=2
	global_load_ubyte v4, v28, s[26:27]
	s_add_i32 s28, s28, -1
	s_waitcnt vmcnt(0)
	v_and_b32_e32 v27, 0xffff, v4
	v_lshlrev_b64 v[4:5], s24, v[27:28]
	s_add_u32 s24, s24, 8
	s_addc_u32 s25, s25, 0
	s_add_u32 s26, s26, 1
	s_addc_u32 s27, s27, 0
	v_or_b32_e32 v22, v4, v22
	s_cmp_lg_u32 s28, 0
	v_or_b32_e32 v23, v5, v23
	s_cbranch_scc1 .LBB10_753
	s_branch .LBB10_756
.LBB10_754:                             ;   in Loop: Header=BB10_703 Depth=1
	s_branch .LBB10_757
.LBB10_755:                             ;   in Loop: Header=BB10_703 Depth=1
	v_mov_b32_e32 v22, 0
	v_mov_b32_e32 v23, 0
.LBB10_756:                             ;   in Loop: Header=BB10_703 Depth=1
	s_cbranch_execnz .LBB10_758
.LBB10_757:                             ;   in Loop: Header=BB10_703 Depth=1
	global_load_dwordx2 v[22:23], v28, s[4:5]
.LBB10_758:                             ;   in Loop: Header=BB10_703 Depth=1
	v_readfirstlane_b32 s4, v32
	s_waitcnt vmcnt(0)
	v_mov_b32_e32 v4, 0
	v_mov_b32_e32 v5, 0
	v_cmp_eq_u32_e64 s[4:5], s4, v32
	s_and_saveexec_b64 s[24:25], s[4:5]
	s_cbranch_execz .LBB10_764
; %bb.759:                              ;   in Loop: Header=BB10_703 Depth=1
	global_load_dwordx2 v[26:27], v28, s[6:7] offset:24 glc
	s_waitcnt vmcnt(0)
	buffer_wbinvl1_vol
	global_load_dwordx2 v[4:5], v28, s[6:7] offset:40
	global_load_dwordx2 v[8:9], v28, s[6:7]
	s_waitcnt vmcnt(1)
	v_and_b32_e32 v4, v4, v26
	v_and_b32_e32 v5, v5, v27
	v_mul_lo_u32 v5, v5, 24
	v_mul_hi_u32 v24, v4, 24
	v_mul_lo_u32 v4, v4, 24
	v_add_u32_e32 v5, v24, v5
	s_waitcnt vmcnt(0)
	v_add_co_u32_e32 v4, vcc, v8, v4
	v_addc_co_u32_e32 v5, vcc, v9, v5, vcc
	global_load_dwordx2 v[24:25], v[4:5], off glc
	s_waitcnt vmcnt(0)
	global_atomic_cmpswap_x2 v[4:5], v28, v[24:27], s[6:7] offset:24 glc
	s_waitcnt vmcnt(0)
	buffer_wbinvl1_vol
	v_cmp_ne_u64_e32 vcc, v[4:5], v[26:27]
	s_and_saveexec_b64 s[26:27], vcc
	s_cbranch_execz .LBB10_763
; %bb.760:                              ;   in Loop: Header=BB10_703 Depth=1
	s_mov_b64 s[28:29], 0
.LBB10_761:                             ;   Parent Loop BB10_703 Depth=1
                                        ; =>  This Inner Loop Header: Depth=2
	s_sleep 1
	global_load_dwordx2 v[8:9], v28, s[6:7] offset:40
	global_load_dwordx2 v[24:25], v28, s[6:7]
	v_mov_b32_e32 v27, v5
	v_mov_b32_e32 v26, v4
	s_waitcnt vmcnt(1)
	v_and_b32_e32 v4, v8, v26
	s_waitcnt vmcnt(0)
	v_mad_u64_u32 v[4:5], vcc, v4, 24, v[24:25]
	v_and_b32_e32 v8, v9, v27
	v_mad_u64_u32 v[8:9], vcc, v8, 24, v[5:6]
	v_mov_b32_e32 v5, v8
	global_load_dwordx2 v[24:25], v[4:5], off glc
	s_waitcnt vmcnt(0)
	global_atomic_cmpswap_x2 v[4:5], v28, v[24:27], s[6:7] offset:24 glc
	s_waitcnt vmcnt(0)
	buffer_wbinvl1_vol
	v_cmp_eq_u64_e32 vcc, v[4:5], v[26:27]
	s_or_b64 s[28:29], vcc, s[28:29]
	s_andn2_b64 exec, exec, s[28:29]
	s_cbranch_execnz .LBB10_761
; %bb.762:                              ;   in Loop: Header=BB10_703 Depth=1
	s_or_b64 exec, exec, s[28:29]
.LBB10_763:                             ;   in Loop: Header=BB10_703 Depth=1
	s_or_b64 exec, exec, s[26:27]
.LBB10_764:                             ;   in Loop: Header=BB10_703 Depth=1
	s_or_b64 exec, exec, s[24:25]
	global_load_dwordx2 v[8:9], v28, s[6:7] offset:40
	global_load_dwordx4 v[24:27], v28, s[6:7]
	v_readfirstlane_b32 s24, v4
	v_readfirstlane_b32 s25, v5
	s_mov_b64 s[26:27], exec
	s_waitcnt vmcnt(1)
	v_readfirstlane_b32 s28, v8
	v_readfirstlane_b32 s29, v9
	s_and_b64 s[28:29], s[24:25], s[28:29]
	s_mul_i32 s15, s29, 24
	s_mul_hi_u32 vcc_lo, s28, 24
	s_mul_i32 vcc_hi, s28, 24
	s_add_i32 s15, vcc_lo, s15
	v_mov_b32_e32 v4, s15
	s_waitcnt vmcnt(0)
	v_add_co_u32_e32 v29, vcc, vcc_hi, v24
	v_addc_co_u32_e32 v30, vcc, v25, v4, vcc
	s_and_saveexec_b64 vcc, s[4:5]
	s_cbranch_execz .LBB10_766
; %bb.765:                              ;   in Loop: Header=BB10_703 Depth=1
	v_mov_b32_e32 v4, s26
	v_mov_b32_e32 v5, s27
	global_store_dwordx4 v[29:30], v[4:7], off offset:8
.LBB10_766:                             ;   in Loop: Header=BB10_703 Depth=1
	s_or_b64 exec, exec, vcc
	s_lshl_b64 s[26:27], s[28:29], 12
	v_mov_b32_e32 v4, s27
	v_add_co_u32_e32 v26, vcc, s26, v26
	v_addc_co_u32_e32 v34, vcc, v27, v4, vcc
	v_cmp_gt_u64_e64 vcc, s[20:21], 56
	v_or_b32_e32 v5, v2, v33
	s_lshl_b32 s15, s22, 2
	v_cndmask_b32_e32 v2, v5, v2, vcc
	s_add_i32 s15, s15, 28
	v_or_b32_e32 v4, 0, v3
	s_and_b32 s15, s15, 0x1e0
	v_and_b32_e32 v2, 0xffffff1f, v2
	v_cndmask_b32_e32 v9, v4, v3, vcc
	v_or_b32_e32 v8, s15, v2
	v_readfirstlane_b32 s26, v26
	v_readfirstlane_b32 s27, v34
	s_nop 4
	global_store_dwordx4 v31, v[8:11], s[26:27]
	global_store_dwordx4 v31, v[12:15], s[26:27] offset:16
	global_store_dwordx4 v31, v[16:19], s[26:27] offset:32
	;; [unrolled: 1-line block ×3, first 2 shown]
	s_and_saveexec_b64 s[26:27], s[4:5]
	s_cbranch_execz .LBB10_774
; %bb.767:                              ;   in Loop: Header=BB10_703 Depth=1
	global_load_dwordx2 v[12:13], v28, s[6:7] offset:32 glc
	global_load_dwordx2 v[2:3], v28, s[6:7] offset:40
	v_mov_b32_e32 v10, s24
	v_mov_b32_e32 v11, s25
	s_waitcnt vmcnt(0)
	v_readfirstlane_b32 s28, v2
	v_readfirstlane_b32 s29, v3
	s_and_b64 s[28:29], s[28:29], s[24:25]
	s_mul_i32 s15, s29, 24
	s_mul_hi_u32 s29, s28, 24
	s_mul_i32 s28, s28, 24
	s_add_i32 s15, s29, s15
	v_mov_b32_e32 v2, s15
	v_add_co_u32_e32 v8, vcc, s28, v24
	v_addc_co_u32_e32 v9, vcc, v25, v2, vcc
	global_store_dwordx2 v[8:9], v[12:13], off
	s_waitcnt vmcnt(0)
	global_atomic_cmpswap_x2 v[4:5], v28, v[10:13], s[6:7] offset:32 glc
	s_waitcnt vmcnt(0)
	v_cmp_ne_u64_e32 vcc, v[4:5], v[12:13]
	s_and_saveexec_b64 s[28:29], vcc
	s_cbranch_execz .LBB10_770
; %bb.768:                              ;   in Loop: Header=BB10_703 Depth=1
	s_mov_b64 s[30:31], 0
.LBB10_769:                             ;   Parent Loop BB10_703 Depth=1
                                        ; =>  This Inner Loop Header: Depth=2
	s_sleep 1
	global_store_dwordx2 v[8:9], v[4:5], off
	v_mov_b32_e32 v2, s24
	v_mov_b32_e32 v3, s25
	s_waitcnt vmcnt(0)
	global_atomic_cmpswap_x2 v[2:3], v28, v[2:5], s[6:7] offset:32 glc
	s_waitcnt vmcnt(0)
	v_cmp_eq_u64_e32 vcc, v[2:3], v[4:5]
	v_mov_b32_e32 v5, v3
	s_or_b64 s[30:31], vcc, s[30:31]
	v_mov_b32_e32 v4, v2
	s_andn2_b64 exec, exec, s[30:31]
	s_cbranch_execnz .LBB10_769
.LBB10_770:                             ;   in Loop: Header=BB10_703 Depth=1
	s_or_b64 exec, exec, s[28:29]
	global_load_dwordx2 v[2:3], v28, s[6:7] offset:16
	s_mov_b64 s[30:31], exec
	v_mbcnt_lo_u32_b32 v4, s30, 0
	v_mbcnt_hi_u32_b32 v4, s31, v4
	v_cmp_eq_u32_e32 vcc, 0, v4
	s_and_saveexec_b64 s[28:29], vcc
	s_cbranch_execz .LBB10_772
; %bb.771:                              ;   in Loop: Header=BB10_703 Depth=1
	s_bcnt1_i32_b64 s15, s[30:31]
	v_mov_b32_e32 v27, s15
	s_waitcnt vmcnt(0)
	global_atomic_add_x2 v[2:3], v[27:28], off offset:8
.LBB10_772:                             ;   in Loop: Header=BB10_703 Depth=1
	s_or_b64 exec, exec, s[28:29]
	s_waitcnt vmcnt(0)
	global_load_dwordx2 v[4:5], v[2:3], off offset:16
	s_waitcnt vmcnt(0)
	v_cmp_eq_u64_e32 vcc, 0, v[4:5]
	s_cbranch_vccnz .LBB10_774
; %bb.773:                              ;   in Loop: Header=BB10_703 Depth=1
	global_load_dword v27, v[2:3], off offset:24
	s_waitcnt vmcnt(0)
	v_and_b32_e32 v2, 0xffffff, v27
	v_readfirstlane_b32 m0, v2
	global_store_dwordx2 v[4:5], v[27:28], off
	s_sendmsg sendmsg(MSG_INTERRUPT)
.LBB10_774:                             ;   in Loop: Header=BB10_703 Depth=1
	s_or_b64 exec, exec, s[26:27]
	v_add_co_u32_e32 v2, vcc, v26, v31
	v_addc_co_u32_e32 v3, vcc, 0, v34, vcc
	s_branch .LBB10_778
.LBB10_775:                             ;   in Loop: Header=BB10_778 Depth=2
	s_or_b64 exec, exec, s[26:27]
	v_readfirstlane_b32 s15, v4
	s_cmp_eq_u32 s15, 0
	s_cbranch_scc1 .LBB10_777
; %bb.776:                              ;   in Loop: Header=BB10_778 Depth=2
	s_sleep 1
	s_cbranch_execnz .LBB10_778
	s_branch .LBB10_780
.LBB10_777:                             ;   in Loop: Header=BB10_703 Depth=1
	s_branch .LBB10_780
.LBB10_778:                             ;   Parent Loop BB10_703 Depth=1
                                        ; =>  This Inner Loop Header: Depth=2
	v_mov_b32_e32 v4, 1
	s_and_saveexec_b64 s[26:27], s[4:5]
	s_cbranch_execz .LBB10_775
; %bb.779:                              ;   in Loop: Header=BB10_778 Depth=2
	global_load_dword v4, v[29:30], off offset:20 glc
	s_waitcnt vmcnt(0)
	buffer_wbinvl1_vol
	v_and_b32_e32 v4, 1, v4
	s_branch .LBB10_775
.LBB10_780:                             ;   in Loop: Header=BB10_703 Depth=1
	global_load_dwordx4 v[2:5], v[2:3], off
	s_and_saveexec_b64 s[26:27], s[4:5]
	s_cbranch_execz .LBB10_702
; %bb.781:                              ;   in Loop: Header=BB10_703 Depth=1
	global_load_dwordx2 v[4:5], v28, s[6:7] offset:40
	global_load_dwordx2 v[12:13], v28, s[6:7] offset:24 glc
	global_load_dwordx2 v[14:15], v28, s[6:7]
	v_mov_b32_e32 v9, s25
	s_waitcnt vmcnt(2)
	v_add_co_u32_e32 v10, vcc, 1, v4
	v_addc_co_u32_e32 v11, vcc, 0, v5, vcc
	v_add_co_u32_e32 v8, vcc, s24, v10
	v_addc_co_u32_e32 v9, vcc, v11, v9, vcc
	v_cmp_eq_u64_e32 vcc, 0, v[8:9]
	v_cndmask_b32_e32 v9, v9, v11, vcc
	v_cndmask_b32_e32 v8, v8, v10, vcc
	v_and_b32_e32 v5, v9, v5
	v_and_b32_e32 v4, v8, v4
	v_mul_lo_u32 v5, v5, 24
	v_mul_hi_u32 v11, v4, 24
	v_mul_lo_u32 v4, v4, 24
	s_waitcnt vmcnt(1)
	v_mov_b32_e32 v10, v12
	v_add_u32_e32 v5, v11, v5
	s_waitcnt vmcnt(0)
	v_add_co_u32_e32 v4, vcc, v14, v4
	v_addc_co_u32_e32 v5, vcc, v15, v5, vcc
	global_store_dwordx2 v[4:5], v[12:13], off
	v_mov_b32_e32 v11, v13
	s_waitcnt vmcnt(0)
	global_atomic_cmpswap_x2 v[10:11], v28, v[8:11], s[6:7] offset:24 glc
	s_waitcnt vmcnt(0)
	v_cmp_ne_u64_e32 vcc, v[10:11], v[12:13]
	s_and_b64 exec, exec, vcc
	s_cbranch_execz .LBB10_702
; %bb.782:                              ;   in Loop: Header=BB10_703 Depth=1
	s_mov_b64 s[4:5], 0
.LBB10_783:                             ;   Parent Loop BB10_703 Depth=1
                                        ; =>  This Inner Loop Header: Depth=2
	s_sleep 1
	global_store_dwordx2 v[4:5], v[10:11], off
	s_waitcnt vmcnt(0)
	global_atomic_cmpswap_x2 v[12:13], v28, v[8:11], s[6:7] offset:24 glc
	s_waitcnt vmcnt(0)
	v_cmp_eq_u64_e32 vcc, v[12:13], v[10:11]
	v_mov_b32_e32 v10, v12
	s_or_b64 s[4:5], vcc, s[4:5]
	v_mov_b32_e32 v11, v13
	s_andn2_b64 exec, exec, s[4:5]
	s_cbranch_execnz .LBB10_783
	s_branch .LBB10_702
.LBB10_784:
	s_branch .LBB10_812
.LBB10_785:
                                        ; implicit-def: $vgpr2_vgpr3
	s_cbranch_execz .LBB10_812
; %bb.786:
	v_readfirstlane_b32 s4, v32
	v_mov_b32_e32 v8, 0
	v_mov_b32_e32 v9, 0
	v_cmp_eq_u32_e64 s[4:5], s4, v32
	s_and_saveexec_b64 s[18:19], s[4:5]
	s_cbranch_execz .LBB10_792
; %bb.787:
	s_waitcnt vmcnt(0)
	v_mov_b32_e32 v2, 0
	global_load_dwordx2 v[5:6], v2, s[6:7] offset:24 glc
	s_waitcnt vmcnt(0)
	buffer_wbinvl1_vol
	global_load_dwordx2 v[3:4], v2, s[6:7] offset:40
	global_load_dwordx2 v[7:8], v2, s[6:7]
	s_waitcnt vmcnt(1)
	v_and_b32_e32 v3, v3, v5
	v_and_b32_e32 v4, v4, v6
	v_mul_lo_u32 v4, v4, 24
	v_mul_hi_u32 v9, v3, 24
	v_mul_lo_u32 v3, v3, 24
	v_add_u32_e32 v4, v9, v4
	s_waitcnt vmcnt(0)
	v_add_co_u32_e32 v3, vcc, v7, v3
	v_addc_co_u32_e32 v4, vcc, v8, v4, vcc
	global_load_dwordx2 v[3:4], v[3:4], off glc
	s_waitcnt vmcnt(0)
	global_atomic_cmpswap_x2 v[8:9], v2, v[3:6], s[6:7] offset:24 glc
	s_waitcnt vmcnt(0)
	buffer_wbinvl1_vol
	v_cmp_ne_u64_e32 vcc, v[8:9], v[5:6]
	s_and_saveexec_b64 s[20:21], vcc
	s_cbranch_execz .LBB10_791
; %bb.788:
	s_mov_b64 s[22:23], 0
.LBB10_789:                             ; =>This Inner Loop Header: Depth=1
	s_sleep 1
	global_load_dwordx2 v[3:4], v2, s[6:7] offset:40
	global_load_dwordx2 v[10:11], v2, s[6:7]
	v_mov_b32_e32 v5, v8
	v_mov_b32_e32 v6, v9
	s_waitcnt vmcnt(1)
	v_and_b32_e32 v3, v3, v5
	s_waitcnt vmcnt(0)
	v_mad_u64_u32 v[7:8], s[24:25], v3, 24, v[10:11]
	v_and_b32_e32 v4, v4, v6
	v_mov_b32_e32 v3, v8
	v_mad_u64_u32 v[3:4], s[24:25], v4, 24, v[3:4]
	v_mov_b32_e32 v8, v3
	global_load_dwordx2 v[3:4], v[7:8], off glc
	s_waitcnt vmcnt(0)
	global_atomic_cmpswap_x2 v[8:9], v2, v[3:6], s[6:7] offset:24 glc
	s_waitcnt vmcnt(0)
	buffer_wbinvl1_vol
	v_cmp_eq_u64_e32 vcc, v[8:9], v[5:6]
	s_or_b64 s[22:23], vcc, s[22:23]
	s_andn2_b64 exec, exec, s[22:23]
	s_cbranch_execnz .LBB10_789
; %bb.790:
	s_or_b64 exec, exec, s[22:23]
.LBB10_791:
	s_or_b64 exec, exec, s[20:21]
.LBB10_792:
	s_or_b64 exec, exec, s[18:19]
	s_waitcnt vmcnt(0)
	v_mov_b32_e32 v2, 0
	global_load_dwordx2 v[10:11], v2, s[6:7] offset:40
	global_load_dwordx4 v[4:7], v2, s[6:7]
	v_readfirstlane_b32 s18, v8
	v_readfirstlane_b32 s19, v9
	s_mov_b64 s[20:21], exec
	s_waitcnt vmcnt(1)
	v_readfirstlane_b32 s22, v10
	v_readfirstlane_b32 s23, v11
	s_and_b64 s[22:23], s[18:19], s[22:23]
	s_mul_i32 s15, s23, 24
	s_mul_hi_u32 s24, s22, 24
	s_mul_i32 s25, s22, 24
	s_add_i32 s15, s24, s15
	v_mov_b32_e32 v3, s15
	s_waitcnt vmcnt(0)
	v_add_co_u32_e32 v8, vcc, s25, v4
	v_addc_co_u32_e32 v9, vcc, v5, v3, vcc
	s_and_saveexec_b64 s[24:25], s[4:5]
	s_cbranch_execz .LBB10_794
; %bb.793:
	v_mov_b32_e32 v10, s20
	v_mov_b32_e32 v11, s21
	;; [unrolled: 1-line block ×4, first 2 shown]
	global_store_dwordx4 v[8:9], v[10:13], off offset:8
.LBB10_794:
	s_or_b64 exec, exec, s[24:25]
	s_lshl_b64 s[20:21], s[22:23], 12
	v_mov_b32_e32 v3, s21
	v_add_co_u32_e32 v10, vcc, s20, v6
	v_addc_co_u32_e32 v11, vcc, v7, v3, vcc
	s_movk_i32 s15, 0xff1f
	v_and_or_b32 v0, v0, s15, 32
	s_mov_b32 s20, 0
	v_mov_b32_e32 v3, v2
	v_readfirstlane_b32 s24, v10
	v_readfirstlane_b32 s25, v11
	v_add_co_u32_e32 v6, vcc, v10, v31
	s_mov_b32 s21, s20
	s_mov_b32 s22, s20
	;; [unrolled: 1-line block ×3, first 2 shown]
	s_nop 0
	global_store_dwordx4 v31, v[0:3], s[24:25]
	v_addc_co_u32_e32 v7, vcc, 0, v11, vcc
	v_mov_b32_e32 v0, s20
	v_mov_b32_e32 v1, s21
	;; [unrolled: 1-line block ×4, first 2 shown]
	global_store_dwordx4 v31, v[0:3], s[24:25] offset:16
	global_store_dwordx4 v31, v[0:3], s[24:25] offset:32
	;; [unrolled: 1-line block ×3, first 2 shown]
	s_and_saveexec_b64 s[20:21], s[4:5]
	s_cbranch_execz .LBB10_802
; %bb.795:
	v_mov_b32_e32 v10, 0
	global_load_dwordx2 v[13:14], v10, s[6:7] offset:32 glc
	global_load_dwordx2 v[0:1], v10, s[6:7] offset:40
	v_mov_b32_e32 v11, s18
	v_mov_b32_e32 v12, s19
	s_waitcnt vmcnt(0)
	v_readfirstlane_b32 s22, v0
	v_readfirstlane_b32 s23, v1
	s_and_b64 s[22:23], s[22:23], s[18:19]
	s_mul_i32 s15, s23, 24
	s_mul_hi_u32 s23, s22, 24
	s_mul_i32 s22, s22, 24
	s_add_i32 s15, s23, s15
	v_mov_b32_e32 v0, s15
	v_add_co_u32_e32 v4, vcc, s22, v4
	v_addc_co_u32_e32 v5, vcc, v5, v0, vcc
	global_store_dwordx2 v[4:5], v[13:14], off
	s_waitcnt vmcnt(0)
	global_atomic_cmpswap_x2 v[2:3], v10, v[11:14], s[6:7] offset:32 glc
	s_waitcnt vmcnt(0)
	v_cmp_ne_u64_e32 vcc, v[2:3], v[13:14]
	s_and_saveexec_b64 s[22:23], vcc
	s_cbranch_execz .LBB10_798
; %bb.796:
	s_mov_b64 s[24:25], 0
.LBB10_797:                             ; =>This Inner Loop Header: Depth=1
	s_sleep 1
	global_store_dwordx2 v[4:5], v[2:3], off
	v_mov_b32_e32 v0, s18
	v_mov_b32_e32 v1, s19
	s_waitcnt vmcnt(0)
	global_atomic_cmpswap_x2 v[0:1], v10, v[0:3], s[6:7] offset:32 glc
	s_waitcnt vmcnt(0)
	v_cmp_eq_u64_e32 vcc, v[0:1], v[2:3]
	v_mov_b32_e32 v3, v1
	s_or_b64 s[24:25], vcc, s[24:25]
	v_mov_b32_e32 v2, v0
	s_andn2_b64 exec, exec, s[24:25]
	s_cbranch_execnz .LBB10_797
.LBB10_798:
	s_or_b64 exec, exec, s[22:23]
	v_mov_b32_e32 v3, 0
	global_load_dwordx2 v[0:1], v3, s[6:7] offset:16
	s_mov_b64 s[22:23], exec
	v_mbcnt_lo_u32_b32 v2, s22, 0
	v_mbcnt_hi_u32_b32 v2, s23, v2
	v_cmp_eq_u32_e32 vcc, 0, v2
	s_and_saveexec_b64 s[24:25], vcc
	s_cbranch_execz .LBB10_800
; %bb.799:
	s_bcnt1_i32_b64 s15, s[22:23]
	v_mov_b32_e32 v2, s15
	s_waitcnt vmcnt(0)
	global_atomic_add_x2 v[0:1], v[2:3], off offset:8
.LBB10_800:
	s_or_b64 exec, exec, s[24:25]
	s_waitcnt vmcnt(0)
	global_load_dwordx2 v[2:3], v[0:1], off offset:16
	s_waitcnt vmcnt(0)
	v_cmp_eq_u64_e32 vcc, 0, v[2:3]
	s_cbranch_vccnz .LBB10_802
; %bb.801:
	global_load_dword v0, v[0:1], off offset:24
	v_mov_b32_e32 v1, 0
	s_waitcnt vmcnt(0)
	global_store_dwordx2 v[2:3], v[0:1], off
	v_and_b32_e32 v0, 0xffffff, v0
	v_readfirstlane_b32 m0, v0
	s_sendmsg sendmsg(MSG_INTERRUPT)
.LBB10_802:
	s_or_b64 exec, exec, s[20:21]
	s_branch .LBB10_806
.LBB10_803:                             ;   in Loop: Header=BB10_806 Depth=1
	s_or_b64 exec, exec, s[20:21]
	v_readfirstlane_b32 s15, v0
	s_cmp_eq_u32 s15, 0
	s_cbranch_scc1 .LBB10_805
; %bb.804:                              ;   in Loop: Header=BB10_806 Depth=1
	s_sleep 1
	s_cbranch_execnz .LBB10_806
	s_branch .LBB10_808
.LBB10_805:
	s_branch .LBB10_808
.LBB10_806:                             ; =>This Inner Loop Header: Depth=1
	v_mov_b32_e32 v0, 1
	s_and_saveexec_b64 s[20:21], s[4:5]
	s_cbranch_execz .LBB10_803
; %bb.807:                              ;   in Loop: Header=BB10_806 Depth=1
	global_load_dword v0, v[8:9], off offset:20 glc
	s_waitcnt vmcnt(0)
	buffer_wbinvl1_vol
	v_and_b32_e32 v0, 1, v0
	s_branch .LBB10_803
.LBB10_808:
	global_load_dwordx2 v[2:3], v[6:7], off
	s_and_saveexec_b64 s[20:21], s[4:5]
	s_cbranch_execz .LBB10_811
; %bb.809:
	v_mov_b32_e32 v8, 0
	global_load_dwordx2 v[0:1], v8, s[6:7] offset:40
	global_load_dwordx2 v[9:10], v8, s[6:7] offset:24 glc
	global_load_dwordx2 v[11:12], v8, s[6:7]
	v_mov_b32_e32 v5, s19
	s_mov_b64 s[4:5], 0
	s_waitcnt vmcnt(2)
	v_add_co_u32_e32 v6, vcc, 1, v0
	v_addc_co_u32_e32 v7, vcc, 0, v1, vcc
	v_add_co_u32_e32 v4, vcc, s18, v6
	v_addc_co_u32_e32 v5, vcc, v7, v5, vcc
	v_cmp_eq_u64_e32 vcc, 0, v[4:5]
	v_cndmask_b32_e32 v5, v5, v7, vcc
	v_cndmask_b32_e32 v4, v4, v6, vcc
	v_and_b32_e32 v1, v5, v1
	v_and_b32_e32 v0, v4, v0
	v_mul_lo_u32 v1, v1, 24
	v_mul_hi_u32 v7, v0, 24
	v_mul_lo_u32 v0, v0, 24
	s_waitcnt vmcnt(1)
	v_mov_b32_e32 v6, v9
	v_add_u32_e32 v1, v7, v1
	s_waitcnt vmcnt(0)
	v_add_co_u32_e32 v0, vcc, v11, v0
	v_addc_co_u32_e32 v1, vcc, v12, v1, vcc
	global_store_dwordx2 v[0:1], v[9:10], off
	v_mov_b32_e32 v7, v10
	s_waitcnt vmcnt(0)
	global_atomic_cmpswap_x2 v[6:7], v8, v[4:7], s[6:7] offset:24 glc
	s_waitcnt vmcnt(0)
	v_cmp_ne_u64_e32 vcc, v[6:7], v[9:10]
	s_and_b64 exec, exec, vcc
	s_cbranch_execz .LBB10_811
.LBB10_810:                             ; =>This Inner Loop Header: Depth=1
	s_sleep 1
	global_store_dwordx2 v[0:1], v[6:7], off
	s_waitcnt vmcnt(0)
	global_atomic_cmpswap_x2 v[9:10], v8, v[4:7], s[6:7] offset:24 glc
	s_waitcnt vmcnt(0)
	v_cmp_eq_u64_e32 vcc, v[9:10], v[6:7]
	v_mov_b32_e32 v6, v9
	s_or_b64 s[4:5], vcc, s[4:5]
	v_mov_b32_e32 v7, v10
	s_andn2_b64 exec, exec, s[4:5]
	s_cbranch_execnz .LBB10_810
.LBB10_811:
	s_or_b64 exec, exec, s[20:21]
.LBB10_812:
	v_readfirstlane_b32 s4, v32
	s_waitcnt vmcnt(0)
	v_mov_b32_e32 v0, 0
	v_mov_b32_e32 v1, 0
	v_cmp_eq_u32_e64 s[4:5], s4, v32
	s_and_saveexec_b64 s[18:19], s[4:5]
	s_cbranch_execz .LBB10_818
; %bb.813:
	v_mov_b32_e32 v4, 0
	global_load_dwordx2 v[7:8], v4, s[6:7] offset:24 glc
	s_waitcnt vmcnt(0)
	buffer_wbinvl1_vol
	global_load_dwordx2 v[0:1], v4, s[6:7] offset:40
	global_load_dwordx2 v[5:6], v4, s[6:7]
	s_waitcnt vmcnt(1)
	v_and_b32_e32 v0, v0, v7
	v_and_b32_e32 v1, v1, v8
	v_mul_lo_u32 v1, v1, 24
	v_mul_hi_u32 v9, v0, 24
	v_mul_lo_u32 v0, v0, 24
	v_add_u32_e32 v1, v9, v1
	s_waitcnt vmcnt(0)
	v_add_co_u32_e32 v0, vcc, v5, v0
	v_addc_co_u32_e32 v1, vcc, v6, v1, vcc
	global_load_dwordx2 v[5:6], v[0:1], off glc
	s_waitcnt vmcnt(0)
	global_atomic_cmpswap_x2 v[0:1], v4, v[5:8], s[6:7] offset:24 glc
	s_waitcnt vmcnt(0)
	buffer_wbinvl1_vol
	v_cmp_ne_u64_e32 vcc, v[0:1], v[7:8]
	s_and_saveexec_b64 s[20:21], vcc
	s_cbranch_execz .LBB10_817
; %bb.814:
	s_mov_b64 s[22:23], 0
.LBB10_815:                             ; =>This Inner Loop Header: Depth=1
	s_sleep 1
	global_load_dwordx2 v[5:6], v4, s[6:7] offset:40
	global_load_dwordx2 v[9:10], v4, s[6:7]
	v_mov_b32_e32 v8, v1
	v_mov_b32_e32 v7, v0
	s_waitcnt vmcnt(1)
	v_and_b32_e32 v0, v5, v7
	s_waitcnt vmcnt(0)
	v_mad_u64_u32 v[0:1], s[24:25], v0, 24, v[9:10]
	v_and_b32_e32 v5, v6, v8
	v_mad_u64_u32 v[5:6], s[24:25], v5, 24, v[1:2]
	v_mov_b32_e32 v1, v5
	global_load_dwordx2 v[5:6], v[0:1], off glc
	s_waitcnt vmcnt(0)
	global_atomic_cmpswap_x2 v[0:1], v4, v[5:8], s[6:7] offset:24 glc
	s_waitcnt vmcnt(0)
	buffer_wbinvl1_vol
	v_cmp_eq_u64_e32 vcc, v[0:1], v[7:8]
	s_or_b64 s[22:23], vcc, s[22:23]
	s_andn2_b64 exec, exec, s[22:23]
	s_cbranch_execnz .LBB10_815
; %bb.816:
	s_or_b64 exec, exec, s[22:23]
.LBB10_817:
	s_or_b64 exec, exec, s[20:21]
.LBB10_818:
	s_or_b64 exec, exec, s[18:19]
	v_mov_b32_e32 v5, 0
	global_load_dwordx2 v[10:11], v5, s[6:7] offset:40
	global_load_dwordx4 v[6:9], v5, s[6:7]
	v_readfirstlane_b32 s18, v0
	v_readfirstlane_b32 s19, v1
	s_mov_b64 s[20:21], exec
	s_waitcnt vmcnt(1)
	v_readfirstlane_b32 s22, v10
	v_readfirstlane_b32 s23, v11
	s_and_b64 s[22:23], s[18:19], s[22:23]
	s_mul_i32 s15, s23, 24
	s_mul_hi_u32 s24, s22, 24
	s_mul_i32 s25, s22, 24
	s_add_i32 s15, s24, s15
	v_mov_b32_e32 v0, s15
	s_waitcnt vmcnt(0)
	v_add_co_u32_e32 v10, vcc, s25, v6
	v_addc_co_u32_e32 v11, vcc, v7, v0, vcc
	s_and_saveexec_b64 s[24:25], s[4:5]
	s_cbranch_execz .LBB10_820
; %bb.819:
	v_mov_b32_e32 v12, s20
	v_mov_b32_e32 v13, s21
	;; [unrolled: 1-line block ×4, first 2 shown]
	global_store_dwordx4 v[10:11], v[12:15], off offset:8
.LBB10_820:
	s_or_b64 exec, exec, s[24:25]
	s_lshl_b64 s[20:21], s[22:23], 12
	v_mov_b32_e32 v0, s21
	v_add_co_u32_e32 v1, vcc, s20, v8
	v_addc_co_u32_e32 v0, vcc, v9, v0, vcc
	s_movk_i32 s15, 0xff1d
	v_and_or_b32 v2, v2, s15, 34
	s_mov_b32 s20, 0
	v_mov_b32_e32 v4, 58
	v_readfirstlane_b32 s24, v1
	v_readfirstlane_b32 s25, v0
	s_mov_b32 s21, s20
	s_mov_b32 s22, s20
	;; [unrolled: 1-line block ×3, first 2 shown]
	s_nop 1
	global_store_dwordx4 v31, v[2:5], s[24:25]
	v_mov_b32_e32 v0, s20
	v_mov_b32_e32 v1, s21
	;; [unrolled: 1-line block ×4, first 2 shown]
	global_store_dwordx4 v31, v[0:3], s[24:25] offset:16
	global_store_dwordx4 v31, v[0:3], s[24:25] offset:32
	;; [unrolled: 1-line block ×3, first 2 shown]
	s_and_saveexec_b64 s[20:21], s[4:5]
	s_cbranch_execz .LBB10_828
; %bb.821:
	v_mov_b32_e32 v8, 0
	global_load_dwordx2 v[14:15], v8, s[6:7] offset:32 glc
	global_load_dwordx2 v[0:1], v8, s[6:7] offset:40
	v_mov_b32_e32 v12, s18
	v_mov_b32_e32 v13, s19
	s_waitcnt vmcnt(0)
	v_readfirstlane_b32 s22, v0
	v_readfirstlane_b32 s23, v1
	s_and_b64 s[22:23], s[22:23], s[18:19]
	s_mul_i32 s15, s23, 24
	s_mul_hi_u32 s23, s22, 24
	s_mul_i32 s22, s22, 24
	s_add_i32 s15, s23, s15
	v_mov_b32_e32 v0, s15
	v_add_co_u32_e32 v4, vcc, s22, v6
	v_addc_co_u32_e32 v5, vcc, v7, v0, vcc
	global_store_dwordx2 v[4:5], v[14:15], off
	s_waitcnt vmcnt(0)
	global_atomic_cmpswap_x2 v[2:3], v8, v[12:15], s[6:7] offset:32 glc
	s_waitcnt vmcnt(0)
	v_cmp_ne_u64_e32 vcc, v[2:3], v[14:15]
	s_and_saveexec_b64 s[22:23], vcc
	s_cbranch_execz .LBB10_824
; %bb.822:
	s_mov_b64 s[24:25], 0
.LBB10_823:                             ; =>This Inner Loop Header: Depth=1
	s_sleep 1
	global_store_dwordx2 v[4:5], v[2:3], off
	v_mov_b32_e32 v0, s18
	v_mov_b32_e32 v1, s19
	s_waitcnt vmcnt(0)
	global_atomic_cmpswap_x2 v[0:1], v8, v[0:3], s[6:7] offset:32 glc
	s_waitcnt vmcnt(0)
	v_cmp_eq_u64_e32 vcc, v[0:1], v[2:3]
	v_mov_b32_e32 v3, v1
	s_or_b64 s[24:25], vcc, s[24:25]
	v_mov_b32_e32 v2, v0
	s_andn2_b64 exec, exec, s[24:25]
	s_cbranch_execnz .LBB10_823
.LBB10_824:
	s_or_b64 exec, exec, s[22:23]
	v_mov_b32_e32 v3, 0
	global_load_dwordx2 v[0:1], v3, s[6:7] offset:16
	s_mov_b64 s[22:23], exec
	v_mbcnt_lo_u32_b32 v2, s22, 0
	v_mbcnt_hi_u32_b32 v2, s23, v2
	v_cmp_eq_u32_e32 vcc, 0, v2
	s_and_saveexec_b64 s[24:25], vcc
	s_cbranch_execz .LBB10_826
; %bb.825:
	s_bcnt1_i32_b64 s15, s[22:23]
	v_mov_b32_e32 v2, s15
	s_waitcnt vmcnt(0)
	global_atomic_add_x2 v[0:1], v[2:3], off offset:8
.LBB10_826:
	s_or_b64 exec, exec, s[24:25]
	s_waitcnt vmcnt(0)
	global_load_dwordx2 v[2:3], v[0:1], off offset:16
	s_waitcnt vmcnt(0)
	v_cmp_eq_u64_e32 vcc, 0, v[2:3]
	s_cbranch_vccnz .LBB10_828
; %bb.827:
	global_load_dword v0, v[0:1], off offset:24
	v_mov_b32_e32 v1, 0
	s_waitcnt vmcnt(0)
	global_store_dwordx2 v[2:3], v[0:1], off
	v_and_b32_e32 v0, 0xffffff, v0
	v_readfirstlane_b32 m0, v0
	s_sendmsg sendmsg(MSG_INTERRUPT)
.LBB10_828:
	s_or_b64 exec, exec, s[20:21]
	s_branch .LBB10_832
.LBB10_829:                             ;   in Loop: Header=BB10_832 Depth=1
	s_or_b64 exec, exec, s[20:21]
	v_readfirstlane_b32 s15, v0
	s_cmp_eq_u32 s15, 0
	s_cbranch_scc1 .LBB10_831
; %bb.830:                              ;   in Loop: Header=BB10_832 Depth=1
	s_sleep 1
	s_cbranch_execnz .LBB10_832
	s_branch .LBB10_834
.LBB10_831:
	s_branch .LBB10_834
.LBB10_832:                             ; =>This Inner Loop Header: Depth=1
	v_mov_b32_e32 v0, 1
	s_and_saveexec_b64 s[20:21], s[4:5]
	s_cbranch_execz .LBB10_829
; %bb.833:                              ;   in Loop: Header=BB10_832 Depth=1
	global_load_dword v0, v[10:11], off offset:20 glc
	s_waitcnt vmcnt(0)
	buffer_wbinvl1_vol
	v_and_b32_e32 v0, 1, v0
	s_branch .LBB10_829
.LBB10_834:
	s_and_saveexec_b64 s[20:21], s[4:5]
	s_cbranch_execz .LBB10_837
; %bb.835:
	v_mov_b32_e32 v6, 0
	global_load_dwordx2 v[2:3], v6, s[6:7] offset:40
	global_load_dwordx2 v[7:8], v6, s[6:7] offset:24 glc
	global_load_dwordx2 v[4:5], v6, s[6:7]
	v_mov_b32_e32 v1, s19
	s_mov_b64 s[4:5], 0
	s_waitcnt vmcnt(2)
	v_add_co_u32_e32 v9, vcc, 1, v2
	v_addc_co_u32_e32 v10, vcc, 0, v3, vcc
	v_add_co_u32_e32 v0, vcc, s18, v9
	v_addc_co_u32_e32 v1, vcc, v10, v1, vcc
	v_cmp_eq_u64_e32 vcc, 0, v[0:1]
	v_cndmask_b32_e32 v1, v1, v10, vcc
	v_cndmask_b32_e32 v0, v0, v9, vcc
	v_and_b32_e32 v3, v1, v3
	v_and_b32_e32 v2, v0, v2
	v_mul_lo_u32 v3, v3, 24
	v_mul_hi_u32 v9, v2, 24
	v_mul_lo_u32 v10, v2, 24
	s_waitcnt vmcnt(1)
	v_mov_b32_e32 v2, v7
	v_add_u32_e32 v3, v9, v3
	s_waitcnt vmcnt(0)
	v_add_co_u32_e32 v4, vcc, v4, v10
	v_addc_co_u32_e32 v5, vcc, v5, v3, vcc
	global_store_dwordx2 v[4:5], v[7:8], off
	v_mov_b32_e32 v3, v8
	s_waitcnt vmcnt(0)
	global_atomic_cmpswap_x2 v[2:3], v6, v[0:3], s[6:7] offset:24 glc
	s_waitcnt vmcnt(0)
	v_cmp_ne_u64_e32 vcc, v[2:3], v[7:8]
	s_and_b64 exec, exec, vcc
	s_cbranch_execz .LBB10_837
.LBB10_836:                             ; =>This Inner Loop Header: Depth=1
	s_sleep 1
	global_store_dwordx2 v[4:5], v[2:3], off
	s_waitcnt vmcnt(0)
	global_atomic_cmpswap_x2 v[7:8], v6, v[0:3], s[6:7] offset:24 glc
	s_waitcnt vmcnt(0)
	v_cmp_eq_u64_e32 vcc, v[7:8], v[2:3]
	v_mov_b32_e32 v2, v7
	s_or_b64 s[4:5], vcc, s[4:5]
	v_mov_b32_e32 v3, v8
	s_andn2_b64 exec, exec, s[4:5]
	s_cbranch_execnz .LBB10_836
.LBB10_837:
	s_or_b64 exec, exec, s[20:21]
	v_readfirstlane_b32 s4, v32
	v_mov_b32_e32 v5, 0
	v_mov_b32_e32 v6, 0
	v_cmp_eq_u32_e64 s[4:5], s4, v32
	s_and_saveexec_b64 s[18:19], s[4:5]
	s_cbranch_execz .LBB10_843
; %bb.838:
	v_mov_b32_e32 v0, 0
	global_load_dwordx2 v[3:4], v0, s[6:7] offset:24 glc
	s_waitcnt vmcnt(0)
	buffer_wbinvl1_vol
	global_load_dwordx2 v[1:2], v0, s[6:7] offset:40
	global_load_dwordx2 v[5:6], v0, s[6:7]
	s_waitcnt vmcnt(1)
	v_and_b32_e32 v1, v1, v3
	v_and_b32_e32 v2, v2, v4
	v_mul_lo_u32 v2, v2, 24
	v_mul_hi_u32 v7, v1, 24
	v_mul_lo_u32 v1, v1, 24
	v_add_u32_e32 v2, v7, v2
	s_waitcnt vmcnt(0)
	v_add_co_u32_e32 v1, vcc, v5, v1
	v_addc_co_u32_e32 v2, vcc, v6, v2, vcc
	global_load_dwordx2 v[1:2], v[1:2], off glc
	s_waitcnt vmcnt(0)
	global_atomic_cmpswap_x2 v[5:6], v0, v[1:4], s[6:7] offset:24 glc
	s_waitcnt vmcnt(0)
	buffer_wbinvl1_vol
	v_cmp_ne_u64_e32 vcc, v[5:6], v[3:4]
	s_and_saveexec_b64 s[20:21], vcc
	s_cbranch_execz .LBB10_842
; %bb.839:
	s_mov_b64 s[22:23], 0
.LBB10_840:                             ; =>This Inner Loop Header: Depth=1
	s_sleep 1
	global_load_dwordx2 v[1:2], v0, s[6:7] offset:40
	global_load_dwordx2 v[7:8], v0, s[6:7]
	v_mov_b32_e32 v3, v5
	v_mov_b32_e32 v4, v6
	s_waitcnt vmcnt(1)
	v_and_b32_e32 v1, v1, v3
	s_waitcnt vmcnt(0)
	v_mad_u64_u32 v[5:6], s[24:25], v1, 24, v[7:8]
	v_and_b32_e32 v2, v2, v4
	v_mov_b32_e32 v1, v6
	v_mad_u64_u32 v[1:2], s[24:25], v2, 24, v[1:2]
	v_mov_b32_e32 v6, v1
	global_load_dwordx2 v[1:2], v[5:6], off glc
	s_waitcnt vmcnt(0)
	global_atomic_cmpswap_x2 v[5:6], v0, v[1:4], s[6:7] offset:24 glc
	s_waitcnt vmcnt(0)
	buffer_wbinvl1_vol
	v_cmp_eq_u64_e32 vcc, v[5:6], v[3:4]
	s_or_b64 s[22:23], vcc, s[22:23]
	s_andn2_b64 exec, exec, s[22:23]
	s_cbranch_execnz .LBB10_840
; %bb.841:
	s_or_b64 exec, exec, s[22:23]
.LBB10_842:
	s_or_b64 exec, exec, s[20:21]
.LBB10_843:
	s_or_b64 exec, exec, s[18:19]
	v_mov_b32_e32 v4, 0
	global_load_dwordx2 v[7:8], v4, s[6:7] offset:40
	global_load_dwordx4 v[0:3], v4, s[6:7]
	v_readfirstlane_b32 s18, v5
	v_readfirstlane_b32 s19, v6
	s_mov_b64 s[20:21], exec
	s_waitcnt vmcnt(1)
	v_readfirstlane_b32 s22, v7
	v_readfirstlane_b32 s23, v8
	s_and_b64 s[22:23], s[18:19], s[22:23]
	s_mul_i32 s15, s23, 24
	s_mul_hi_u32 s24, s22, 24
	s_mul_i32 s25, s22, 24
	s_add_i32 s15, s24, s15
	v_mov_b32_e32 v5, s15
	s_waitcnt vmcnt(0)
	v_add_co_u32_e32 v7, vcc, s25, v0
	v_addc_co_u32_e32 v8, vcc, v1, v5, vcc
	s_and_saveexec_b64 s[24:25], s[4:5]
	s_cbranch_execz .LBB10_845
; %bb.844:
	v_mov_b32_e32 v9, s20
	v_mov_b32_e32 v10, s21
	;; [unrolled: 1-line block ×4, first 2 shown]
	global_store_dwordx4 v[7:8], v[9:12], off offset:8
.LBB10_845:
	s_or_b64 exec, exec, s[24:25]
	s_lshl_b64 s[20:21], s[22:23], 12
	v_mov_b32_e32 v5, s21
	v_add_co_u32_e32 v2, vcc, s20, v2
	v_addc_co_u32_e32 v11, vcc, v3, v5, vcc
	s_mov_b32 s20, 0
	v_mov_b32_e32 v3, 33
	v_mov_b32_e32 v5, v4
	;; [unrolled: 1-line block ×3, first 2 shown]
	v_readfirstlane_b32 s24, v2
	v_readfirstlane_b32 s25, v11
	v_add_co_u32_e32 v9, vcc, v2, v31
	s_mov_b32 s21, s20
	s_mov_b32 s22, s20
	;; [unrolled: 1-line block ×3, first 2 shown]
	s_nop 0
	global_store_dwordx4 v31, v[3:6], s[24:25]
	v_mov_b32_e32 v2, s20
	v_addc_co_u32_e32 v10, vcc, 0, v11, vcc
	v_mov_b32_e32 v3, s21
	v_mov_b32_e32 v4, s22
	;; [unrolled: 1-line block ×3, first 2 shown]
	global_store_dwordx4 v31, v[2:5], s[24:25] offset:16
	global_store_dwordx4 v31, v[2:5], s[24:25] offset:32
	;; [unrolled: 1-line block ×3, first 2 shown]
	s_and_saveexec_b64 s[20:21], s[4:5]
	s_cbranch_execz .LBB10_853
; %bb.846:
	v_mov_b32_e32 v6, 0
	global_load_dwordx2 v[13:14], v6, s[6:7] offset:32 glc
	global_load_dwordx2 v[2:3], v6, s[6:7] offset:40
	v_mov_b32_e32 v11, s18
	v_mov_b32_e32 v12, s19
	s_waitcnt vmcnt(0)
	v_readfirstlane_b32 s22, v2
	v_readfirstlane_b32 s23, v3
	s_and_b64 s[22:23], s[22:23], s[18:19]
	s_mul_i32 s15, s23, 24
	s_mul_hi_u32 s23, s22, 24
	s_mul_i32 s22, s22, 24
	s_add_i32 s15, s23, s15
	v_mov_b32_e32 v2, s15
	v_add_co_u32_e32 v4, vcc, s22, v0
	v_addc_co_u32_e32 v5, vcc, v1, v2, vcc
	global_store_dwordx2 v[4:5], v[13:14], off
	s_waitcnt vmcnt(0)
	global_atomic_cmpswap_x2 v[2:3], v6, v[11:14], s[6:7] offset:32 glc
	s_waitcnt vmcnt(0)
	v_cmp_ne_u64_e32 vcc, v[2:3], v[13:14]
	s_and_saveexec_b64 s[22:23], vcc
	s_cbranch_execz .LBB10_849
; %bb.847:
	s_mov_b64 s[24:25], 0
.LBB10_848:                             ; =>This Inner Loop Header: Depth=1
	s_sleep 1
	global_store_dwordx2 v[4:5], v[2:3], off
	v_mov_b32_e32 v0, s18
	v_mov_b32_e32 v1, s19
	s_waitcnt vmcnt(0)
	global_atomic_cmpswap_x2 v[0:1], v6, v[0:3], s[6:7] offset:32 glc
	s_waitcnt vmcnt(0)
	v_cmp_eq_u64_e32 vcc, v[0:1], v[2:3]
	v_mov_b32_e32 v3, v1
	s_or_b64 s[24:25], vcc, s[24:25]
	v_mov_b32_e32 v2, v0
	s_andn2_b64 exec, exec, s[24:25]
	s_cbranch_execnz .LBB10_848
.LBB10_849:
	s_or_b64 exec, exec, s[22:23]
	v_mov_b32_e32 v3, 0
	global_load_dwordx2 v[0:1], v3, s[6:7] offset:16
	s_mov_b64 s[22:23], exec
	v_mbcnt_lo_u32_b32 v2, s22, 0
	v_mbcnt_hi_u32_b32 v2, s23, v2
	v_cmp_eq_u32_e32 vcc, 0, v2
	s_and_saveexec_b64 s[24:25], vcc
	s_cbranch_execz .LBB10_851
; %bb.850:
	s_bcnt1_i32_b64 s15, s[22:23]
	v_mov_b32_e32 v2, s15
	s_waitcnt vmcnt(0)
	global_atomic_add_x2 v[0:1], v[2:3], off offset:8
.LBB10_851:
	s_or_b64 exec, exec, s[24:25]
	s_waitcnt vmcnt(0)
	global_load_dwordx2 v[2:3], v[0:1], off offset:16
	s_waitcnt vmcnt(0)
	v_cmp_eq_u64_e32 vcc, 0, v[2:3]
	s_cbranch_vccnz .LBB10_853
; %bb.852:
	global_load_dword v0, v[0:1], off offset:24
	v_mov_b32_e32 v1, 0
	s_waitcnt vmcnt(0)
	global_store_dwordx2 v[2:3], v[0:1], off
	v_and_b32_e32 v0, 0xffffff, v0
	v_readfirstlane_b32 m0, v0
	s_sendmsg sendmsg(MSG_INTERRUPT)
.LBB10_853:
	s_or_b64 exec, exec, s[20:21]
	s_branch .LBB10_857
.LBB10_854:                             ;   in Loop: Header=BB10_857 Depth=1
	s_or_b64 exec, exec, s[20:21]
	v_readfirstlane_b32 s15, v0
	s_cmp_eq_u32 s15, 0
	s_cbranch_scc1 .LBB10_856
; %bb.855:                              ;   in Loop: Header=BB10_857 Depth=1
	s_sleep 1
	s_cbranch_execnz .LBB10_857
	s_branch .LBB10_859
.LBB10_856:
	s_branch .LBB10_859
.LBB10_857:                             ; =>This Inner Loop Header: Depth=1
	v_mov_b32_e32 v0, 1
	s_and_saveexec_b64 s[20:21], s[4:5]
	s_cbranch_execz .LBB10_854
; %bb.858:                              ;   in Loop: Header=BB10_857 Depth=1
	global_load_dword v0, v[7:8], off offset:20 glc
	s_waitcnt vmcnt(0)
	buffer_wbinvl1_vol
	v_and_b32_e32 v0, 1, v0
	s_branch .LBB10_854
.LBB10_859:
	global_load_dwordx2 v[0:1], v[9:10], off
	s_and_saveexec_b64 s[20:21], s[4:5]
	s_cbranch_execz .LBB10_862
; %bb.860:
	v_mov_b32_e32 v8, 0
	global_load_dwordx2 v[4:5], v8, s[6:7] offset:40
	global_load_dwordx2 v[9:10], v8, s[6:7] offset:24 glc
	global_load_dwordx2 v[6:7], v8, s[6:7]
	v_mov_b32_e32 v3, s19
	s_mov_b64 s[4:5], 0
	s_waitcnt vmcnt(2)
	v_add_co_u32_e32 v11, vcc, 1, v4
	v_addc_co_u32_e32 v12, vcc, 0, v5, vcc
	v_add_co_u32_e32 v2, vcc, s18, v11
	v_addc_co_u32_e32 v3, vcc, v12, v3, vcc
	v_cmp_eq_u64_e32 vcc, 0, v[2:3]
	v_cndmask_b32_e32 v3, v3, v12, vcc
	v_cndmask_b32_e32 v2, v2, v11, vcc
	v_and_b32_e32 v5, v3, v5
	v_and_b32_e32 v4, v2, v4
	v_mul_lo_u32 v5, v5, 24
	v_mul_hi_u32 v11, v4, 24
	v_mul_lo_u32 v12, v4, 24
	s_waitcnt vmcnt(1)
	v_mov_b32_e32 v4, v9
	v_add_u32_e32 v5, v11, v5
	s_waitcnt vmcnt(0)
	v_add_co_u32_e32 v6, vcc, v6, v12
	v_addc_co_u32_e32 v7, vcc, v7, v5, vcc
	global_store_dwordx2 v[6:7], v[9:10], off
	v_mov_b32_e32 v5, v10
	s_waitcnt vmcnt(0)
	global_atomic_cmpswap_x2 v[4:5], v8, v[2:5], s[6:7] offset:24 glc
	s_waitcnt vmcnt(0)
	v_cmp_ne_u64_e32 vcc, v[4:5], v[9:10]
	s_and_b64 exec, exec, vcc
	s_cbranch_execz .LBB10_862
.LBB10_861:                             ; =>This Inner Loop Header: Depth=1
	s_sleep 1
	global_store_dwordx2 v[6:7], v[4:5], off
	s_waitcnt vmcnt(0)
	global_atomic_cmpswap_x2 v[9:10], v8, v[2:5], s[6:7] offset:24 glc
	s_waitcnt vmcnt(0)
	v_cmp_eq_u64_e32 vcc, v[9:10], v[4:5]
	v_mov_b32_e32 v4, v9
	s_or_b64 s[4:5], vcc, s[4:5]
	v_mov_b32_e32 v5, v10
	s_andn2_b64 exec, exec, s[4:5]
	s_cbranch_execnz .LBB10_861
.LBB10_862:
	s_or_b64 exec, exec, s[20:21]
	s_getpc_b64 s[18:19]
	s_add_u32 s18, s18, .str.7@rel32@lo+4
	s_addc_u32 s19, s19, .str.7@rel32@hi+12
	s_cmp_lg_u64 s[18:19], 0
	s_cbranch_scc0 .LBB10_947
; %bb.863:
	s_waitcnt vmcnt(0)
	v_and_b32_e32 v33, 2, v0
	v_mov_b32_e32 v28, 0
	v_and_b32_e32 v2, -3, v0
	v_mov_b32_e32 v3, v1
	s_mov_b64 s[20:21], 4
	v_mov_b32_e32 v6, 2
	v_mov_b32_e32 v7, 1
	s_branch .LBB10_865
.LBB10_864:                             ;   in Loop: Header=BB10_865 Depth=1
	s_or_b64 exec, exec, s[26:27]
	s_sub_u32 s20, s20, s22
	s_subb_u32 s21, s21, s23
	s_add_u32 s18, s18, s22
	s_addc_u32 s19, s19, s23
	s_cmp_lg_u64 s[20:21], 0
	s_cbranch_scc0 .LBB10_946
.LBB10_865:                             ; =>This Loop Header: Depth=1
                                        ;     Child Loop BB10_868 Depth 2
                                        ;     Child Loop BB10_875 Depth 2
	;; [unrolled: 1-line block ×11, first 2 shown]
	v_cmp_lt_u64_e64 s[4:5], s[20:21], 56
	v_cmp_gt_u64_e64 s[24:25], s[20:21], 7
	s_and_b64 s[4:5], s[4:5], exec
	s_cselect_b32 s23, s21, 0
	s_cselect_b32 s22, s20, 56
	s_and_b64 vcc, exec, s[24:25]
	s_cbranch_vccnz .LBB10_870
; %bb.866:                              ;   in Loop: Header=BB10_865 Depth=1
	v_mov_b32_e32 v10, 0
	s_cmp_eq_u64 s[20:21], 0
	v_mov_b32_e32 v11, 0
	s_mov_b64 s[4:5], 0
	s_cbranch_scc1 .LBB10_869
; %bb.867:                              ;   in Loop: Header=BB10_865 Depth=1
	v_mov_b32_e32 v10, 0
	s_lshl_b64 s[24:25], s[22:23], 3
	s_mov_b64 s[26:27], 0
	v_mov_b32_e32 v11, 0
	s_mov_b64 s[28:29], s[18:19]
.LBB10_868:                             ;   Parent Loop BB10_865 Depth=1
                                        ; =>  This Inner Loop Header: Depth=2
	global_load_ubyte v4, v28, s[28:29]
	s_waitcnt vmcnt(0)
	v_and_b32_e32 v27, 0xffff, v4
	v_lshlrev_b64 v[4:5], s26, v[27:28]
	s_add_u32 s26, s26, 8
	s_addc_u32 s27, s27, 0
	s_add_u32 s28, s28, 1
	s_addc_u32 s29, s29, 0
	v_or_b32_e32 v10, v4, v10
	s_cmp_lg_u32 s24, s26
	v_or_b32_e32 v11, v5, v11
	s_cbranch_scc1 .LBB10_868
.LBB10_869:                             ;   in Loop: Header=BB10_865 Depth=1
	s_mov_b32 s15, 0
	s_andn2_b64 vcc, exec, s[4:5]
	s_mov_b64 s[4:5], s[18:19]
	s_cbranch_vccz .LBB10_871
	s_branch .LBB10_872
.LBB10_870:                             ;   in Loop: Header=BB10_865 Depth=1
                                        ; implicit-def: $vgpr10_vgpr11
                                        ; implicit-def: $sgpr15
	s_mov_b64 s[4:5], s[18:19]
.LBB10_871:                             ;   in Loop: Header=BB10_865 Depth=1
	global_load_dwordx2 v[10:11], v28, s[18:19]
	s_add_i32 s15, s22, -8
	s_add_u32 s4, s18, 8
	s_addc_u32 s5, s19, 0
.LBB10_872:                             ;   in Loop: Header=BB10_865 Depth=1
	s_cmp_gt_u32 s15, 7
	s_cbranch_scc1 .LBB10_876
; %bb.873:                              ;   in Loop: Header=BB10_865 Depth=1
	s_cmp_eq_u32 s15, 0
	s_cbranch_scc1 .LBB10_877
; %bb.874:                              ;   in Loop: Header=BB10_865 Depth=1
	v_mov_b32_e32 v12, 0
	s_mov_b64 s[24:25], 0
	v_mov_b32_e32 v13, 0
	s_mov_b64 s[26:27], 0
.LBB10_875:                             ;   Parent Loop BB10_865 Depth=1
                                        ; =>  This Inner Loop Header: Depth=2
	s_add_u32 s28, s4, s26
	s_addc_u32 s29, s5, s27
	global_load_ubyte v4, v28, s[28:29]
	s_add_u32 s26, s26, 1
	s_addc_u32 s27, s27, 0
	s_waitcnt vmcnt(0)
	v_and_b32_e32 v27, 0xffff, v4
	v_lshlrev_b64 v[4:5], s24, v[27:28]
	s_add_u32 s24, s24, 8
	s_addc_u32 s25, s25, 0
	v_or_b32_e32 v12, v4, v12
	s_cmp_lg_u32 s15, s26
	v_or_b32_e32 v13, v5, v13
	s_cbranch_scc1 .LBB10_875
	s_branch .LBB10_878
.LBB10_876:                             ;   in Loop: Header=BB10_865 Depth=1
                                        ; implicit-def: $vgpr12_vgpr13
                                        ; implicit-def: $sgpr28
	s_branch .LBB10_879
.LBB10_877:                             ;   in Loop: Header=BB10_865 Depth=1
	v_mov_b32_e32 v12, 0
	v_mov_b32_e32 v13, 0
.LBB10_878:                             ;   in Loop: Header=BB10_865 Depth=1
	s_mov_b32 s28, 0
	s_cbranch_execnz .LBB10_880
.LBB10_879:                             ;   in Loop: Header=BB10_865 Depth=1
	global_load_dwordx2 v[12:13], v28, s[4:5]
	s_add_i32 s28, s15, -8
	s_add_u32 s4, s4, 8
	s_addc_u32 s5, s5, 0
.LBB10_880:                             ;   in Loop: Header=BB10_865 Depth=1
	s_cmp_gt_u32 s28, 7
	s_cbranch_scc1 .LBB10_884
; %bb.881:                              ;   in Loop: Header=BB10_865 Depth=1
	s_cmp_eq_u32 s28, 0
	s_cbranch_scc1 .LBB10_885
; %bb.882:                              ;   in Loop: Header=BB10_865 Depth=1
	v_mov_b32_e32 v14, 0
	s_mov_b64 s[24:25], 0
	v_mov_b32_e32 v15, 0
	s_mov_b64 s[26:27], 0
.LBB10_883:                             ;   Parent Loop BB10_865 Depth=1
                                        ; =>  This Inner Loop Header: Depth=2
	s_add_u32 vcc_lo, s4, s26
	s_addc_u32 vcc_hi, s5, s27
	global_load_ubyte v4, v28, vcc
	s_add_u32 s26, s26, 1
	s_addc_u32 s27, s27, 0
	s_waitcnt vmcnt(0)
	v_and_b32_e32 v27, 0xffff, v4
	v_lshlrev_b64 v[4:5], s24, v[27:28]
	s_add_u32 s24, s24, 8
	s_addc_u32 s25, s25, 0
	v_or_b32_e32 v14, v4, v14
	s_cmp_lg_u32 s28, s26
	v_or_b32_e32 v15, v5, v15
	s_cbranch_scc1 .LBB10_883
	s_branch .LBB10_886
.LBB10_884:                             ;   in Loop: Header=BB10_865 Depth=1
                                        ; implicit-def: $sgpr15
	s_branch .LBB10_887
.LBB10_885:                             ;   in Loop: Header=BB10_865 Depth=1
	v_mov_b32_e32 v14, 0
	v_mov_b32_e32 v15, 0
.LBB10_886:                             ;   in Loop: Header=BB10_865 Depth=1
	s_mov_b32 s15, 0
	s_cbranch_execnz .LBB10_888
.LBB10_887:                             ;   in Loop: Header=BB10_865 Depth=1
	global_load_dwordx2 v[14:15], v28, s[4:5]
	s_add_i32 s15, s28, -8
	s_add_u32 s4, s4, 8
	s_addc_u32 s5, s5, 0
.LBB10_888:                             ;   in Loop: Header=BB10_865 Depth=1
	s_cmp_gt_u32 s15, 7
	s_cbranch_scc1 .LBB10_892
; %bb.889:                              ;   in Loop: Header=BB10_865 Depth=1
	s_cmp_eq_u32 s15, 0
	s_cbranch_scc1 .LBB10_893
; %bb.890:                              ;   in Loop: Header=BB10_865 Depth=1
	v_mov_b32_e32 v16, 0
	s_mov_b64 s[24:25], 0
	v_mov_b32_e32 v17, 0
	s_mov_b64 s[26:27], 0
.LBB10_891:                             ;   Parent Loop BB10_865 Depth=1
                                        ; =>  This Inner Loop Header: Depth=2
	s_add_u32 s28, s4, s26
	s_addc_u32 s29, s5, s27
	global_load_ubyte v4, v28, s[28:29]
	s_add_u32 s26, s26, 1
	s_addc_u32 s27, s27, 0
	s_waitcnt vmcnt(0)
	v_and_b32_e32 v27, 0xffff, v4
	v_lshlrev_b64 v[4:5], s24, v[27:28]
	s_add_u32 s24, s24, 8
	s_addc_u32 s25, s25, 0
	v_or_b32_e32 v16, v4, v16
	s_cmp_lg_u32 s15, s26
	v_or_b32_e32 v17, v5, v17
	s_cbranch_scc1 .LBB10_891
	s_branch .LBB10_894
.LBB10_892:                             ;   in Loop: Header=BB10_865 Depth=1
                                        ; implicit-def: $vgpr16_vgpr17
                                        ; implicit-def: $sgpr28
	s_branch .LBB10_895
.LBB10_893:                             ;   in Loop: Header=BB10_865 Depth=1
	v_mov_b32_e32 v16, 0
	v_mov_b32_e32 v17, 0
.LBB10_894:                             ;   in Loop: Header=BB10_865 Depth=1
	s_mov_b32 s28, 0
	s_cbranch_execnz .LBB10_896
.LBB10_895:                             ;   in Loop: Header=BB10_865 Depth=1
	global_load_dwordx2 v[16:17], v28, s[4:5]
	s_add_i32 s28, s15, -8
	s_add_u32 s4, s4, 8
	s_addc_u32 s5, s5, 0
.LBB10_896:                             ;   in Loop: Header=BB10_865 Depth=1
	s_cmp_gt_u32 s28, 7
	s_cbranch_scc1 .LBB10_900
; %bb.897:                              ;   in Loop: Header=BB10_865 Depth=1
	s_cmp_eq_u32 s28, 0
	s_cbranch_scc1 .LBB10_901
; %bb.898:                              ;   in Loop: Header=BB10_865 Depth=1
	v_mov_b32_e32 v18, 0
	s_mov_b64 s[24:25], 0
	v_mov_b32_e32 v19, 0
	s_mov_b64 s[26:27], 0
.LBB10_899:                             ;   Parent Loop BB10_865 Depth=1
                                        ; =>  This Inner Loop Header: Depth=2
	s_add_u32 vcc_lo, s4, s26
	s_addc_u32 vcc_hi, s5, s27
	global_load_ubyte v4, v28, vcc
	s_add_u32 s26, s26, 1
	s_addc_u32 s27, s27, 0
	s_waitcnt vmcnt(0)
	v_and_b32_e32 v27, 0xffff, v4
	v_lshlrev_b64 v[4:5], s24, v[27:28]
	s_add_u32 s24, s24, 8
	s_addc_u32 s25, s25, 0
	v_or_b32_e32 v18, v4, v18
	s_cmp_lg_u32 s28, s26
	v_or_b32_e32 v19, v5, v19
	s_cbranch_scc1 .LBB10_899
	s_branch .LBB10_902
.LBB10_900:                             ;   in Loop: Header=BB10_865 Depth=1
                                        ; implicit-def: $sgpr15
	s_branch .LBB10_903
.LBB10_901:                             ;   in Loop: Header=BB10_865 Depth=1
	v_mov_b32_e32 v18, 0
	v_mov_b32_e32 v19, 0
.LBB10_902:                             ;   in Loop: Header=BB10_865 Depth=1
	s_mov_b32 s15, 0
	s_cbranch_execnz .LBB10_904
.LBB10_903:                             ;   in Loop: Header=BB10_865 Depth=1
	global_load_dwordx2 v[18:19], v28, s[4:5]
	s_add_i32 s15, s28, -8
	s_add_u32 s4, s4, 8
	s_addc_u32 s5, s5, 0
.LBB10_904:                             ;   in Loop: Header=BB10_865 Depth=1
	s_cmp_gt_u32 s15, 7
	s_cbranch_scc1 .LBB10_908
; %bb.905:                              ;   in Loop: Header=BB10_865 Depth=1
	s_cmp_eq_u32 s15, 0
	s_cbranch_scc1 .LBB10_909
; %bb.906:                              ;   in Loop: Header=BB10_865 Depth=1
	v_mov_b32_e32 v20, 0
	s_mov_b64 s[24:25], 0
	v_mov_b32_e32 v21, 0
	s_mov_b64 s[26:27], 0
.LBB10_907:                             ;   Parent Loop BB10_865 Depth=1
                                        ; =>  This Inner Loop Header: Depth=2
	s_add_u32 s28, s4, s26
	s_addc_u32 s29, s5, s27
	global_load_ubyte v4, v28, s[28:29]
	s_add_u32 s26, s26, 1
	s_addc_u32 s27, s27, 0
	s_waitcnt vmcnt(0)
	v_and_b32_e32 v27, 0xffff, v4
	v_lshlrev_b64 v[4:5], s24, v[27:28]
	s_add_u32 s24, s24, 8
	s_addc_u32 s25, s25, 0
	v_or_b32_e32 v20, v4, v20
	s_cmp_lg_u32 s15, s26
	v_or_b32_e32 v21, v5, v21
	s_cbranch_scc1 .LBB10_907
	s_branch .LBB10_910
.LBB10_908:                             ;   in Loop: Header=BB10_865 Depth=1
                                        ; implicit-def: $vgpr20_vgpr21
                                        ; implicit-def: $sgpr28
	s_branch .LBB10_911
.LBB10_909:                             ;   in Loop: Header=BB10_865 Depth=1
	v_mov_b32_e32 v20, 0
	v_mov_b32_e32 v21, 0
.LBB10_910:                             ;   in Loop: Header=BB10_865 Depth=1
	s_mov_b32 s28, 0
	s_cbranch_execnz .LBB10_912
.LBB10_911:                             ;   in Loop: Header=BB10_865 Depth=1
	global_load_dwordx2 v[20:21], v28, s[4:5]
	s_add_i32 s28, s15, -8
	s_add_u32 s4, s4, 8
	s_addc_u32 s5, s5, 0
.LBB10_912:                             ;   in Loop: Header=BB10_865 Depth=1
	s_cmp_gt_u32 s28, 7
	s_cbranch_scc1 .LBB10_916
; %bb.913:                              ;   in Loop: Header=BB10_865 Depth=1
	s_cmp_eq_u32 s28, 0
	s_cbranch_scc1 .LBB10_917
; %bb.914:                              ;   in Loop: Header=BB10_865 Depth=1
	v_mov_b32_e32 v22, 0
	s_mov_b64 s[24:25], 0
	v_mov_b32_e32 v23, 0
	s_mov_b64 s[26:27], s[4:5]
.LBB10_915:                             ;   Parent Loop BB10_865 Depth=1
                                        ; =>  This Inner Loop Header: Depth=2
	global_load_ubyte v4, v28, s[26:27]
	s_add_i32 s28, s28, -1
	s_waitcnt vmcnt(0)
	v_and_b32_e32 v27, 0xffff, v4
	v_lshlrev_b64 v[4:5], s24, v[27:28]
	s_add_u32 s24, s24, 8
	s_addc_u32 s25, s25, 0
	s_add_u32 s26, s26, 1
	s_addc_u32 s27, s27, 0
	v_or_b32_e32 v22, v4, v22
	s_cmp_lg_u32 s28, 0
	v_or_b32_e32 v23, v5, v23
	s_cbranch_scc1 .LBB10_915
	s_branch .LBB10_918
.LBB10_916:                             ;   in Loop: Header=BB10_865 Depth=1
	s_branch .LBB10_919
.LBB10_917:                             ;   in Loop: Header=BB10_865 Depth=1
	v_mov_b32_e32 v22, 0
	v_mov_b32_e32 v23, 0
.LBB10_918:                             ;   in Loop: Header=BB10_865 Depth=1
	s_cbranch_execnz .LBB10_920
.LBB10_919:                             ;   in Loop: Header=BB10_865 Depth=1
	global_load_dwordx2 v[22:23], v28, s[4:5]
.LBB10_920:                             ;   in Loop: Header=BB10_865 Depth=1
	v_readfirstlane_b32 s4, v32
	s_waitcnt vmcnt(0)
	v_mov_b32_e32 v4, 0
	v_mov_b32_e32 v5, 0
	v_cmp_eq_u32_e64 s[4:5], s4, v32
	s_and_saveexec_b64 s[24:25], s[4:5]
	s_cbranch_execz .LBB10_926
; %bb.921:                              ;   in Loop: Header=BB10_865 Depth=1
	global_load_dwordx2 v[26:27], v28, s[6:7] offset:24 glc
	s_waitcnt vmcnt(0)
	buffer_wbinvl1_vol
	global_load_dwordx2 v[4:5], v28, s[6:7] offset:40
	global_load_dwordx2 v[8:9], v28, s[6:7]
	s_waitcnt vmcnt(1)
	v_and_b32_e32 v4, v4, v26
	v_and_b32_e32 v5, v5, v27
	v_mul_lo_u32 v5, v5, 24
	v_mul_hi_u32 v24, v4, 24
	v_mul_lo_u32 v4, v4, 24
	v_add_u32_e32 v5, v24, v5
	s_waitcnt vmcnt(0)
	v_add_co_u32_e32 v4, vcc, v8, v4
	v_addc_co_u32_e32 v5, vcc, v9, v5, vcc
	global_load_dwordx2 v[24:25], v[4:5], off glc
	s_waitcnt vmcnt(0)
	global_atomic_cmpswap_x2 v[4:5], v28, v[24:27], s[6:7] offset:24 glc
	s_waitcnt vmcnt(0)
	buffer_wbinvl1_vol
	v_cmp_ne_u64_e32 vcc, v[4:5], v[26:27]
	s_and_saveexec_b64 s[26:27], vcc
	s_cbranch_execz .LBB10_925
; %bb.922:                              ;   in Loop: Header=BB10_865 Depth=1
	s_mov_b64 s[28:29], 0
.LBB10_923:                             ;   Parent Loop BB10_865 Depth=1
                                        ; =>  This Inner Loop Header: Depth=2
	s_sleep 1
	global_load_dwordx2 v[8:9], v28, s[6:7] offset:40
	global_load_dwordx2 v[24:25], v28, s[6:7]
	v_mov_b32_e32 v27, v5
	v_mov_b32_e32 v26, v4
	s_waitcnt vmcnt(1)
	v_and_b32_e32 v4, v8, v26
	s_waitcnt vmcnt(0)
	v_mad_u64_u32 v[4:5], vcc, v4, 24, v[24:25]
	v_and_b32_e32 v8, v9, v27
	v_mad_u64_u32 v[8:9], vcc, v8, 24, v[5:6]
	v_mov_b32_e32 v5, v8
	global_load_dwordx2 v[24:25], v[4:5], off glc
	s_waitcnt vmcnt(0)
	global_atomic_cmpswap_x2 v[4:5], v28, v[24:27], s[6:7] offset:24 glc
	s_waitcnt vmcnt(0)
	buffer_wbinvl1_vol
	v_cmp_eq_u64_e32 vcc, v[4:5], v[26:27]
	s_or_b64 s[28:29], vcc, s[28:29]
	s_andn2_b64 exec, exec, s[28:29]
	s_cbranch_execnz .LBB10_923
; %bb.924:                              ;   in Loop: Header=BB10_865 Depth=1
	s_or_b64 exec, exec, s[28:29]
.LBB10_925:                             ;   in Loop: Header=BB10_865 Depth=1
	s_or_b64 exec, exec, s[26:27]
.LBB10_926:                             ;   in Loop: Header=BB10_865 Depth=1
	s_or_b64 exec, exec, s[24:25]
	global_load_dwordx2 v[8:9], v28, s[6:7] offset:40
	global_load_dwordx4 v[24:27], v28, s[6:7]
	v_readfirstlane_b32 s24, v4
	v_readfirstlane_b32 s25, v5
	s_mov_b64 s[26:27], exec
	s_waitcnt vmcnt(1)
	v_readfirstlane_b32 s28, v8
	v_readfirstlane_b32 s29, v9
	s_and_b64 s[28:29], s[24:25], s[28:29]
	s_mul_i32 s15, s29, 24
	s_mul_hi_u32 vcc_lo, s28, 24
	s_mul_i32 vcc_hi, s28, 24
	s_add_i32 s15, vcc_lo, s15
	v_mov_b32_e32 v4, s15
	s_waitcnt vmcnt(0)
	v_add_co_u32_e32 v29, vcc, vcc_hi, v24
	v_addc_co_u32_e32 v30, vcc, v25, v4, vcc
	s_and_saveexec_b64 vcc, s[4:5]
	s_cbranch_execz .LBB10_928
; %bb.927:                              ;   in Loop: Header=BB10_865 Depth=1
	v_mov_b32_e32 v4, s26
	v_mov_b32_e32 v5, s27
	global_store_dwordx4 v[29:30], v[4:7], off offset:8
.LBB10_928:                             ;   in Loop: Header=BB10_865 Depth=1
	s_or_b64 exec, exec, vcc
	s_lshl_b64 s[26:27], s[28:29], 12
	v_mov_b32_e32 v4, s27
	v_add_co_u32_e32 v26, vcc, s26, v26
	v_addc_co_u32_e32 v34, vcc, v27, v4, vcc
	v_cmp_gt_u64_e64 vcc, s[20:21], 56
	v_or_b32_e32 v5, v2, v33
	s_lshl_b32 s15, s22, 2
	v_cndmask_b32_e32 v2, v5, v2, vcc
	s_add_i32 s15, s15, 28
	v_or_b32_e32 v4, 0, v3
	s_and_b32 s15, s15, 0x1e0
	v_and_b32_e32 v2, 0xffffff1f, v2
	v_cndmask_b32_e32 v9, v4, v3, vcc
	v_or_b32_e32 v8, s15, v2
	v_readfirstlane_b32 s26, v26
	v_readfirstlane_b32 s27, v34
	s_nop 4
	global_store_dwordx4 v31, v[8:11], s[26:27]
	global_store_dwordx4 v31, v[12:15], s[26:27] offset:16
	global_store_dwordx4 v31, v[16:19], s[26:27] offset:32
	;; [unrolled: 1-line block ×3, first 2 shown]
	s_and_saveexec_b64 s[26:27], s[4:5]
	s_cbranch_execz .LBB10_936
; %bb.929:                              ;   in Loop: Header=BB10_865 Depth=1
	global_load_dwordx2 v[12:13], v28, s[6:7] offset:32 glc
	global_load_dwordx2 v[2:3], v28, s[6:7] offset:40
	v_mov_b32_e32 v10, s24
	v_mov_b32_e32 v11, s25
	s_waitcnt vmcnt(0)
	v_readfirstlane_b32 s28, v2
	v_readfirstlane_b32 s29, v3
	s_and_b64 s[28:29], s[28:29], s[24:25]
	s_mul_i32 s15, s29, 24
	s_mul_hi_u32 s29, s28, 24
	s_mul_i32 s28, s28, 24
	s_add_i32 s15, s29, s15
	v_mov_b32_e32 v2, s15
	v_add_co_u32_e32 v8, vcc, s28, v24
	v_addc_co_u32_e32 v9, vcc, v25, v2, vcc
	global_store_dwordx2 v[8:9], v[12:13], off
	s_waitcnt vmcnt(0)
	global_atomic_cmpswap_x2 v[4:5], v28, v[10:13], s[6:7] offset:32 glc
	s_waitcnt vmcnt(0)
	v_cmp_ne_u64_e32 vcc, v[4:5], v[12:13]
	s_and_saveexec_b64 s[28:29], vcc
	s_cbranch_execz .LBB10_932
; %bb.930:                              ;   in Loop: Header=BB10_865 Depth=1
	s_mov_b64 s[30:31], 0
.LBB10_931:                             ;   Parent Loop BB10_865 Depth=1
                                        ; =>  This Inner Loop Header: Depth=2
	s_sleep 1
	global_store_dwordx2 v[8:9], v[4:5], off
	v_mov_b32_e32 v2, s24
	v_mov_b32_e32 v3, s25
	s_waitcnt vmcnt(0)
	global_atomic_cmpswap_x2 v[2:3], v28, v[2:5], s[6:7] offset:32 glc
	s_waitcnt vmcnt(0)
	v_cmp_eq_u64_e32 vcc, v[2:3], v[4:5]
	v_mov_b32_e32 v5, v3
	s_or_b64 s[30:31], vcc, s[30:31]
	v_mov_b32_e32 v4, v2
	s_andn2_b64 exec, exec, s[30:31]
	s_cbranch_execnz .LBB10_931
.LBB10_932:                             ;   in Loop: Header=BB10_865 Depth=1
	s_or_b64 exec, exec, s[28:29]
	global_load_dwordx2 v[2:3], v28, s[6:7] offset:16
	s_mov_b64 s[30:31], exec
	v_mbcnt_lo_u32_b32 v4, s30, 0
	v_mbcnt_hi_u32_b32 v4, s31, v4
	v_cmp_eq_u32_e32 vcc, 0, v4
	s_and_saveexec_b64 s[28:29], vcc
	s_cbranch_execz .LBB10_934
; %bb.933:                              ;   in Loop: Header=BB10_865 Depth=1
	s_bcnt1_i32_b64 s15, s[30:31]
	v_mov_b32_e32 v27, s15
	s_waitcnt vmcnt(0)
	global_atomic_add_x2 v[2:3], v[27:28], off offset:8
.LBB10_934:                             ;   in Loop: Header=BB10_865 Depth=1
	s_or_b64 exec, exec, s[28:29]
	s_waitcnt vmcnt(0)
	global_load_dwordx2 v[4:5], v[2:3], off offset:16
	s_waitcnt vmcnt(0)
	v_cmp_eq_u64_e32 vcc, 0, v[4:5]
	s_cbranch_vccnz .LBB10_936
; %bb.935:                              ;   in Loop: Header=BB10_865 Depth=1
	global_load_dword v27, v[2:3], off offset:24
	s_waitcnt vmcnt(0)
	v_and_b32_e32 v2, 0xffffff, v27
	v_readfirstlane_b32 m0, v2
	global_store_dwordx2 v[4:5], v[27:28], off
	s_sendmsg sendmsg(MSG_INTERRUPT)
.LBB10_936:                             ;   in Loop: Header=BB10_865 Depth=1
	s_or_b64 exec, exec, s[26:27]
	v_add_co_u32_e32 v2, vcc, v26, v31
	v_addc_co_u32_e32 v3, vcc, 0, v34, vcc
	s_branch .LBB10_940
.LBB10_937:                             ;   in Loop: Header=BB10_940 Depth=2
	s_or_b64 exec, exec, s[26:27]
	v_readfirstlane_b32 s15, v4
	s_cmp_eq_u32 s15, 0
	s_cbranch_scc1 .LBB10_939
; %bb.938:                              ;   in Loop: Header=BB10_940 Depth=2
	s_sleep 1
	s_cbranch_execnz .LBB10_940
	s_branch .LBB10_942
.LBB10_939:                             ;   in Loop: Header=BB10_865 Depth=1
	s_branch .LBB10_942
.LBB10_940:                             ;   Parent Loop BB10_865 Depth=1
                                        ; =>  This Inner Loop Header: Depth=2
	v_mov_b32_e32 v4, 1
	s_and_saveexec_b64 s[26:27], s[4:5]
	s_cbranch_execz .LBB10_937
; %bb.941:                              ;   in Loop: Header=BB10_940 Depth=2
	global_load_dword v4, v[29:30], off offset:20 glc
	s_waitcnt vmcnt(0)
	buffer_wbinvl1_vol
	v_and_b32_e32 v4, 1, v4
	s_branch .LBB10_937
.LBB10_942:                             ;   in Loop: Header=BB10_865 Depth=1
	global_load_dwordx4 v[2:5], v[2:3], off
	s_and_saveexec_b64 s[26:27], s[4:5]
	s_cbranch_execz .LBB10_864
; %bb.943:                              ;   in Loop: Header=BB10_865 Depth=1
	global_load_dwordx2 v[4:5], v28, s[6:7] offset:40
	global_load_dwordx2 v[12:13], v28, s[6:7] offset:24 glc
	global_load_dwordx2 v[14:15], v28, s[6:7]
	v_mov_b32_e32 v9, s25
	s_waitcnt vmcnt(2)
	v_add_co_u32_e32 v10, vcc, 1, v4
	v_addc_co_u32_e32 v11, vcc, 0, v5, vcc
	v_add_co_u32_e32 v8, vcc, s24, v10
	v_addc_co_u32_e32 v9, vcc, v11, v9, vcc
	v_cmp_eq_u64_e32 vcc, 0, v[8:9]
	v_cndmask_b32_e32 v9, v9, v11, vcc
	v_cndmask_b32_e32 v8, v8, v10, vcc
	v_and_b32_e32 v5, v9, v5
	v_and_b32_e32 v4, v8, v4
	v_mul_lo_u32 v5, v5, 24
	v_mul_hi_u32 v11, v4, 24
	v_mul_lo_u32 v4, v4, 24
	s_waitcnt vmcnt(1)
	v_mov_b32_e32 v10, v12
	v_add_u32_e32 v5, v11, v5
	s_waitcnt vmcnt(0)
	v_add_co_u32_e32 v4, vcc, v14, v4
	v_addc_co_u32_e32 v5, vcc, v15, v5, vcc
	global_store_dwordx2 v[4:5], v[12:13], off
	v_mov_b32_e32 v11, v13
	s_waitcnt vmcnt(0)
	global_atomic_cmpswap_x2 v[10:11], v28, v[8:11], s[6:7] offset:24 glc
	s_waitcnt vmcnt(0)
	v_cmp_ne_u64_e32 vcc, v[10:11], v[12:13]
	s_and_b64 exec, exec, vcc
	s_cbranch_execz .LBB10_864
; %bb.944:                              ;   in Loop: Header=BB10_865 Depth=1
	s_mov_b64 s[4:5], 0
.LBB10_945:                             ;   Parent Loop BB10_865 Depth=1
                                        ; =>  This Inner Loop Header: Depth=2
	s_sleep 1
	global_store_dwordx2 v[4:5], v[10:11], off
	s_waitcnt vmcnt(0)
	global_atomic_cmpswap_x2 v[12:13], v28, v[8:11], s[6:7] offset:24 glc
	s_waitcnt vmcnt(0)
	v_cmp_eq_u64_e32 vcc, v[12:13], v[10:11]
	v_mov_b32_e32 v10, v12
	s_or_b64 s[4:5], vcc, s[4:5]
	v_mov_b32_e32 v11, v13
	s_andn2_b64 exec, exec, s[4:5]
	s_cbranch_execnz .LBB10_945
	s_branch .LBB10_864
.LBB10_946:
	s_branch .LBB10_974
.LBB10_947:
                                        ; implicit-def: $vgpr2_vgpr3
	s_cbranch_execz .LBB10_974
; %bb.948:
	v_readfirstlane_b32 s4, v32
	v_mov_b32_e32 v8, 0
	v_mov_b32_e32 v9, 0
	v_cmp_eq_u32_e64 s[4:5], s4, v32
	s_and_saveexec_b64 s[18:19], s[4:5]
	s_cbranch_execz .LBB10_954
; %bb.949:
	s_waitcnt vmcnt(0)
	v_mov_b32_e32 v2, 0
	global_load_dwordx2 v[5:6], v2, s[6:7] offset:24 glc
	s_waitcnt vmcnt(0)
	buffer_wbinvl1_vol
	global_load_dwordx2 v[3:4], v2, s[6:7] offset:40
	global_load_dwordx2 v[7:8], v2, s[6:7]
	s_waitcnt vmcnt(1)
	v_and_b32_e32 v3, v3, v5
	v_and_b32_e32 v4, v4, v6
	v_mul_lo_u32 v4, v4, 24
	v_mul_hi_u32 v9, v3, 24
	v_mul_lo_u32 v3, v3, 24
	v_add_u32_e32 v4, v9, v4
	s_waitcnt vmcnt(0)
	v_add_co_u32_e32 v3, vcc, v7, v3
	v_addc_co_u32_e32 v4, vcc, v8, v4, vcc
	global_load_dwordx2 v[3:4], v[3:4], off glc
	s_waitcnt vmcnt(0)
	global_atomic_cmpswap_x2 v[8:9], v2, v[3:6], s[6:7] offset:24 glc
	s_waitcnt vmcnt(0)
	buffer_wbinvl1_vol
	v_cmp_ne_u64_e32 vcc, v[8:9], v[5:6]
	s_and_saveexec_b64 s[20:21], vcc
	s_cbranch_execz .LBB10_953
; %bb.950:
	s_mov_b64 s[22:23], 0
.LBB10_951:                             ; =>This Inner Loop Header: Depth=1
	s_sleep 1
	global_load_dwordx2 v[3:4], v2, s[6:7] offset:40
	global_load_dwordx2 v[10:11], v2, s[6:7]
	v_mov_b32_e32 v5, v8
	v_mov_b32_e32 v6, v9
	s_waitcnt vmcnt(1)
	v_and_b32_e32 v3, v3, v5
	s_waitcnt vmcnt(0)
	v_mad_u64_u32 v[7:8], s[24:25], v3, 24, v[10:11]
	v_and_b32_e32 v4, v4, v6
	v_mov_b32_e32 v3, v8
	v_mad_u64_u32 v[3:4], s[24:25], v4, 24, v[3:4]
	v_mov_b32_e32 v8, v3
	global_load_dwordx2 v[3:4], v[7:8], off glc
	s_waitcnt vmcnt(0)
	global_atomic_cmpswap_x2 v[8:9], v2, v[3:6], s[6:7] offset:24 glc
	s_waitcnt vmcnt(0)
	buffer_wbinvl1_vol
	v_cmp_eq_u64_e32 vcc, v[8:9], v[5:6]
	s_or_b64 s[22:23], vcc, s[22:23]
	s_andn2_b64 exec, exec, s[22:23]
	s_cbranch_execnz .LBB10_951
; %bb.952:
	s_or_b64 exec, exec, s[22:23]
.LBB10_953:
	s_or_b64 exec, exec, s[20:21]
.LBB10_954:
	s_or_b64 exec, exec, s[18:19]
	s_waitcnt vmcnt(0)
	v_mov_b32_e32 v2, 0
	global_load_dwordx2 v[10:11], v2, s[6:7] offset:40
	global_load_dwordx4 v[4:7], v2, s[6:7]
	v_readfirstlane_b32 s18, v8
	v_readfirstlane_b32 s19, v9
	s_mov_b64 s[20:21], exec
	s_waitcnt vmcnt(1)
	v_readfirstlane_b32 s22, v10
	v_readfirstlane_b32 s23, v11
	s_and_b64 s[22:23], s[18:19], s[22:23]
	s_mul_i32 s15, s23, 24
	s_mul_hi_u32 s24, s22, 24
	s_mul_i32 s25, s22, 24
	s_add_i32 s15, s24, s15
	v_mov_b32_e32 v3, s15
	s_waitcnt vmcnt(0)
	v_add_co_u32_e32 v8, vcc, s25, v4
	v_addc_co_u32_e32 v9, vcc, v5, v3, vcc
	s_and_saveexec_b64 s[24:25], s[4:5]
	s_cbranch_execz .LBB10_956
; %bb.955:
	v_mov_b32_e32 v10, s20
	v_mov_b32_e32 v11, s21
	;; [unrolled: 1-line block ×4, first 2 shown]
	global_store_dwordx4 v[8:9], v[10:13], off offset:8
.LBB10_956:
	s_or_b64 exec, exec, s[24:25]
	s_lshl_b64 s[20:21], s[22:23], 12
	v_mov_b32_e32 v3, s21
	v_add_co_u32_e32 v10, vcc, s20, v6
	v_addc_co_u32_e32 v11, vcc, v7, v3, vcc
	s_movk_i32 s15, 0xff1f
	v_and_or_b32 v0, v0, s15, 32
	s_mov_b32 s20, 0
	v_mov_b32_e32 v3, v2
	v_readfirstlane_b32 s24, v10
	v_readfirstlane_b32 s25, v11
	v_add_co_u32_e32 v6, vcc, v10, v31
	s_mov_b32 s21, s20
	s_mov_b32 s22, s20
	;; [unrolled: 1-line block ×3, first 2 shown]
	s_nop 0
	global_store_dwordx4 v31, v[0:3], s[24:25]
	v_addc_co_u32_e32 v7, vcc, 0, v11, vcc
	v_mov_b32_e32 v0, s20
	v_mov_b32_e32 v1, s21
	;; [unrolled: 1-line block ×4, first 2 shown]
	global_store_dwordx4 v31, v[0:3], s[24:25] offset:16
	global_store_dwordx4 v31, v[0:3], s[24:25] offset:32
	;; [unrolled: 1-line block ×3, first 2 shown]
	s_and_saveexec_b64 s[20:21], s[4:5]
	s_cbranch_execz .LBB10_964
; %bb.957:
	v_mov_b32_e32 v10, 0
	global_load_dwordx2 v[13:14], v10, s[6:7] offset:32 glc
	global_load_dwordx2 v[0:1], v10, s[6:7] offset:40
	v_mov_b32_e32 v11, s18
	v_mov_b32_e32 v12, s19
	s_waitcnt vmcnt(0)
	v_readfirstlane_b32 s22, v0
	v_readfirstlane_b32 s23, v1
	s_and_b64 s[22:23], s[22:23], s[18:19]
	s_mul_i32 s15, s23, 24
	s_mul_hi_u32 s23, s22, 24
	s_mul_i32 s22, s22, 24
	s_add_i32 s15, s23, s15
	v_mov_b32_e32 v0, s15
	v_add_co_u32_e32 v4, vcc, s22, v4
	v_addc_co_u32_e32 v5, vcc, v5, v0, vcc
	global_store_dwordx2 v[4:5], v[13:14], off
	s_waitcnt vmcnt(0)
	global_atomic_cmpswap_x2 v[2:3], v10, v[11:14], s[6:7] offset:32 glc
	s_waitcnt vmcnt(0)
	v_cmp_ne_u64_e32 vcc, v[2:3], v[13:14]
	s_and_saveexec_b64 s[22:23], vcc
	s_cbranch_execz .LBB10_960
; %bb.958:
	s_mov_b64 s[24:25], 0
.LBB10_959:                             ; =>This Inner Loop Header: Depth=1
	s_sleep 1
	global_store_dwordx2 v[4:5], v[2:3], off
	v_mov_b32_e32 v0, s18
	v_mov_b32_e32 v1, s19
	s_waitcnt vmcnt(0)
	global_atomic_cmpswap_x2 v[0:1], v10, v[0:3], s[6:7] offset:32 glc
	s_waitcnt vmcnt(0)
	v_cmp_eq_u64_e32 vcc, v[0:1], v[2:3]
	v_mov_b32_e32 v3, v1
	s_or_b64 s[24:25], vcc, s[24:25]
	v_mov_b32_e32 v2, v0
	s_andn2_b64 exec, exec, s[24:25]
	s_cbranch_execnz .LBB10_959
.LBB10_960:
	s_or_b64 exec, exec, s[22:23]
	v_mov_b32_e32 v3, 0
	global_load_dwordx2 v[0:1], v3, s[6:7] offset:16
	s_mov_b64 s[22:23], exec
	v_mbcnt_lo_u32_b32 v2, s22, 0
	v_mbcnt_hi_u32_b32 v2, s23, v2
	v_cmp_eq_u32_e32 vcc, 0, v2
	s_and_saveexec_b64 s[24:25], vcc
	s_cbranch_execz .LBB10_962
; %bb.961:
	s_bcnt1_i32_b64 s15, s[22:23]
	v_mov_b32_e32 v2, s15
	s_waitcnt vmcnt(0)
	global_atomic_add_x2 v[0:1], v[2:3], off offset:8
.LBB10_962:
	s_or_b64 exec, exec, s[24:25]
	s_waitcnt vmcnt(0)
	global_load_dwordx2 v[2:3], v[0:1], off offset:16
	s_waitcnt vmcnt(0)
	v_cmp_eq_u64_e32 vcc, 0, v[2:3]
	s_cbranch_vccnz .LBB10_964
; %bb.963:
	global_load_dword v0, v[0:1], off offset:24
	v_mov_b32_e32 v1, 0
	s_waitcnt vmcnt(0)
	global_store_dwordx2 v[2:3], v[0:1], off
	v_and_b32_e32 v0, 0xffffff, v0
	v_readfirstlane_b32 m0, v0
	s_sendmsg sendmsg(MSG_INTERRUPT)
.LBB10_964:
	s_or_b64 exec, exec, s[20:21]
	s_branch .LBB10_968
.LBB10_965:                             ;   in Loop: Header=BB10_968 Depth=1
	s_or_b64 exec, exec, s[20:21]
	v_readfirstlane_b32 s15, v0
	s_cmp_eq_u32 s15, 0
	s_cbranch_scc1 .LBB10_967
; %bb.966:                              ;   in Loop: Header=BB10_968 Depth=1
	s_sleep 1
	s_cbranch_execnz .LBB10_968
	s_branch .LBB10_970
.LBB10_967:
	s_branch .LBB10_970
.LBB10_968:                             ; =>This Inner Loop Header: Depth=1
	v_mov_b32_e32 v0, 1
	s_and_saveexec_b64 s[20:21], s[4:5]
	s_cbranch_execz .LBB10_965
; %bb.969:                              ;   in Loop: Header=BB10_968 Depth=1
	global_load_dword v0, v[8:9], off offset:20 glc
	s_waitcnt vmcnt(0)
	buffer_wbinvl1_vol
	v_and_b32_e32 v0, 1, v0
	s_branch .LBB10_965
.LBB10_970:
	global_load_dwordx2 v[2:3], v[6:7], off
	s_and_saveexec_b64 s[20:21], s[4:5]
	s_cbranch_execz .LBB10_973
; %bb.971:
	v_mov_b32_e32 v8, 0
	global_load_dwordx2 v[0:1], v8, s[6:7] offset:40
	global_load_dwordx2 v[9:10], v8, s[6:7] offset:24 glc
	global_load_dwordx2 v[11:12], v8, s[6:7]
	v_mov_b32_e32 v5, s19
	s_mov_b64 s[4:5], 0
	s_waitcnt vmcnt(2)
	v_add_co_u32_e32 v6, vcc, 1, v0
	v_addc_co_u32_e32 v7, vcc, 0, v1, vcc
	v_add_co_u32_e32 v4, vcc, s18, v6
	v_addc_co_u32_e32 v5, vcc, v7, v5, vcc
	v_cmp_eq_u64_e32 vcc, 0, v[4:5]
	v_cndmask_b32_e32 v5, v5, v7, vcc
	v_cndmask_b32_e32 v4, v4, v6, vcc
	v_and_b32_e32 v1, v5, v1
	v_and_b32_e32 v0, v4, v0
	v_mul_lo_u32 v1, v1, 24
	v_mul_hi_u32 v7, v0, 24
	v_mul_lo_u32 v0, v0, 24
	s_waitcnt vmcnt(1)
	v_mov_b32_e32 v6, v9
	v_add_u32_e32 v1, v7, v1
	s_waitcnt vmcnt(0)
	v_add_co_u32_e32 v0, vcc, v11, v0
	v_addc_co_u32_e32 v1, vcc, v12, v1, vcc
	global_store_dwordx2 v[0:1], v[9:10], off
	v_mov_b32_e32 v7, v10
	s_waitcnt vmcnt(0)
	global_atomic_cmpswap_x2 v[6:7], v8, v[4:7], s[6:7] offset:24 glc
	s_waitcnt vmcnt(0)
	v_cmp_ne_u64_e32 vcc, v[6:7], v[9:10]
	s_and_b64 exec, exec, vcc
	s_cbranch_execz .LBB10_973
.LBB10_972:                             ; =>This Inner Loop Header: Depth=1
	s_sleep 1
	global_store_dwordx2 v[0:1], v[6:7], off
	s_waitcnt vmcnt(0)
	global_atomic_cmpswap_x2 v[9:10], v8, v[4:7], s[6:7] offset:24 glc
	s_waitcnt vmcnt(0)
	v_cmp_eq_u64_e32 vcc, v[9:10], v[6:7]
	v_mov_b32_e32 v6, v9
	s_or_b64 s[4:5], vcc, s[4:5]
	v_mov_b32_e32 v7, v10
	s_andn2_b64 exec, exec, s[4:5]
	s_cbranch_execnz .LBB10_972
.LBB10_973:
	s_or_b64 exec, exec, s[20:21]
.LBB10_974:
	v_readfirstlane_b32 s4, v32
	s_waitcnt vmcnt(0)
	v_mov_b32_e32 v0, 0
	v_mov_b32_e32 v1, 0
	v_cmp_eq_u32_e64 s[4:5], s4, v32
	s_and_saveexec_b64 s[18:19], s[4:5]
	s_cbranch_execz .LBB10_980
; %bb.975:
	v_mov_b32_e32 v4, 0
	global_load_dwordx2 v[7:8], v4, s[6:7] offset:24 glc
	s_waitcnt vmcnt(0)
	buffer_wbinvl1_vol
	global_load_dwordx2 v[0:1], v4, s[6:7] offset:40
	global_load_dwordx2 v[5:6], v4, s[6:7]
	s_waitcnt vmcnt(1)
	v_and_b32_e32 v0, v0, v7
	v_and_b32_e32 v1, v1, v8
	v_mul_lo_u32 v1, v1, 24
	v_mul_hi_u32 v9, v0, 24
	v_mul_lo_u32 v0, v0, 24
	v_add_u32_e32 v1, v9, v1
	s_waitcnt vmcnt(0)
	v_add_co_u32_e32 v0, vcc, v5, v0
	v_addc_co_u32_e32 v1, vcc, v6, v1, vcc
	global_load_dwordx2 v[5:6], v[0:1], off glc
	s_waitcnt vmcnt(0)
	global_atomic_cmpswap_x2 v[0:1], v4, v[5:8], s[6:7] offset:24 glc
	s_waitcnt vmcnt(0)
	buffer_wbinvl1_vol
	v_cmp_ne_u64_e32 vcc, v[0:1], v[7:8]
	s_and_saveexec_b64 s[20:21], vcc
	s_cbranch_execz .LBB10_979
; %bb.976:
	s_mov_b64 s[22:23], 0
.LBB10_977:                             ; =>This Inner Loop Header: Depth=1
	s_sleep 1
	global_load_dwordx2 v[5:6], v4, s[6:7] offset:40
	global_load_dwordx2 v[9:10], v4, s[6:7]
	v_mov_b32_e32 v8, v1
	v_mov_b32_e32 v7, v0
	s_waitcnt vmcnt(1)
	v_and_b32_e32 v0, v5, v7
	s_waitcnt vmcnt(0)
	v_mad_u64_u32 v[0:1], s[24:25], v0, 24, v[9:10]
	v_and_b32_e32 v5, v6, v8
	v_mad_u64_u32 v[5:6], s[24:25], v5, 24, v[1:2]
	v_mov_b32_e32 v1, v5
	global_load_dwordx2 v[5:6], v[0:1], off glc
	s_waitcnt vmcnt(0)
	global_atomic_cmpswap_x2 v[0:1], v4, v[5:8], s[6:7] offset:24 glc
	s_waitcnt vmcnt(0)
	buffer_wbinvl1_vol
	v_cmp_eq_u64_e32 vcc, v[0:1], v[7:8]
	s_or_b64 s[22:23], vcc, s[22:23]
	s_andn2_b64 exec, exec, s[22:23]
	s_cbranch_execnz .LBB10_977
; %bb.978:
	s_or_b64 exec, exec, s[22:23]
.LBB10_979:
	s_or_b64 exec, exec, s[20:21]
.LBB10_980:
	s_or_b64 exec, exec, s[18:19]
	v_mov_b32_e32 v5, 0
	global_load_dwordx2 v[10:11], v5, s[6:7] offset:40
	global_load_dwordx4 v[6:9], v5, s[6:7]
	v_readfirstlane_b32 s18, v0
	v_readfirstlane_b32 s19, v1
	s_mov_b64 s[20:21], exec
	s_waitcnt vmcnt(1)
	v_readfirstlane_b32 s22, v10
	v_readfirstlane_b32 s23, v11
	s_and_b64 s[22:23], s[18:19], s[22:23]
	s_mul_i32 s15, s23, 24
	s_mul_hi_u32 s24, s22, 24
	s_mul_i32 s25, s22, 24
	s_add_i32 s15, s24, s15
	v_mov_b32_e32 v0, s15
	s_waitcnt vmcnt(0)
	v_add_co_u32_e32 v10, vcc, s25, v6
	v_addc_co_u32_e32 v11, vcc, v7, v0, vcc
	s_and_saveexec_b64 s[24:25], s[4:5]
	s_cbranch_execz .LBB10_982
; %bb.981:
	v_mov_b32_e32 v12, s20
	v_mov_b32_e32 v13, s21
	;; [unrolled: 1-line block ×4, first 2 shown]
	global_store_dwordx4 v[10:11], v[12:15], off offset:8
.LBB10_982:
	s_or_b64 exec, exec, s[24:25]
	s_lshl_b64 s[20:21], s[22:23], 12
	v_mov_b32_e32 v0, s21
	v_add_co_u32_e32 v1, vcc, s20, v8
	v_addc_co_u32_e32 v0, vcc, v9, v0, vcc
	s_movk_i32 s15, 0xff1d
	v_and_or_b32 v2, v2, s15, 34
	s_mov_b32 s20, 0
	v_mov_b32_e32 v4, 0x47c
	v_readfirstlane_b32 s24, v1
	v_readfirstlane_b32 s25, v0
	s_mov_b32 s21, s20
	s_mov_b32 s22, s20
	;; [unrolled: 1-line block ×3, first 2 shown]
	s_nop 1
	global_store_dwordx4 v31, v[2:5], s[24:25]
	v_mov_b32_e32 v0, s20
	v_mov_b32_e32 v1, s21
	v_mov_b32_e32 v2, s22
	v_mov_b32_e32 v3, s23
	global_store_dwordx4 v31, v[0:3], s[24:25] offset:16
	global_store_dwordx4 v31, v[0:3], s[24:25] offset:32
	;; [unrolled: 1-line block ×3, first 2 shown]
	s_and_saveexec_b64 s[20:21], s[4:5]
	s_cbranch_execz .LBB10_990
; %bb.983:
	v_mov_b32_e32 v8, 0
	global_load_dwordx2 v[14:15], v8, s[6:7] offset:32 glc
	global_load_dwordx2 v[0:1], v8, s[6:7] offset:40
	v_mov_b32_e32 v12, s18
	v_mov_b32_e32 v13, s19
	s_waitcnt vmcnt(0)
	v_readfirstlane_b32 s22, v0
	v_readfirstlane_b32 s23, v1
	s_and_b64 s[22:23], s[22:23], s[18:19]
	s_mul_i32 s15, s23, 24
	s_mul_hi_u32 s23, s22, 24
	s_mul_i32 s22, s22, 24
	s_add_i32 s15, s23, s15
	v_mov_b32_e32 v0, s15
	v_add_co_u32_e32 v4, vcc, s22, v6
	v_addc_co_u32_e32 v5, vcc, v7, v0, vcc
	global_store_dwordx2 v[4:5], v[14:15], off
	s_waitcnt vmcnt(0)
	global_atomic_cmpswap_x2 v[2:3], v8, v[12:15], s[6:7] offset:32 glc
	s_waitcnt vmcnt(0)
	v_cmp_ne_u64_e32 vcc, v[2:3], v[14:15]
	s_and_saveexec_b64 s[22:23], vcc
	s_cbranch_execz .LBB10_986
; %bb.984:
	s_mov_b64 s[24:25], 0
.LBB10_985:                             ; =>This Inner Loop Header: Depth=1
	s_sleep 1
	global_store_dwordx2 v[4:5], v[2:3], off
	v_mov_b32_e32 v0, s18
	v_mov_b32_e32 v1, s19
	s_waitcnt vmcnt(0)
	global_atomic_cmpswap_x2 v[0:1], v8, v[0:3], s[6:7] offset:32 glc
	s_waitcnt vmcnt(0)
	v_cmp_eq_u64_e32 vcc, v[0:1], v[2:3]
	v_mov_b32_e32 v3, v1
	s_or_b64 s[24:25], vcc, s[24:25]
	v_mov_b32_e32 v2, v0
	s_andn2_b64 exec, exec, s[24:25]
	s_cbranch_execnz .LBB10_985
.LBB10_986:
	s_or_b64 exec, exec, s[22:23]
	v_mov_b32_e32 v3, 0
	global_load_dwordx2 v[0:1], v3, s[6:7] offset:16
	s_mov_b64 s[22:23], exec
	v_mbcnt_lo_u32_b32 v2, s22, 0
	v_mbcnt_hi_u32_b32 v2, s23, v2
	v_cmp_eq_u32_e32 vcc, 0, v2
	s_and_saveexec_b64 s[24:25], vcc
	s_cbranch_execz .LBB10_988
; %bb.987:
	s_bcnt1_i32_b64 s15, s[22:23]
	v_mov_b32_e32 v2, s15
	s_waitcnt vmcnt(0)
	global_atomic_add_x2 v[0:1], v[2:3], off offset:8
.LBB10_988:
	s_or_b64 exec, exec, s[24:25]
	s_waitcnt vmcnt(0)
	global_load_dwordx2 v[2:3], v[0:1], off offset:16
	s_waitcnt vmcnt(0)
	v_cmp_eq_u64_e32 vcc, 0, v[2:3]
	s_cbranch_vccnz .LBB10_990
; %bb.989:
	global_load_dword v0, v[0:1], off offset:24
	v_mov_b32_e32 v1, 0
	s_waitcnt vmcnt(0)
	global_store_dwordx2 v[2:3], v[0:1], off
	v_and_b32_e32 v0, 0xffffff, v0
	v_readfirstlane_b32 m0, v0
	s_sendmsg sendmsg(MSG_INTERRUPT)
.LBB10_990:
	s_or_b64 exec, exec, s[20:21]
	s_branch .LBB10_994
.LBB10_991:                             ;   in Loop: Header=BB10_994 Depth=1
	s_or_b64 exec, exec, s[20:21]
	v_readfirstlane_b32 s15, v0
	s_cmp_eq_u32 s15, 0
	s_cbranch_scc1 .LBB10_993
; %bb.992:                              ;   in Loop: Header=BB10_994 Depth=1
	s_sleep 1
	s_cbranch_execnz .LBB10_994
	s_branch .LBB10_996
.LBB10_993:
	s_branch .LBB10_996
.LBB10_994:                             ; =>This Inner Loop Header: Depth=1
	v_mov_b32_e32 v0, 1
	s_and_saveexec_b64 s[20:21], s[4:5]
	s_cbranch_execz .LBB10_991
; %bb.995:                              ;   in Loop: Header=BB10_994 Depth=1
	global_load_dword v0, v[10:11], off offset:20 glc
	s_waitcnt vmcnt(0)
	buffer_wbinvl1_vol
	v_and_b32_e32 v0, 1, v0
	s_branch .LBB10_991
.LBB10_996:
	s_and_saveexec_b64 s[20:21], s[4:5]
	s_cbranch_execz .LBB10_999
; %bb.997:
	v_mov_b32_e32 v6, 0
	global_load_dwordx2 v[2:3], v6, s[6:7] offset:40
	global_load_dwordx2 v[7:8], v6, s[6:7] offset:24 glc
	global_load_dwordx2 v[4:5], v6, s[6:7]
	v_mov_b32_e32 v1, s19
	s_mov_b64 s[4:5], 0
	s_waitcnt vmcnt(2)
	v_add_co_u32_e32 v9, vcc, 1, v2
	v_addc_co_u32_e32 v10, vcc, 0, v3, vcc
	v_add_co_u32_e32 v0, vcc, s18, v9
	v_addc_co_u32_e32 v1, vcc, v10, v1, vcc
	v_cmp_eq_u64_e32 vcc, 0, v[0:1]
	v_cndmask_b32_e32 v1, v1, v10, vcc
	v_cndmask_b32_e32 v0, v0, v9, vcc
	v_and_b32_e32 v3, v1, v3
	v_and_b32_e32 v2, v0, v2
	v_mul_lo_u32 v3, v3, 24
	v_mul_hi_u32 v9, v2, 24
	v_mul_lo_u32 v10, v2, 24
	s_waitcnt vmcnt(1)
	v_mov_b32_e32 v2, v7
	v_add_u32_e32 v3, v9, v3
	s_waitcnt vmcnt(0)
	v_add_co_u32_e32 v4, vcc, v4, v10
	v_addc_co_u32_e32 v5, vcc, v5, v3, vcc
	global_store_dwordx2 v[4:5], v[7:8], off
	v_mov_b32_e32 v3, v8
	s_waitcnt vmcnt(0)
	global_atomic_cmpswap_x2 v[2:3], v6, v[0:3], s[6:7] offset:24 glc
	s_waitcnt vmcnt(0)
	v_cmp_ne_u64_e32 vcc, v[2:3], v[7:8]
	s_and_b64 exec, exec, vcc
	s_cbranch_execz .LBB10_999
.LBB10_998:                             ; =>This Inner Loop Header: Depth=1
	s_sleep 1
	global_store_dwordx2 v[4:5], v[2:3], off
	s_waitcnt vmcnt(0)
	global_atomic_cmpswap_x2 v[7:8], v6, v[0:3], s[6:7] offset:24 glc
	s_waitcnt vmcnt(0)
	v_cmp_eq_u64_e32 vcc, v[7:8], v[2:3]
	v_mov_b32_e32 v2, v7
	s_or_b64 s[4:5], vcc, s[4:5]
	v_mov_b32_e32 v3, v8
	s_andn2_b64 exec, exec, s[4:5]
	s_cbranch_execnz .LBB10_998
.LBB10_999:
	s_or_b64 exec, exec, s[20:21]
	v_readfirstlane_b32 s4, v32
	v_mov_b32_e32 v5, 0
	v_mov_b32_e32 v6, 0
	v_cmp_eq_u32_e64 s[4:5], s4, v32
	s_and_saveexec_b64 s[18:19], s[4:5]
	s_cbranch_execz .LBB10_1005
; %bb.1000:
	v_mov_b32_e32 v0, 0
	global_load_dwordx2 v[3:4], v0, s[6:7] offset:24 glc
	s_waitcnt vmcnt(0)
	buffer_wbinvl1_vol
	global_load_dwordx2 v[1:2], v0, s[6:7] offset:40
	global_load_dwordx2 v[5:6], v0, s[6:7]
	s_waitcnt vmcnt(1)
	v_and_b32_e32 v1, v1, v3
	v_and_b32_e32 v2, v2, v4
	v_mul_lo_u32 v2, v2, 24
	v_mul_hi_u32 v7, v1, 24
	v_mul_lo_u32 v1, v1, 24
	v_add_u32_e32 v2, v7, v2
	s_waitcnt vmcnt(0)
	v_add_co_u32_e32 v1, vcc, v5, v1
	v_addc_co_u32_e32 v2, vcc, v6, v2, vcc
	global_load_dwordx2 v[1:2], v[1:2], off glc
	s_waitcnt vmcnt(0)
	global_atomic_cmpswap_x2 v[5:6], v0, v[1:4], s[6:7] offset:24 glc
	s_waitcnt vmcnt(0)
	buffer_wbinvl1_vol
	v_cmp_ne_u64_e32 vcc, v[5:6], v[3:4]
	s_and_saveexec_b64 s[20:21], vcc
	s_cbranch_execz .LBB10_1004
; %bb.1001:
	s_mov_b64 s[22:23], 0
.LBB10_1002:                            ; =>This Inner Loop Header: Depth=1
	s_sleep 1
	global_load_dwordx2 v[1:2], v0, s[6:7] offset:40
	global_load_dwordx2 v[7:8], v0, s[6:7]
	v_mov_b32_e32 v3, v5
	v_mov_b32_e32 v4, v6
	s_waitcnt vmcnt(1)
	v_and_b32_e32 v1, v1, v3
	s_waitcnt vmcnt(0)
	v_mad_u64_u32 v[5:6], s[24:25], v1, 24, v[7:8]
	v_and_b32_e32 v2, v2, v4
	v_mov_b32_e32 v1, v6
	v_mad_u64_u32 v[1:2], s[24:25], v2, 24, v[1:2]
	v_mov_b32_e32 v6, v1
	global_load_dwordx2 v[1:2], v[5:6], off glc
	s_waitcnt vmcnt(0)
	global_atomic_cmpswap_x2 v[5:6], v0, v[1:4], s[6:7] offset:24 glc
	s_waitcnt vmcnt(0)
	buffer_wbinvl1_vol
	v_cmp_eq_u64_e32 vcc, v[5:6], v[3:4]
	s_or_b64 s[22:23], vcc, s[22:23]
	s_andn2_b64 exec, exec, s[22:23]
	s_cbranch_execnz .LBB10_1002
; %bb.1003:
	s_or_b64 exec, exec, s[22:23]
.LBB10_1004:
	s_or_b64 exec, exec, s[20:21]
.LBB10_1005:
	s_or_b64 exec, exec, s[18:19]
	v_mov_b32_e32 v4, 0
	global_load_dwordx2 v[7:8], v4, s[6:7] offset:40
	global_load_dwordx4 v[0:3], v4, s[6:7]
	v_readfirstlane_b32 s18, v5
	v_readfirstlane_b32 s19, v6
	s_mov_b64 s[20:21], exec
	s_waitcnt vmcnt(1)
	v_readfirstlane_b32 s22, v7
	v_readfirstlane_b32 s23, v8
	s_and_b64 s[22:23], s[18:19], s[22:23]
	s_mul_i32 s15, s23, 24
	s_mul_hi_u32 s24, s22, 24
	s_mul_i32 s25, s22, 24
	s_add_i32 s15, s24, s15
	v_mov_b32_e32 v5, s15
	s_waitcnt vmcnt(0)
	v_add_co_u32_e32 v7, vcc, s25, v0
	v_addc_co_u32_e32 v8, vcc, v1, v5, vcc
	s_and_saveexec_b64 s[24:25], s[4:5]
	s_cbranch_execz .LBB10_1007
; %bb.1006:
	v_mov_b32_e32 v9, s20
	v_mov_b32_e32 v10, s21
	v_mov_b32_e32 v11, 2
	v_mov_b32_e32 v12, 1
	global_store_dwordx4 v[7:8], v[9:12], off offset:8
.LBB10_1007:
	s_or_b64 exec, exec, s[24:25]
	s_lshl_b64 s[20:21], s[22:23], 12
	v_mov_b32_e32 v5, s21
	v_add_co_u32_e32 v2, vcc, s20, v2
	v_addc_co_u32_e32 v11, vcc, v3, v5, vcc
	s_mov_b32 s20, 0
	v_mov_b32_e32 v3, 33
	v_mov_b32_e32 v5, v4
	;; [unrolled: 1-line block ×3, first 2 shown]
	v_readfirstlane_b32 s24, v2
	v_readfirstlane_b32 s25, v11
	v_add_co_u32_e32 v9, vcc, v2, v31
	s_mov_b32 s21, s20
	s_mov_b32 s22, s20
	;; [unrolled: 1-line block ×3, first 2 shown]
	s_nop 0
	global_store_dwordx4 v31, v[3:6], s[24:25]
	v_mov_b32_e32 v2, s20
	v_addc_co_u32_e32 v10, vcc, 0, v11, vcc
	v_mov_b32_e32 v3, s21
	v_mov_b32_e32 v4, s22
	v_mov_b32_e32 v5, s23
	global_store_dwordx4 v31, v[2:5], s[24:25] offset:16
	global_store_dwordx4 v31, v[2:5], s[24:25] offset:32
	;; [unrolled: 1-line block ×3, first 2 shown]
	s_and_saveexec_b64 s[20:21], s[4:5]
	s_cbranch_execz .LBB10_1015
; %bb.1008:
	v_mov_b32_e32 v6, 0
	global_load_dwordx2 v[13:14], v6, s[6:7] offset:32 glc
	global_load_dwordx2 v[2:3], v6, s[6:7] offset:40
	v_mov_b32_e32 v11, s18
	v_mov_b32_e32 v12, s19
	s_waitcnt vmcnt(0)
	v_readfirstlane_b32 s22, v2
	v_readfirstlane_b32 s23, v3
	s_and_b64 s[22:23], s[22:23], s[18:19]
	s_mul_i32 s15, s23, 24
	s_mul_hi_u32 s23, s22, 24
	s_mul_i32 s22, s22, 24
	s_add_i32 s15, s23, s15
	v_mov_b32_e32 v2, s15
	v_add_co_u32_e32 v4, vcc, s22, v0
	v_addc_co_u32_e32 v5, vcc, v1, v2, vcc
	global_store_dwordx2 v[4:5], v[13:14], off
	s_waitcnt vmcnt(0)
	global_atomic_cmpswap_x2 v[2:3], v6, v[11:14], s[6:7] offset:32 glc
	s_waitcnt vmcnt(0)
	v_cmp_ne_u64_e32 vcc, v[2:3], v[13:14]
	s_and_saveexec_b64 s[22:23], vcc
	s_cbranch_execz .LBB10_1011
; %bb.1009:
	s_mov_b64 s[24:25], 0
.LBB10_1010:                            ; =>This Inner Loop Header: Depth=1
	s_sleep 1
	global_store_dwordx2 v[4:5], v[2:3], off
	v_mov_b32_e32 v0, s18
	v_mov_b32_e32 v1, s19
	s_waitcnt vmcnt(0)
	global_atomic_cmpswap_x2 v[0:1], v6, v[0:3], s[6:7] offset:32 glc
	s_waitcnt vmcnt(0)
	v_cmp_eq_u64_e32 vcc, v[0:1], v[2:3]
	v_mov_b32_e32 v3, v1
	s_or_b64 s[24:25], vcc, s[24:25]
	v_mov_b32_e32 v2, v0
	s_andn2_b64 exec, exec, s[24:25]
	s_cbranch_execnz .LBB10_1010
.LBB10_1011:
	s_or_b64 exec, exec, s[22:23]
	v_mov_b32_e32 v3, 0
	global_load_dwordx2 v[0:1], v3, s[6:7] offset:16
	s_mov_b64 s[22:23], exec
	v_mbcnt_lo_u32_b32 v2, s22, 0
	v_mbcnt_hi_u32_b32 v2, s23, v2
	v_cmp_eq_u32_e32 vcc, 0, v2
	s_and_saveexec_b64 s[24:25], vcc
	s_cbranch_execz .LBB10_1013
; %bb.1012:
	s_bcnt1_i32_b64 s15, s[22:23]
	v_mov_b32_e32 v2, s15
	s_waitcnt vmcnt(0)
	global_atomic_add_x2 v[0:1], v[2:3], off offset:8
.LBB10_1013:
	s_or_b64 exec, exec, s[24:25]
	s_waitcnt vmcnt(0)
	global_load_dwordx2 v[2:3], v[0:1], off offset:16
	s_waitcnt vmcnt(0)
	v_cmp_eq_u64_e32 vcc, 0, v[2:3]
	s_cbranch_vccnz .LBB10_1015
; %bb.1014:
	global_load_dword v0, v[0:1], off offset:24
	v_mov_b32_e32 v1, 0
	s_waitcnt vmcnt(0)
	global_store_dwordx2 v[2:3], v[0:1], off
	v_and_b32_e32 v0, 0xffffff, v0
	v_readfirstlane_b32 m0, v0
	s_sendmsg sendmsg(MSG_INTERRUPT)
.LBB10_1015:
	s_or_b64 exec, exec, s[20:21]
	s_branch .LBB10_1019
.LBB10_1016:                            ;   in Loop: Header=BB10_1019 Depth=1
	s_or_b64 exec, exec, s[20:21]
	v_readfirstlane_b32 s15, v0
	s_cmp_eq_u32 s15, 0
	s_cbranch_scc1 .LBB10_1018
; %bb.1017:                             ;   in Loop: Header=BB10_1019 Depth=1
	s_sleep 1
	s_cbranch_execnz .LBB10_1019
	s_branch .LBB10_1021
.LBB10_1018:
	s_branch .LBB10_1021
.LBB10_1019:                            ; =>This Inner Loop Header: Depth=1
	v_mov_b32_e32 v0, 1
	s_and_saveexec_b64 s[20:21], s[4:5]
	s_cbranch_execz .LBB10_1016
; %bb.1020:                             ;   in Loop: Header=BB10_1019 Depth=1
	global_load_dword v0, v[7:8], off offset:20 glc
	s_waitcnt vmcnt(0)
	buffer_wbinvl1_vol
	v_and_b32_e32 v0, 1, v0
	s_branch .LBB10_1016
.LBB10_1021:
	global_load_dwordx2 v[0:1], v[9:10], off
	s_and_saveexec_b64 s[20:21], s[4:5]
	s_cbranch_execz .LBB10_1024
; %bb.1022:
	v_mov_b32_e32 v8, 0
	global_load_dwordx2 v[4:5], v8, s[6:7] offset:40
	global_load_dwordx2 v[9:10], v8, s[6:7] offset:24 glc
	global_load_dwordx2 v[6:7], v8, s[6:7]
	v_mov_b32_e32 v3, s19
	s_mov_b64 s[4:5], 0
	s_waitcnt vmcnt(2)
	v_add_co_u32_e32 v11, vcc, 1, v4
	v_addc_co_u32_e32 v12, vcc, 0, v5, vcc
	v_add_co_u32_e32 v2, vcc, s18, v11
	v_addc_co_u32_e32 v3, vcc, v12, v3, vcc
	v_cmp_eq_u64_e32 vcc, 0, v[2:3]
	v_cndmask_b32_e32 v3, v3, v12, vcc
	v_cndmask_b32_e32 v2, v2, v11, vcc
	v_and_b32_e32 v5, v3, v5
	v_and_b32_e32 v4, v2, v4
	v_mul_lo_u32 v5, v5, 24
	v_mul_hi_u32 v11, v4, 24
	v_mul_lo_u32 v12, v4, 24
	s_waitcnt vmcnt(1)
	v_mov_b32_e32 v4, v9
	v_add_u32_e32 v5, v11, v5
	s_waitcnt vmcnt(0)
	v_add_co_u32_e32 v6, vcc, v6, v12
	v_addc_co_u32_e32 v7, vcc, v7, v5, vcc
	global_store_dwordx2 v[6:7], v[9:10], off
	v_mov_b32_e32 v5, v10
	s_waitcnt vmcnt(0)
	global_atomic_cmpswap_x2 v[4:5], v8, v[2:5], s[6:7] offset:24 glc
	s_waitcnt vmcnt(0)
	v_cmp_ne_u64_e32 vcc, v[4:5], v[9:10]
	s_and_b64 exec, exec, vcc
	s_cbranch_execz .LBB10_1024
.LBB10_1023:                            ; =>This Inner Loop Header: Depth=1
	s_sleep 1
	global_store_dwordx2 v[6:7], v[4:5], off
	s_waitcnt vmcnt(0)
	global_atomic_cmpswap_x2 v[9:10], v8, v[2:5], s[6:7] offset:24 glc
	s_waitcnt vmcnt(0)
	v_cmp_eq_u64_e32 vcc, v[9:10], v[4:5]
	v_mov_b32_e32 v4, v9
	s_or_b64 s[4:5], vcc, s[4:5]
	v_mov_b32_e32 v5, v10
	s_andn2_b64 exec, exec, s[4:5]
	s_cbranch_execnz .LBB10_1023
.LBB10_1024:
	s_or_b64 exec, exec, s[20:21]
	s_and_b64 vcc, exec, s[16:17]
	s_cbranch_vccz .LBB10_1109
; %bb.1025:
	s_waitcnt vmcnt(0)
	v_and_b32_e32 v33, 2, v0
	v_mov_b32_e32 v28, 0
	v_and_b32_e32 v2, -3, v0
	v_mov_b32_e32 v3, v1
	s_mov_b64 s[20:21], 3
	v_mov_b32_e32 v6, 2
	v_mov_b32_e32 v7, 1
	s_getpc_b64 s[18:19]
	s_add_u32 s18, s18, .str.6@rel32@lo+4
	s_addc_u32 s19, s19, .str.6@rel32@hi+12
	s_branch .LBB10_1027
.LBB10_1026:                            ;   in Loop: Header=BB10_1027 Depth=1
	s_or_b64 exec, exec, s[26:27]
	s_sub_u32 s20, s20, s22
	s_subb_u32 s21, s21, s23
	s_add_u32 s18, s18, s22
	s_addc_u32 s19, s19, s23
	s_cmp_lg_u64 s[20:21], 0
	s_cbranch_scc0 .LBB10_1108
.LBB10_1027:                            ; =>This Loop Header: Depth=1
                                        ;     Child Loop BB10_1030 Depth 2
                                        ;     Child Loop BB10_1037 Depth 2
	;; [unrolled: 1-line block ×11, first 2 shown]
	v_cmp_lt_u64_e64 s[4:5], s[20:21], 56
	v_cmp_gt_u64_e64 s[24:25], s[20:21], 7
	s_and_b64 s[4:5], s[4:5], exec
	s_cselect_b32 s23, s21, 0
	s_cselect_b32 s22, s20, 56
	s_and_b64 vcc, exec, s[24:25]
	s_cbranch_vccnz .LBB10_1032
; %bb.1028:                             ;   in Loop: Header=BB10_1027 Depth=1
	v_mov_b32_e32 v10, 0
	s_cmp_eq_u64 s[20:21], 0
	v_mov_b32_e32 v11, 0
	s_mov_b64 s[4:5], 0
	s_cbranch_scc1 .LBB10_1031
; %bb.1029:                             ;   in Loop: Header=BB10_1027 Depth=1
	v_mov_b32_e32 v10, 0
	s_lshl_b64 s[24:25], s[22:23], 3
	s_mov_b64 s[26:27], 0
	v_mov_b32_e32 v11, 0
	s_mov_b64 s[28:29], s[18:19]
.LBB10_1030:                            ;   Parent Loop BB10_1027 Depth=1
                                        ; =>  This Inner Loop Header: Depth=2
	global_load_ubyte v4, v28, s[28:29]
	s_waitcnt vmcnt(0)
	v_and_b32_e32 v27, 0xffff, v4
	v_lshlrev_b64 v[4:5], s26, v[27:28]
	s_add_u32 s26, s26, 8
	s_addc_u32 s27, s27, 0
	s_add_u32 s28, s28, 1
	s_addc_u32 s29, s29, 0
	v_or_b32_e32 v10, v4, v10
	s_cmp_lg_u32 s24, s26
	v_or_b32_e32 v11, v5, v11
	s_cbranch_scc1 .LBB10_1030
.LBB10_1031:                            ;   in Loop: Header=BB10_1027 Depth=1
	s_mov_b32 s15, 0
	s_andn2_b64 vcc, exec, s[4:5]
	s_mov_b64 s[4:5], s[18:19]
	s_cbranch_vccz .LBB10_1033
	s_branch .LBB10_1034
.LBB10_1032:                            ;   in Loop: Header=BB10_1027 Depth=1
                                        ; implicit-def: $vgpr10_vgpr11
                                        ; implicit-def: $sgpr15
	s_mov_b64 s[4:5], s[18:19]
.LBB10_1033:                            ;   in Loop: Header=BB10_1027 Depth=1
	global_load_dwordx2 v[10:11], v28, s[18:19]
	s_add_i32 s15, s22, -8
	s_add_u32 s4, s18, 8
	s_addc_u32 s5, s19, 0
.LBB10_1034:                            ;   in Loop: Header=BB10_1027 Depth=1
	s_cmp_gt_u32 s15, 7
	s_cbranch_scc1 .LBB10_1038
; %bb.1035:                             ;   in Loop: Header=BB10_1027 Depth=1
	s_cmp_eq_u32 s15, 0
	s_cbranch_scc1 .LBB10_1039
; %bb.1036:                             ;   in Loop: Header=BB10_1027 Depth=1
	v_mov_b32_e32 v12, 0
	s_mov_b64 s[24:25], 0
	v_mov_b32_e32 v13, 0
	s_mov_b64 s[26:27], 0
.LBB10_1037:                            ;   Parent Loop BB10_1027 Depth=1
                                        ; =>  This Inner Loop Header: Depth=2
	s_add_u32 s28, s4, s26
	s_addc_u32 s29, s5, s27
	global_load_ubyte v4, v28, s[28:29]
	s_add_u32 s26, s26, 1
	s_addc_u32 s27, s27, 0
	s_waitcnt vmcnt(0)
	v_and_b32_e32 v27, 0xffff, v4
	v_lshlrev_b64 v[4:5], s24, v[27:28]
	s_add_u32 s24, s24, 8
	s_addc_u32 s25, s25, 0
	v_or_b32_e32 v12, v4, v12
	s_cmp_lg_u32 s15, s26
	v_or_b32_e32 v13, v5, v13
	s_cbranch_scc1 .LBB10_1037
	s_branch .LBB10_1040
.LBB10_1038:                            ;   in Loop: Header=BB10_1027 Depth=1
                                        ; implicit-def: $vgpr12_vgpr13
                                        ; implicit-def: $sgpr28
	s_branch .LBB10_1041
.LBB10_1039:                            ;   in Loop: Header=BB10_1027 Depth=1
	v_mov_b32_e32 v12, 0
	v_mov_b32_e32 v13, 0
.LBB10_1040:                            ;   in Loop: Header=BB10_1027 Depth=1
	s_mov_b32 s28, 0
	s_cbranch_execnz .LBB10_1042
.LBB10_1041:                            ;   in Loop: Header=BB10_1027 Depth=1
	global_load_dwordx2 v[12:13], v28, s[4:5]
	s_add_i32 s28, s15, -8
	s_add_u32 s4, s4, 8
	s_addc_u32 s5, s5, 0
.LBB10_1042:                            ;   in Loop: Header=BB10_1027 Depth=1
	s_cmp_gt_u32 s28, 7
	s_cbranch_scc1 .LBB10_1046
; %bb.1043:                             ;   in Loop: Header=BB10_1027 Depth=1
	s_cmp_eq_u32 s28, 0
	s_cbranch_scc1 .LBB10_1047
; %bb.1044:                             ;   in Loop: Header=BB10_1027 Depth=1
	v_mov_b32_e32 v14, 0
	s_mov_b64 s[24:25], 0
	v_mov_b32_e32 v15, 0
	s_mov_b64 s[26:27], 0
.LBB10_1045:                            ;   Parent Loop BB10_1027 Depth=1
                                        ; =>  This Inner Loop Header: Depth=2
	s_add_u32 vcc_lo, s4, s26
	s_addc_u32 vcc_hi, s5, s27
	global_load_ubyte v4, v28, vcc
	s_add_u32 s26, s26, 1
	s_addc_u32 s27, s27, 0
	s_waitcnt vmcnt(0)
	v_and_b32_e32 v27, 0xffff, v4
	v_lshlrev_b64 v[4:5], s24, v[27:28]
	s_add_u32 s24, s24, 8
	s_addc_u32 s25, s25, 0
	v_or_b32_e32 v14, v4, v14
	s_cmp_lg_u32 s28, s26
	v_or_b32_e32 v15, v5, v15
	s_cbranch_scc1 .LBB10_1045
	s_branch .LBB10_1048
.LBB10_1046:                            ;   in Loop: Header=BB10_1027 Depth=1
                                        ; implicit-def: $sgpr15
	s_branch .LBB10_1049
.LBB10_1047:                            ;   in Loop: Header=BB10_1027 Depth=1
	v_mov_b32_e32 v14, 0
	v_mov_b32_e32 v15, 0
.LBB10_1048:                            ;   in Loop: Header=BB10_1027 Depth=1
	s_mov_b32 s15, 0
	s_cbranch_execnz .LBB10_1050
.LBB10_1049:                            ;   in Loop: Header=BB10_1027 Depth=1
	global_load_dwordx2 v[14:15], v28, s[4:5]
	s_add_i32 s15, s28, -8
	s_add_u32 s4, s4, 8
	s_addc_u32 s5, s5, 0
.LBB10_1050:                            ;   in Loop: Header=BB10_1027 Depth=1
	s_cmp_gt_u32 s15, 7
	s_cbranch_scc1 .LBB10_1054
; %bb.1051:                             ;   in Loop: Header=BB10_1027 Depth=1
	s_cmp_eq_u32 s15, 0
	s_cbranch_scc1 .LBB10_1055
; %bb.1052:                             ;   in Loop: Header=BB10_1027 Depth=1
	v_mov_b32_e32 v16, 0
	s_mov_b64 s[24:25], 0
	v_mov_b32_e32 v17, 0
	s_mov_b64 s[26:27], 0
.LBB10_1053:                            ;   Parent Loop BB10_1027 Depth=1
                                        ; =>  This Inner Loop Header: Depth=2
	s_add_u32 s28, s4, s26
	s_addc_u32 s29, s5, s27
	global_load_ubyte v4, v28, s[28:29]
	s_add_u32 s26, s26, 1
	s_addc_u32 s27, s27, 0
	s_waitcnt vmcnt(0)
	v_and_b32_e32 v27, 0xffff, v4
	v_lshlrev_b64 v[4:5], s24, v[27:28]
	s_add_u32 s24, s24, 8
	s_addc_u32 s25, s25, 0
	v_or_b32_e32 v16, v4, v16
	s_cmp_lg_u32 s15, s26
	v_or_b32_e32 v17, v5, v17
	s_cbranch_scc1 .LBB10_1053
	s_branch .LBB10_1056
.LBB10_1054:                            ;   in Loop: Header=BB10_1027 Depth=1
                                        ; implicit-def: $vgpr16_vgpr17
                                        ; implicit-def: $sgpr28
	s_branch .LBB10_1057
.LBB10_1055:                            ;   in Loop: Header=BB10_1027 Depth=1
	v_mov_b32_e32 v16, 0
	v_mov_b32_e32 v17, 0
.LBB10_1056:                            ;   in Loop: Header=BB10_1027 Depth=1
	s_mov_b32 s28, 0
	s_cbranch_execnz .LBB10_1058
.LBB10_1057:                            ;   in Loop: Header=BB10_1027 Depth=1
	global_load_dwordx2 v[16:17], v28, s[4:5]
	s_add_i32 s28, s15, -8
	s_add_u32 s4, s4, 8
	s_addc_u32 s5, s5, 0
.LBB10_1058:                            ;   in Loop: Header=BB10_1027 Depth=1
	s_cmp_gt_u32 s28, 7
	s_cbranch_scc1 .LBB10_1062
; %bb.1059:                             ;   in Loop: Header=BB10_1027 Depth=1
	s_cmp_eq_u32 s28, 0
	s_cbranch_scc1 .LBB10_1063
; %bb.1060:                             ;   in Loop: Header=BB10_1027 Depth=1
	v_mov_b32_e32 v18, 0
	s_mov_b64 s[24:25], 0
	v_mov_b32_e32 v19, 0
	s_mov_b64 s[26:27], 0
.LBB10_1061:                            ;   Parent Loop BB10_1027 Depth=1
                                        ; =>  This Inner Loop Header: Depth=2
	s_add_u32 vcc_lo, s4, s26
	s_addc_u32 vcc_hi, s5, s27
	global_load_ubyte v4, v28, vcc
	s_add_u32 s26, s26, 1
	s_addc_u32 s27, s27, 0
	s_waitcnt vmcnt(0)
	v_and_b32_e32 v27, 0xffff, v4
	v_lshlrev_b64 v[4:5], s24, v[27:28]
	s_add_u32 s24, s24, 8
	s_addc_u32 s25, s25, 0
	v_or_b32_e32 v18, v4, v18
	s_cmp_lg_u32 s28, s26
	v_or_b32_e32 v19, v5, v19
	s_cbranch_scc1 .LBB10_1061
	s_branch .LBB10_1064
.LBB10_1062:                            ;   in Loop: Header=BB10_1027 Depth=1
                                        ; implicit-def: $sgpr15
	s_branch .LBB10_1065
.LBB10_1063:                            ;   in Loop: Header=BB10_1027 Depth=1
	v_mov_b32_e32 v18, 0
	v_mov_b32_e32 v19, 0
.LBB10_1064:                            ;   in Loop: Header=BB10_1027 Depth=1
	s_mov_b32 s15, 0
	s_cbranch_execnz .LBB10_1066
.LBB10_1065:                            ;   in Loop: Header=BB10_1027 Depth=1
	global_load_dwordx2 v[18:19], v28, s[4:5]
	s_add_i32 s15, s28, -8
	s_add_u32 s4, s4, 8
	s_addc_u32 s5, s5, 0
.LBB10_1066:                            ;   in Loop: Header=BB10_1027 Depth=1
	s_cmp_gt_u32 s15, 7
	s_cbranch_scc1 .LBB10_1070
; %bb.1067:                             ;   in Loop: Header=BB10_1027 Depth=1
	s_cmp_eq_u32 s15, 0
	s_cbranch_scc1 .LBB10_1071
; %bb.1068:                             ;   in Loop: Header=BB10_1027 Depth=1
	v_mov_b32_e32 v20, 0
	s_mov_b64 s[24:25], 0
	v_mov_b32_e32 v21, 0
	s_mov_b64 s[26:27], 0
.LBB10_1069:                            ;   Parent Loop BB10_1027 Depth=1
                                        ; =>  This Inner Loop Header: Depth=2
	s_add_u32 s28, s4, s26
	s_addc_u32 s29, s5, s27
	global_load_ubyte v4, v28, s[28:29]
	s_add_u32 s26, s26, 1
	s_addc_u32 s27, s27, 0
	s_waitcnt vmcnt(0)
	v_and_b32_e32 v27, 0xffff, v4
	v_lshlrev_b64 v[4:5], s24, v[27:28]
	s_add_u32 s24, s24, 8
	s_addc_u32 s25, s25, 0
	v_or_b32_e32 v20, v4, v20
	s_cmp_lg_u32 s15, s26
	v_or_b32_e32 v21, v5, v21
	s_cbranch_scc1 .LBB10_1069
	s_branch .LBB10_1072
.LBB10_1070:                            ;   in Loop: Header=BB10_1027 Depth=1
                                        ; implicit-def: $vgpr20_vgpr21
                                        ; implicit-def: $sgpr28
	s_branch .LBB10_1073
.LBB10_1071:                            ;   in Loop: Header=BB10_1027 Depth=1
	v_mov_b32_e32 v20, 0
	v_mov_b32_e32 v21, 0
.LBB10_1072:                            ;   in Loop: Header=BB10_1027 Depth=1
	s_mov_b32 s28, 0
	s_cbranch_execnz .LBB10_1074
.LBB10_1073:                            ;   in Loop: Header=BB10_1027 Depth=1
	global_load_dwordx2 v[20:21], v28, s[4:5]
	s_add_i32 s28, s15, -8
	s_add_u32 s4, s4, 8
	s_addc_u32 s5, s5, 0
.LBB10_1074:                            ;   in Loop: Header=BB10_1027 Depth=1
	s_cmp_gt_u32 s28, 7
	s_cbranch_scc1 .LBB10_1078
; %bb.1075:                             ;   in Loop: Header=BB10_1027 Depth=1
	s_cmp_eq_u32 s28, 0
	s_cbranch_scc1 .LBB10_1079
; %bb.1076:                             ;   in Loop: Header=BB10_1027 Depth=1
	v_mov_b32_e32 v22, 0
	s_mov_b64 s[24:25], 0
	v_mov_b32_e32 v23, 0
	s_mov_b64 s[26:27], s[4:5]
.LBB10_1077:                            ;   Parent Loop BB10_1027 Depth=1
                                        ; =>  This Inner Loop Header: Depth=2
	global_load_ubyte v4, v28, s[26:27]
	s_add_i32 s28, s28, -1
	s_waitcnt vmcnt(0)
	v_and_b32_e32 v27, 0xffff, v4
	v_lshlrev_b64 v[4:5], s24, v[27:28]
	s_add_u32 s24, s24, 8
	s_addc_u32 s25, s25, 0
	s_add_u32 s26, s26, 1
	s_addc_u32 s27, s27, 0
	v_or_b32_e32 v22, v4, v22
	s_cmp_lg_u32 s28, 0
	v_or_b32_e32 v23, v5, v23
	s_cbranch_scc1 .LBB10_1077
	s_branch .LBB10_1080
.LBB10_1078:                            ;   in Loop: Header=BB10_1027 Depth=1
	s_branch .LBB10_1081
.LBB10_1079:                            ;   in Loop: Header=BB10_1027 Depth=1
	v_mov_b32_e32 v22, 0
	v_mov_b32_e32 v23, 0
.LBB10_1080:                            ;   in Loop: Header=BB10_1027 Depth=1
	s_cbranch_execnz .LBB10_1082
.LBB10_1081:                            ;   in Loop: Header=BB10_1027 Depth=1
	global_load_dwordx2 v[22:23], v28, s[4:5]
.LBB10_1082:                            ;   in Loop: Header=BB10_1027 Depth=1
	v_readfirstlane_b32 s4, v32
	s_waitcnt vmcnt(0)
	v_mov_b32_e32 v4, 0
	v_mov_b32_e32 v5, 0
	v_cmp_eq_u32_e64 s[4:5], s4, v32
	s_and_saveexec_b64 s[24:25], s[4:5]
	s_cbranch_execz .LBB10_1088
; %bb.1083:                             ;   in Loop: Header=BB10_1027 Depth=1
	global_load_dwordx2 v[26:27], v28, s[6:7] offset:24 glc
	s_waitcnt vmcnt(0)
	buffer_wbinvl1_vol
	global_load_dwordx2 v[4:5], v28, s[6:7] offset:40
	global_load_dwordx2 v[8:9], v28, s[6:7]
	s_waitcnt vmcnt(1)
	v_and_b32_e32 v4, v4, v26
	v_and_b32_e32 v5, v5, v27
	v_mul_lo_u32 v5, v5, 24
	v_mul_hi_u32 v24, v4, 24
	v_mul_lo_u32 v4, v4, 24
	v_add_u32_e32 v5, v24, v5
	s_waitcnt vmcnt(0)
	v_add_co_u32_e32 v4, vcc, v8, v4
	v_addc_co_u32_e32 v5, vcc, v9, v5, vcc
	global_load_dwordx2 v[24:25], v[4:5], off glc
	s_waitcnt vmcnt(0)
	global_atomic_cmpswap_x2 v[4:5], v28, v[24:27], s[6:7] offset:24 glc
	s_waitcnt vmcnt(0)
	buffer_wbinvl1_vol
	v_cmp_ne_u64_e32 vcc, v[4:5], v[26:27]
	s_and_saveexec_b64 s[26:27], vcc
	s_cbranch_execz .LBB10_1087
; %bb.1084:                             ;   in Loop: Header=BB10_1027 Depth=1
	s_mov_b64 s[28:29], 0
.LBB10_1085:                            ;   Parent Loop BB10_1027 Depth=1
                                        ; =>  This Inner Loop Header: Depth=2
	s_sleep 1
	global_load_dwordx2 v[8:9], v28, s[6:7] offset:40
	global_load_dwordx2 v[24:25], v28, s[6:7]
	v_mov_b32_e32 v27, v5
	v_mov_b32_e32 v26, v4
	s_waitcnt vmcnt(1)
	v_and_b32_e32 v4, v8, v26
	s_waitcnt vmcnt(0)
	v_mad_u64_u32 v[4:5], vcc, v4, 24, v[24:25]
	v_and_b32_e32 v8, v9, v27
	v_mad_u64_u32 v[8:9], vcc, v8, 24, v[5:6]
	v_mov_b32_e32 v5, v8
	global_load_dwordx2 v[24:25], v[4:5], off glc
	s_waitcnt vmcnt(0)
	global_atomic_cmpswap_x2 v[4:5], v28, v[24:27], s[6:7] offset:24 glc
	s_waitcnt vmcnt(0)
	buffer_wbinvl1_vol
	v_cmp_eq_u64_e32 vcc, v[4:5], v[26:27]
	s_or_b64 s[28:29], vcc, s[28:29]
	s_andn2_b64 exec, exec, s[28:29]
	s_cbranch_execnz .LBB10_1085
; %bb.1086:                             ;   in Loop: Header=BB10_1027 Depth=1
	s_or_b64 exec, exec, s[28:29]
.LBB10_1087:                            ;   in Loop: Header=BB10_1027 Depth=1
	s_or_b64 exec, exec, s[26:27]
.LBB10_1088:                            ;   in Loop: Header=BB10_1027 Depth=1
	s_or_b64 exec, exec, s[24:25]
	global_load_dwordx2 v[8:9], v28, s[6:7] offset:40
	global_load_dwordx4 v[24:27], v28, s[6:7]
	v_readfirstlane_b32 s24, v4
	v_readfirstlane_b32 s25, v5
	s_mov_b64 s[26:27], exec
	s_waitcnt vmcnt(1)
	v_readfirstlane_b32 s28, v8
	v_readfirstlane_b32 s29, v9
	s_and_b64 s[28:29], s[24:25], s[28:29]
	s_mul_i32 s15, s29, 24
	s_mul_hi_u32 vcc_lo, s28, 24
	s_mul_i32 vcc_hi, s28, 24
	s_add_i32 s15, vcc_lo, s15
	v_mov_b32_e32 v4, s15
	s_waitcnt vmcnt(0)
	v_add_co_u32_e32 v29, vcc, vcc_hi, v24
	v_addc_co_u32_e32 v30, vcc, v25, v4, vcc
	s_and_saveexec_b64 vcc, s[4:5]
	s_cbranch_execz .LBB10_1090
; %bb.1089:                             ;   in Loop: Header=BB10_1027 Depth=1
	v_mov_b32_e32 v4, s26
	v_mov_b32_e32 v5, s27
	global_store_dwordx4 v[29:30], v[4:7], off offset:8
.LBB10_1090:                            ;   in Loop: Header=BB10_1027 Depth=1
	s_or_b64 exec, exec, vcc
	s_lshl_b64 s[26:27], s[28:29], 12
	v_mov_b32_e32 v4, s27
	v_add_co_u32_e32 v26, vcc, s26, v26
	v_addc_co_u32_e32 v34, vcc, v27, v4, vcc
	v_cmp_gt_u64_e64 vcc, s[20:21], 56
	v_or_b32_e32 v5, v2, v33
	s_lshl_b32 s15, s22, 2
	v_cndmask_b32_e32 v2, v5, v2, vcc
	s_add_i32 s15, s15, 28
	v_or_b32_e32 v4, 0, v3
	s_and_b32 s15, s15, 0x1e0
	v_and_b32_e32 v2, 0xffffff1f, v2
	v_cndmask_b32_e32 v9, v4, v3, vcc
	v_or_b32_e32 v8, s15, v2
	v_readfirstlane_b32 s26, v26
	v_readfirstlane_b32 s27, v34
	s_nop 4
	global_store_dwordx4 v31, v[8:11], s[26:27]
	global_store_dwordx4 v31, v[12:15], s[26:27] offset:16
	global_store_dwordx4 v31, v[16:19], s[26:27] offset:32
	;; [unrolled: 1-line block ×3, first 2 shown]
	s_and_saveexec_b64 s[26:27], s[4:5]
	s_cbranch_execz .LBB10_1098
; %bb.1091:                             ;   in Loop: Header=BB10_1027 Depth=1
	global_load_dwordx2 v[12:13], v28, s[6:7] offset:32 glc
	global_load_dwordx2 v[2:3], v28, s[6:7] offset:40
	v_mov_b32_e32 v10, s24
	v_mov_b32_e32 v11, s25
	s_waitcnt vmcnt(0)
	v_readfirstlane_b32 s28, v2
	v_readfirstlane_b32 s29, v3
	s_and_b64 s[28:29], s[28:29], s[24:25]
	s_mul_i32 s15, s29, 24
	s_mul_hi_u32 s29, s28, 24
	s_mul_i32 s28, s28, 24
	s_add_i32 s15, s29, s15
	v_mov_b32_e32 v2, s15
	v_add_co_u32_e32 v8, vcc, s28, v24
	v_addc_co_u32_e32 v9, vcc, v25, v2, vcc
	global_store_dwordx2 v[8:9], v[12:13], off
	s_waitcnt vmcnt(0)
	global_atomic_cmpswap_x2 v[4:5], v28, v[10:13], s[6:7] offset:32 glc
	s_waitcnt vmcnt(0)
	v_cmp_ne_u64_e32 vcc, v[4:5], v[12:13]
	s_and_saveexec_b64 s[28:29], vcc
	s_cbranch_execz .LBB10_1094
; %bb.1092:                             ;   in Loop: Header=BB10_1027 Depth=1
	s_mov_b64 s[30:31], 0
.LBB10_1093:                            ;   Parent Loop BB10_1027 Depth=1
                                        ; =>  This Inner Loop Header: Depth=2
	s_sleep 1
	global_store_dwordx2 v[8:9], v[4:5], off
	v_mov_b32_e32 v2, s24
	v_mov_b32_e32 v3, s25
	s_waitcnt vmcnt(0)
	global_atomic_cmpswap_x2 v[2:3], v28, v[2:5], s[6:7] offset:32 glc
	s_waitcnt vmcnt(0)
	v_cmp_eq_u64_e32 vcc, v[2:3], v[4:5]
	v_mov_b32_e32 v5, v3
	s_or_b64 s[30:31], vcc, s[30:31]
	v_mov_b32_e32 v4, v2
	s_andn2_b64 exec, exec, s[30:31]
	s_cbranch_execnz .LBB10_1093
.LBB10_1094:                            ;   in Loop: Header=BB10_1027 Depth=1
	s_or_b64 exec, exec, s[28:29]
	global_load_dwordx2 v[2:3], v28, s[6:7] offset:16
	s_mov_b64 s[30:31], exec
	v_mbcnt_lo_u32_b32 v4, s30, 0
	v_mbcnt_hi_u32_b32 v4, s31, v4
	v_cmp_eq_u32_e32 vcc, 0, v4
	s_and_saveexec_b64 s[28:29], vcc
	s_cbranch_execz .LBB10_1096
; %bb.1095:                             ;   in Loop: Header=BB10_1027 Depth=1
	s_bcnt1_i32_b64 s15, s[30:31]
	v_mov_b32_e32 v27, s15
	s_waitcnt vmcnt(0)
	global_atomic_add_x2 v[2:3], v[27:28], off offset:8
.LBB10_1096:                            ;   in Loop: Header=BB10_1027 Depth=1
	s_or_b64 exec, exec, s[28:29]
	s_waitcnt vmcnt(0)
	global_load_dwordx2 v[4:5], v[2:3], off offset:16
	s_waitcnt vmcnt(0)
	v_cmp_eq_u64_e32 vcc, 0, v[4:5]
	s_cbranch_vccnz .LBB10_1098
; %bb.1097:                             ;   in Loop: Header=BB10_1027 Depth=1
	global_load_dword v27, v[2:3], off offset:24
	s_waitcnt vmcnt(0)
	v_and_b32_e32 v2, 0xffffff, v27
	v_readfirstlane_b32 m0, v2
	global_store_dwordx2 v[4:5], v[27:28], off
	s_sendmsg sendmsg(MSG_INTERRUPT)
.LBB10_1098:                            ;   in Loop: Header=BB10_1027 Depth=1
	s_or_b64 exec, exec, s[26:27]
	v_add_co_u32_e32 v2, vcc, v26, v31
	v_addc_co_u32_e32 v3, vcc, 0, v34, vcc
	s_branch .LBB10_1102
.LBB10_1099:                            ;   in Loop: Header=BB10_1102 Depth=2
	s_or_b64 exec, exec, s[26:27]
	v_readfirstlane_b32 s15, v4
	s_cmp_eq_u32 s15, 0
	s_cbranch_scc1 .LBB10_1101
; %bb.1100:                             ;   in Loop: Header=BB10_1102 Depth=2
	s_sleep 1
	s_cbranch_execnz .LBB10_1102
	s_branch .LBB10_1104
.LBB10_1101:                            ;   in Loop: Header=BB10_1027 Depth=1
	s_branch .LBB10_1104
.LBB10_1102:                            ;   Parent Loop BB10_1027 Depth=1
                                        ; =>  This Inner Loop Header: Depth=2
	v_mov_b32_e32 v4, 1
	s_and_saveexec_b64 s[26:27], s[4:5]
	s_cbranch_execz .LBB10_1099
; %bb.1103:                             ;   in Loop: Header=BB10_1102 Depth=2
	global_load_dword v4, v[29:30], off offset:20 glc
	s_waitcnt vmcnt(0)
	buffer_wbinvl1_vol
	v_and_b32_e32 v4, 1, v4
	s_branch .LBB10_1099
.LBB10_1104:                            ;   in Loop: Header=BB10_1027 Depth=1
	global_load_dwordx4 v[2:5], v[2:3], off
	s_and_saveexec_b64 s[26:27], s[4:5]
	s_cbranch_execz .LBB10_1026
; %bb.1105:                             ;   in Loop: Header=BB10_1027 Depth=1
	global_load_dwordx2 v[4:5], v28, s[6:7] offset:40
	global_load_dwordx2 v[12:13], v28, s[6:7] offset:24 glc
	global_load_dwordx2 v[14:15], v28, s[6:7]
	v_mov_b32_e32 v9, s25
	s_waitcnt vmcnt(2)
	v_add_co_u32_e32 v10, vcc, 1, v4
	v_addc_co_u32_e32 v11, vcc, 0, v5, vcc
	v_add_co_u32_e32 v8, vcc, s24, v10
	v_addc_co_u32_e32 v9, vcc, v11, v9, vcc
	v_cmp_eq_u64_e32 vcc, 0, v[8:9]
	v_cndmask_b32_e32 v9, v9, v11, vcc
	v_cndmask_b32_e32 v8, v8, v10, vcc
	v_and_b32_e32 v5, v9, v5
	v_and_b32_e32 v4, v8, v4
	v_mul_lo_u32 v5, v5, 24
	v_mul_hi_u32 v11, v4, 24
	v_mul_lo_u32 v4, v4, 24
	s_waitcnt vmcnt(1)
	v_mov_b32_e32 v10, v12
	v_add_u32_e32 v5, v11, v5
	s_waitcnt vmcnt(0)
	v_add_co_u32_e32 v4, vcc, v14, v4
	v_addc_co_u32_e32 v5, vcc, v15, v5, vcc
	global_store_dwordx2 v[4:5], v[12:13], off
	v_mov_b32_e32 v11, v13
	s_waitcnt vmcnt(0)
	global_atomic_cmpswap_x2 v[10:11], v28, v[8:11], s[6:7] offset:24 glc
	s_waitcnt vmcnt(0)
	v_cmp_ne_u64_e32 vcc, v[10:11], v[12:13]
	s_and_b64 exec, exec, vcc
	s_cbranch_execz .LBB10_1026
; %bb.1106:                             ;   in Loop: Header=BB10_1027 Depth=1
	s_mov_b64 s[4:5], 0
.LBB10_1107:                            ;   Parent Loop BB10_1027 Depth=1
                                        ; =>  This Inner Loop Header: Depth=2
	s_sleep 1
	global_store_dwordx2 v[4:5], v[10:11], off
	s_waitcnt vmcnt(0)
	global_atomic_cmpswap_x2 v[12:13], v28, v[8:11], s[6:7] offset:24 glc
	s_waitcnt vmcnt(0)
	v_cmp_eq_u64_e32 vcc, v[12:13], v[10:11]
	v_mov_b32_e32 v10, v12
	s_or_b64 s[4:5], vcc, s[4:5]
	v_mov_b32_e32 v11, v13
	s_andn2_b64 exec, exec, s[4:5]
	s_cbranch_execnz .LBB10_1107
	s_branch .LBB10_1026
.LBB10_1108:
	s_branch .LBB10_1136
.LBB10_1109:
                                        ; implicit-def: $vgpr2_vgpr3
	s_cbranch_execz .LBB10_1136
; %bb.1110:
	v_readfirstlane_b32 s4, v32
	v_mov_b32_e32 v8, 0
	v_mov_b32_e32 v9, 0
	v_cmp_eq_u32_e64 s[4:5], s4, v32
	s_and_saveexec_b64 s[18:19], s[4:5]
	s_cbranch_execz .LBB10_1116
; %bb.1111:
	s_waitcnt vmcnt(0)
	v_mov_b32_e32 v2, 0
	global_load_dwordx2 v[5:6], v2, s[6:7] offset:24 glc
	s_waitcnt vmcnt(0)
	buffer_wbinvl1_vol
	global_load_dwordx2 v[3:4], v2, s[6:7] offset:40
	global_load_dwordx2 v[7:8], v2, s[6:7]
	s_waitcnt vmcnt(1)
	v_and_b32_e32 v3, v3, v5
	v_and_b32_e32 v4, v4, v6
	v_mul_lo_u32 v4, v4, 24
	v_mul_hi_u32 v9, v3, 24
	v_mul_lo_u32 v3, v3, 24
	v_add_u32_e32 v4, v9, v4
	s_waitcnt vmcnt(0)
	v_add_co_u32_e32 v3, vcc, v7, v3
	v_addc_co_u32_e32 v4, vcc, v8, v4, vcc
	global_load_dwordx2 v[3:4], v[3:4], off glc
	s_waitcnt vmcnt(0)
	global_atomic_cmpswap_x2 v[8:9], v2, v[3:6], s[6:7] offset:24 glc
	s_waitcnt vmcnt(0)
	buffer_wbinvl1_vol
	v_cmp_ne_u64_e32 vcc, v[8:9], v[5:6]
	s_and_saveexec_b64 s[20:21], vcc
	s_cbranch_execz .LBB10_1115
; %bb.1112:
	s_mov_b64 s[22:23], 0
.LBB10_1113:                            ; =>This Inner Loop Header: Depth=1
	s_sleep 1
	global_load_dwordx2 v[3:4], v2, s[6:7] offset:40
	global_load_dwordx2 v[10:11], v2, s[6:7]
	v_mov_b32_e32 v5, v8
	v_mov_b32_e32 v6, v9
	s_waitcnt vmcnt(1)
	v_and_b32_e32 v3, v3, v5
	s_waitcnt vmcnt(0)
	v_mad_u64_u32 v[7:8], s[24:25], v3, 24, v[10:11]
	v_and_b32_e32 v4, v4, v6
	v_mov_b32_e32 v3, v8
	v_mad_u64_u32 v[3:4], s[24:25], v4, 24, v[3:4]
	v_mov_b32_e32 v8, v3
	global_load_dwordx2 v[3:4], v[7:8], off glc
	s_waitcnt vmcnt(0)
	global_atomic_cmpswap_x2 v[8:9], v2, v[3:6], s[6:7] offset:24 glc
	s_waitcnt vmcnt(0)
	buffer_wbinvl1_vol
	v_cmp_eq_u64_e32 vcc, v[8:9], v[5:6]
	s_or_b64 s[22:23], vcc, s[22:23]
	s_andn2_b64 exec, exec, s[22:23]
	s_cbranch_execnz .LBB10_1113
; %bb.1114:
	s_or_b64 exec, exec, s[22:23]
.LBB10_1115:
	s_or_b64 exec, exec, s[20:21]
.LBB10_1116:
	s_or_b64 exec, exec, s[18:19]
	s_waitcnt vmcnt(0)
	v_mov_b32_e32 v2, 0
	global_load_dwordx2 v[10:11], v2, s[6:7] offset:40
	global_load_dwordx4 v[4:7], v2, s[6:7]
	v_readfirstlane_b32 s18, v8
	v_readfirstlane_b32 s19, v9
	s_mov_b64 s[20:21], exec
	s_waitcnt vmcnt(1)
	v_readfirstlane_b32 s22, v10
	v_readfirstlane_b32 s23, v11
	s_and_b64 s[22:23], s[18:19], s[22:23]
	s_mul_i32 s15, s23, 24
	s_mul_hi_u32 s24, s22, 24
	s_mul_i32 s25, s22, 24
	s_add_i32 s15, s24, s15
	v_mov_b32_e32 v3, s15
	s_waitcnt vmcnt(0)
	v_add_co_u32_e32 v8, vcc, s25, v4
	v_addc_co_u32_e32 v9, vcc, v5, v3, vcc
	s_and_saveexec_b64 s[24:25], s[4:5]
	s_cbranch_execz .LBB10_1118
; %bb.1117:
	v_mov_b32_e32 v10, s20
	v_mov_b32_e32 v11, s21
	;; [unrolled: 1-line block ×4, first 2 shown]
	global_store_dwordx4 v[8:9], v[10:13], off offset:8
.LBB10_1118:
	s_or_b64 exec, exec, s[24:25]
	s_lshl_b64 s[20:21], s[22:23], 12
	v_mov_b32_e32 v3, s21
	v_add_co_u32_e32 v10, vcc, s20, v6
	v_addc_co_u32_e32 v11, vcc, v7, v3, vcc
	s_movk_i32 s15, 0xff1f
	v_and_or_b32 v0, v0, s15, 32
	s_mov_b32 s20, 0
	v_mov_b32_e32 v3, v2
	v_readfirstlane_b32 s24, v10
	v_readfirstlane_b32 s25, v11
	v_add_co_u32_e32 v6, vcc, v10, v31
	s_mov_b32 s21, s20
	s_mov_b32 s22, s20
	;; [unrolled: 1-line block ×3, first 2 shown]
	s_nop 0
	global_store_dwordx4 v31, v[0:3], s[24:25]
	v_addc_co_u32_e32 v7, vcc, 0, v11, vcc
	v_mov_b32_e32 v0, s20
	v_mov_b32_e32 v1, s21
	v_mov_b32_e32 v2, s22
	v_mov_b32_e32 v3, s23
	global_store_dwordx4 v31, v[0:3], s[24:25] offset:16
	global_store_dwordx4 v31, v[0:3], s[24:25] offset:32
	;; [unrolled: 1-line block ×3, first 2 shown]
	s_and_saveexec_b64 s[20:21], s[4:5]
	s_cbranch_execz .LBB10_1126
; %bb.1119:
	v_mov_b32_e32 v10, 0
	global_load_dwordx2 v[13:14], v10, s[6:7] offset:32 glc
	global_load_dwordx2 v[0:1], v10, s[6:7] offset:40
	v_mov_b32_e32 v11, s18
	v_mov_b32_e32 v12, s19
	s_waitcnt vmcnt(0)
	v_readfirstlane_b32 s22, v0
	v_readfirstlane_b32 s23, v1
	s_and_b64 s[22:23], s[22:23], s[18:19]
	s_mul_i32 s15, s23, 24
	s_mul_hi_u32 s23, s22, 24
	s_mul_i32 s22, s22, 24
	s_add_i32 s15, s23, s15
	v_mov_b32_e32 v0, s15
	v_add_co_u32_e32 v4, vcc, s22, v4
	v_addc_co_u32_e32 v5, vcc, v5, v0, vcc
	global_store_dwordx2 v[4:5], v[13:14], off
	s_waitcnt vmcnt(0)
	global_atomic_cmpswap_x2 v[2:3], v10, v[11:14], s[6:7] offset:32 glc
	s_waitcnt vmcnt(0)
	v_cmp_ne_u64_e32 vcc, v[2:3], v[13:14]
	s_and_saveexec_b64 s[22:23], vcc
	s_cbranch_execz .LBB10_1122
; %bb.1120:
	s_mov_b64 s[24:25], 0
.LBB10_1121:                            ; =>This Inner Loop Header: Depth=1
	s_sleep 1
	global_store_dwordx2 v[4:5], v[2:3], off
	v_mov_b32_e32 v0, s18
	v_mov_b32_e32 v1, s19
	s_waitcnt vmcnt(0)
	global_atomic_cmpswap_x2 v[0:1], v10, v[0:3], s[6:7] offset:32 glc
	s_waitcnt vmcnt(0)
	v_cmp_eq_u64_e32 vcc, v[0:1], v[2:3]
	v_mov_b32_e32 v3, v1
	s_or_b64 s[24:25], vcc, s[24:25]
	v_mov_b32_e32 v2, v0
	s_andn2_b64 exec, exec, s[24:25]
	s_cbranch_execnz .LBB10_1121
.LBB10_1122:
	s_or_b64 exec, exec, s[22:23]
	v_mov_b32_e32 v3, 0
	global_load_dwordx2 v[0:1], v3, s[6:7] offset:16
	s_mov_b64 s[22:23], exec
	v_mbcnt_lo_u32_b32 v2, s22, 0
	v_mbcnt_hi_u32_b32 v2, s23, v2
	v_cmp_eq_u32_e32 vcc, 0, v2
	s_and_saveexec_b64 s[24:25], vcc
	s_cbranch_execz .LBB10_1124
; %bb.1123:
	s_bcnt1_i32_b64 s15, s[22:23]
	v_mov_b32_e32 v2, s15
	s_waitcnt vmcnt(0)
	global_atomic_add_x2 v[0:1], v[2:3], off offset:8
.LBB10_1124:
	s_or_b64 exec, exec, s[24:25]
	s_waitcnt vmcnt(0)
	global_load_dwordx2 v[2:3], v[0:1], off offset:16
	s_waitcnt vmcnt(0)
	v_cmp_eq_u64_e32 vcc, 0, v[2:3]
	s_cbranch_vccnz .LBB10_1126
; %bb.1125:
	global_load_dword v0, v[0:1], off offset:24
	v_mov_b32_e32 v1, 0
	s_waitcnt vmcnt(0)
	global_store_dwordx2 v[2:3], v[0:1], off
	v_and_b32_e32 v0, 0xffffff, v0
	v_readfirstlane_b32 m0, v0
	s_sendmsg sendmsg(MSG_INTERRUPT)
.LBB10_1126:
	s_or_b64 exec, exec, s[20:21]
	s_branch .LBB10_1130
.LBB10_1127:                            ;   in Loop: Header=BB10_1130 Depth=1
	s_or_b64 exec, exec, s[20:21]
	v_readfirstlane_b32 s15, v0
	s_cmp_eq_u32 s15, 0
	s_cbranch_scc1 .LBB10_1129
; %bb.1128:                             ;   in Loop: Header=BB10_1130 Depth=1
	s_sleep 1
	s_cbranch_execnz .LBB10_1130
	s_branch .LBB10_1132
.LBB10_1129:
	s_branch .LBB10_1132
.LBB10_1130:                            ; =>This Inner Loop Header: Depth=1
	v_mov_b32_e32 v0, 1
	s_and_saveexec_b64 s[20:21], s[4:5]
	s_cbranch_execz .LBB10_1127
; %bb.1131:                             ;   in Loop: Header=BB10_1130 Depth=1
	global_load_dword v0, v[8:9], off offset:20 glc
	s_waitcnt vmcnt(0)
	buffer_wbinvl1_vol
	v_and_b32_e32 v0, 1, v0
	s_branch .LBB10_1127
.LBB10_1132:
	global_load_dwordx2 v[2:3], v[6:7], off
	s_and_saveexec_b64 s[20:21], s[4:5]
	s_cbranch_execz .LBB10_1135
; %bb.1133:
	v_mov_b32_e32 v8, 0
	global_load_dwordx2 v[0:1], v8, s[6:7] offset:40
	global_load_dwordx2 v[9:10], v8, s[6:7] offset:24 glc
	global_load_dwordx2 v[11:12], v8, s[6:7]
	v_mov_b32_e32 v5, s19
	s_mov_b64 s[4:5], 0
	s_waitcnt vmcnt(2)
	v_add_co_u32_e32 v6, vcc, 1, v0
	v_addc_co_u32_e32 v7, vcc, 0, v1, vcc
	v_add_co_u32_e32 v4, vcc, s18, v6
	v_addc_co_u32_e32 v5, vcc, v7, v5, vcc
	v_cmp_eq_u64_e32 vcc, 0, v[4:5]
	v_cndmask_b32_e32 v5, v5, v7, vcc
	v_cndmask_b32_e32 v4, v4, v6, vcc
	v_and_b32_e32 v1, v5, v1
	v_and_b32_e32 v0, v4, v0
	v_mul_lo_u32 v1, v1, 24
	v_mul_hi_u32 v7, v0, 24
	v_mul_lo_u32 v0, v0, 24
	s_waitcnt vmcnt(1)
	v_mov_b32_e32 v6, v9
	v_add_u32_e32 v1, v7, v1
	s_waitcnt vmcnt(0)
	v_add_co_u32_e32 v0, vcc, v11, v0
	v_addc_co_u32_e32 v1, vcc, v12, v1, vcc
	global_store_dwordx2 v[0:1], v[9:10], off
	v_mov_b32_e32 v7, v10
	s_waitcnt vmcnt(0)
	global_atomic_cmpswap_x2 v[6:7], v8, v[4:7], s[6:7] offset:24 glc
	s_waitcnt vmcnt(0)
	v_cmp_ne_u64_e32 vcc, v[6:7], v[9:10]
	s_and_b64 exec, exec, vcc
	s_cbranch_execz .LBB10_1135
.LBB10_1134:                            ; =>This Inner Loop Header: Depth=1
	s_sleep 1
	global_store_dwordx2 v[0:1], v[6:7], off
	s_waitcnt vmcnt(0)
	global_atomic_cmpswap_x2 v[9:10], v8, v[4:7], s[6:7] offset:24 glc
	s_waitcnt vmcnt(0)
	v_cmp_eq_u64_e32 vcc, v[9:10], v[6:7]
	v_mov_b32_e32 v6, v9
	s_or_b64 s[4:5], vcc, s[4:5]
	v_mov_b32_e32 v7, v10
	s_andn2_b64 exec, exec, s[4:5]
	s_cbranch_execnz .LBB10_1134
.LBB10_1135:
	s_or_b64 exec, exec, s[20:21]
.LBB10_1136:
	v_readfirstlane_b32 s4, v32
	s_waitcnt vmcnt(0)
	v_mov_b32_e32 v0, 0
	v_mov_b32_e32 v1, 0
	v_cmp_eq_u32_e64 s[4:5], s4, v32
	s_and_saveexec_b64 s[18:19], s[4:5]
	s_cbranch_execz .LBB10_1142
; %bb.1137:
	v_mov_b32_e32 v4, 0
	global_load_dwordx2 v[7:8], v4, s[6:7] offset:24 glc
	s_waitcnt vmcnt(0)
	buffer_wbinvl1_vol
	global_load_dwordx2 v[0:1], v4, s[6:7] offset:40
	global_load_dwordx2 v[5:6], v4, s[6:7]
	s_waitcnt vmcnt(1)
	v_and_b32_e32 v0, v0, v7
	v_and_b32_e32 v1, v1, v8
	v_mul_lo_u32 v1, v1, 24
	v_mul_hi_u32 v9, v0, 24
	v_mul_lo_u32 v0, v0, 24
	v_add_u32_e32 v1, v9, v1
	s_waitcnt vmcnt(0)
	v_add_co_u32_e32 v0, vcc, v5, v0
	v_addc_co_u32_e32 v1, vcc, v6, v1, vcc
	global_load_dwordx2 v[5:6], v[0:1], off glc
	s_waitcnt vmcnt(0)
	global_atomic_cmpswap_x2 v[0:1], v4, v[5:8], s[6:7] offset:24 glc
	s_waitcnt vmcnt(0)
	buffer_wbinvl1_vol
	v_cmp_ne_u64_e32 vcc, v[0:1], v[7:8]
	s_and_saveexec_b64 s[20:21], vcc
	s_cbranch_execz .LBB10_1141
; %bb.1138:
	s_mov_b64 s[22:23], 0
.LBB10_1139:                            ; =>This Inner Loop Header: Depth=1
	s_sleep 1
	global_load_dwordx2 v[5:6], v4, s[6:7] offset:40
	global_load_dwordx2 v[9:10], v4, s[6:7]
	v_mov_b32_e32 v8, v1
	v_mov_b32_e32 v7, v0
	s_waitcnt vmcnt(1)
	v_and_b32_e32 v0, v5, v7
	s_waitcnt vmcnt(0)
	v_mad_u64_u32 v[0:1], s[24:25], v0, 24, v[9:10]
	v_and_b32_e32 v5, v6, v8
	v_mad_u64_u32 v[5:6], s[24:25], v5, 24, v[1:2]
	v_mov_b32_e32 v1, v5
	global_load_dwordx2 v[5:6], v[0:1], off glc
	s_waitcnt vmcnt(0)
	global_atomic_cmpswap_x2 v[0:1], v4, v[5:8], s[6:7] offset:24 glc
	s_waitcnt vmcnt(0)
	buffer_wbinvl1_vol
	v_cmp_eq_u64_e32 vcc, v[0:1], v[7:8]
	s_or_b64 s[22:23], vcc, s[22:23]
	s_andn2_b64 exec, exec, s[22:23]
	s_cbranch_execnz .LBB10_1139
; %bb.1140:
	s_or_b64 exec, exec, s[22:23]
.LBB10_1141:
	s_or_b64 exec, exec, s[20:21]
.LBB10_1142:
	s_or_b64 exec, exec, s[18:19]
	v_mov_b32_e32 v5, 0
	global_load_dwordx2 v[10:11], v5, s[6:7] offset:40
	global_load_dwordx4 v[6:9], v5, s[6:7]
	v_readfirstlane_b32 s18, v0
	v_readfirstlane_b32 s19, v1
	s_mov_b64 s[20:21], exec
	s_waitcnt vmcnt(1)
	v_readfirstlane_b32 s22, v10
	v_readfirstlane_b32 s23, v11
	s_and_b64 s[22:23], s[18:19], s[22:23]
	s_mul_i32 s15, s23, 24
	s_mul_hi_u32 s24, s22, 24
	s_mul_i32 s25, s22, 24
	s_add_i32 s15, s24, s15
	v_mov_b32_e32 v0, s15
	s_waitcnt vmcnt(0)
	v_add_co_u32_e32 v10, vcc, s25, v6
	v_addc_co_u32_e32 v11, vcc, v7, v0, vcc
	s_and_saveexec_b64 s[24:25], s[4:5]
	s_cbranch_execz .LBB10_1144
; %bb.1143:
	v_mov_b32_e32 v12, s20
	v_mov_b32_e32 v13, s21
	;; [unrolled: 1-line block ×4, first 2 shown]
	global_store_dwordx4 v[10:11], v[12:15], off offset:8
.LBB10_1144:
	s_or_b64 exec, exec, s[24:25]
	s_lshl_b64 s[20:21], s[22:23], 12
	v_mov_b32_e32 v0, s21
	v_add_co_u32_e32 v1, vcc, s20, v8
	v_addc_co_u32_e32 v0, vcc, v9, v0, vcc
	s_movk_i32 s15, 0xff1d
	v_and_or_b32 v2, v2, s15, 34
	s_mov_b32 s20, 0
	v_mov_b32_e32 v4, 58
	v_readfirstlane_b32 s24, v1
	v_readfirstlane_b32 s25, v0
	s_mov_b32 s21, s20
	s_mov_b32 s22, s20
	;; [unrolled: 1-line block ×3, first 2 shown]
	s_nop 1
	global_store_dwordx4 v31, v[2:5], s[24:25]
	v_mov_b32_e32 v0, s20
	v_mov_b32_e32 v1, s21
	;; [unrolled: 1-line block ×4, first 2 shown]
	global_store_dwordx4 v31, v[0:3], s[24:25] offset:16
	global_store_dwordx4 v31, v[0:3], s[24:25] offset:32
	;; [unrolled: 1-line block ×3, first 2 shown]
	s_and_saveexec_b64 s[20:21], s[4:5]
	s_cbranch_execz .LBB10_1152
; %bb.1145:
	v_mov_b32_e32 v8, 0
	global_load_dwordx2 v[14:15], v8, s[6:7] offset:32 glc
	global_load_dwordx2 v[0:1], v8, s[6:7] offset:40
	v_mov_b32_e32 v12, s18
	v_mov_b32_e32 v13, s19
	s_waitcnt vmcnt(0)
	v_readfirstlane_b32 s22, v0
	v_readfirstlane_b32 s23, v1
	s_and_b64 s[22:23], s[22:23], s[18:19]
	s_mul_i32 s15, s23, 24
	s_mul_hi_u32 s23, s22, 24
	s_mul_i32 s22, s22, 24
	s_add_i32 s15, s23, s15
	v_mov_b32_e32 v0, s15
	v_add_co_u32_e32 v4, vcc, s22, v6
	v_addc_co_u32_e32 v5, vcc, v7, v0, vcc
	global_store_dwordx2 v[4:5], v[14:15], off
	s_waitcnt vmcnt(0)
	global_atomic_cmpswap_x2 v[2:3], v8, v[12:15], s[6:7] offset:32 glc
	s_waitcnt vmcnt(0)
	v_cmp_ne_u64_e32 vcc, v[2:3], v[14:15]
	s_and_saveexec_b64 s[22:23], vcc
	s_cbranch_execz .LBB10_1148
; %bb.1146:
	s_mov_b64 s[24:25], 0
.LBB10_1147:                            ; =>This Inner Loop Header: Depth=1
	s_sleep 1
	global_store_dwordx2 v[4:5], v[2:3], off
	v_mov_b32_e32 v0, s18
	v_mov_b32_e32 v1, s19
	s_waitcnt vmcnt(0)
	global_atomic_cmpswap_x2 v[0:1], v8, v[0:3], s[6:7] offset:32 glc
	s_waitcnt vmcnt(0)
	v_cmp_eq_u64_e32 vcc, v[0:1], v[2:3]
	v_mov_b32_e32 v3, v1
	s_or_b64 s[24:25], vcc, s[24:25]
	v_mov_b32_e32 v2, v0
	s_andn2_b64 exec, exec, s[24:25]
	s_cbranch_execnz .LBB10_1147
.LBB10_1148:
	s_or_b64 exec, exec, s[22:23]
	v_mov_b32_e32 v3, 0
	global_load_dwordx2 v[0:1], v3, s[6:7] offset:16
	s_mov_b64 s[22:23], exec
	v_mbcnt_lo_u32_b32 v2, s22, 0
	v_mbcnt_hi_u32_b32 v2, s23, v2
	v_cmp_eq_u32_e32 vcc, 0, v2
	s_and_saveexec_b64 s[24:25], vcc
	s_cbranch_execz .LBB10_1150
; %bb.1149:
	s_bcnt1_i32_b64 s15, s[22:23]
	v_mov_b32_e32 v2, s15
	s_waitcnt vmcnt(0)
	global_atomic_add_x2 v[0:1], v[2:3], off offset:8
.LBB10_1150:
	s_or_b64 exec, exec, s[24:25]
	s_waitcnt vmcnt(0)
	global_load_dwordx2 v[2:3], v[0:1], off offset:16
	s_waitcnt vmcnt(0)
	v_cmp_eq_u64_e32 vcc, 0, v[2:3]
	s_cbranch_vccnz .LBB10_1152
; %bb.1151:
	global_load_dword v0, v[0:1], off offset:24
	v_mov_b32_e32 v1, 0
	s_waitcnt vmcnt(0)
	global_store_dwordx2 v[2:3], v[0:1], off
	v_and_b32_e32 v0, 0xffffff, v0
	v_readfirstlane_b32 m0, v0
	s_sendmsg sendmsg(MSG_INTERRUPT)
.LBB10_1152:
	s_or_b64 exec, exec, s[20:21]
	s_branch .LBB10_1156
.LBB10_1153:                            ;   in Loop: Header=BB10_1156 Depth=1
	s_or_b64 exec, exec, s[20:21]
	v_readfirstlane_b32 s15, v0
	s_cmp_eq_u32 s15, 0
	s_cbranch_scc1 .LBB10_1155
; %bb.1154:                             ;   in Loop: Header=BB10_1156 Depth=1
	s_sleep 1
	s_cbranch_execnz .LBB10_1156
	s_branch .LBB10_1158
.LBB10_1155:
	s_branch .LBB10_1158
.LBB10_1156:                            ; =>This Inner Loop Header: Depth=1
	v_mov_b32_e32 v0, 1
	s_and_saveexec_b64 s[20:21], s[4:5]
	s_cbranch_execz .LBB10_1153
; %bb.1157:                             ;   in Loop: Header=BB10_1156 Depth=1
	global_load_dword v0, v[10:11], off offset:20 glc
	s_waitcnt vmcnt(0)
	buffer_wbinvl1_vol
	v_and_b32_e32 v0, 1, v0
	s_branch .LBB10_1153
.LBB10_1158:
	s_and_saveexec_b64 s[20:21], s[4:5]
	s_cbranch_execz .LBB10_1161
; %bb.1159:
	v_mov_b32_e32 v6, 0
	global_load_dwordx2 v[2:3], v6, s[6:7] offset:40
	global_load_dwordx2 v[7:8], v6, s[6:7] offset:24 glc
	global_load_dwordx2 v[4:5], v6, s[6:7]
	v_mov_b32_e32 v1, s19
	s_mov_b64 s[4:5], 0
	s_waitcnt vmcnt(2)
	v_add_co_u32_e32 v9, vcc, 1, v2
	v_addc_co_u32_e32 v10, vcc, 0, v3, vcc
	v_add_co_u32_e32 v0, vcc, s18, v9
	v_addc_co_u32_e32 v1, vcc, v10, v1, vcc
	v_cmp_eq_u64_e32 vcc, 0, v[0:1]
	v_cndmask_b32_e32 v1, v1, v10, vcc
	v_cndmask_b32_e32 v0, v0, v9, vcc
	v_and_b32_e32 v3, v1, v3
	v_and_b32_e32 v2, v0, v2
	v_mul_lo_u32 v3, v3, 24
	v_mul_hi_u32 v9, v2, 24
	v_mul_lo_u32 v10, v2, 24
	s_waitcnt vmcnt(1)
	v_mov_b32_e32 v2, v7
	v_add_u32_e32 v3, v9, v3
	s_waitcnt vmcnt(0)
	v_add_co_u32_e32 v4, vcc, v4, v10
	v_addc_co_u32_e32 v5, vcc, v5, v3, vcc
	global_store_dwordx2 v[4:5], v[7:8], off
	v_mov_b32_e32 v3, v8
	s_waitcnt vmcnt(0)
	global_atomic_cmpswap_x2 v[2:3], v6, v[0:3], s[6:7] offset:24 glc
	s_waitcnt vmcnt(0)
	v_cmp_ne_u64_e32 vcc, v[2:3], v[7:8]
	s_and_b64 exec, exec, vcc
	s_cbranch_execz .LBB10_1161
.LBB10_1160:                            ; =>This Inner Loop Header: Depth=1
	s_sleep 1
	global_store_dwordx2 v[4:5], v[2:3], off
	s_waitcnt vmcnt(0)
	global_atomic_cmpswap_x2 v[7:8], v6, v[0:3], s[6:7] offset:24 glc
	s_waitcnt vmcnt(0)
	v_cmp_eq_u64_e32 vcc, v[7:8], v[2:3]
	v_mov_b32_e32 v2, v7
	s_or_b64 s[4:5], vcc, s[4:5]
	v_mov_b32_e32 v3, v8
	s_andn2_b64 exec, exec, s[4:5]
	s_cbranch_execnz .LBB10_1160
.LBB10_1161:
	s_or_b64 exec, exec, s[20:21]
	v_readfirstlane_b32 s4, v32
	v_mov_b32_e32 v5, 0
	v_mov_b32_e32 v6, 0
	v_cmp_eq_u32_e64 s[4:5], s4, v32
	s_and_saveexec_b64 s[18:19], s[4:5]
	s_cbranch_execz .LBB10_1167
; %bb.1162:
	v_mov_b32_e32 v0, 0
	global_load_dwordx2 v[3:4], v0, s[6:7] offset:24 glc
	s_waitcnt vmcnt(0)
	buffer_wbinvl1_vol
	global_load_dwordx2 v[1:2], v0, s[6:7] offset:40
	global_load_dwordx2 v[5:6], v0, s[6:7]
	s_waitcnt vmcnt(1)
	v_and_b32_e32 v1, v1, v3
	v_and_b32_e32 v2, v2, v4
	v_mul_lo_u32 v2, v2, 24
	v_mul_hi_u32 v7, v1, 24
	v_mul_lo_u32 v1, v1, 24
	v_add_u32_e32 v2, v7, v2
	s_waitcnt vmcnt(0)
	v_add_co_u32_e32 v1, vcc, v5, v1
	v_addc_co_u32_e32 v2, vcc, v6, v2, vcc
	global_load_dwordx2 v[1:2], v[1:2], off glc
	s_waitcnt vmcnt(0)
	global_atomic_cmpswap_x2 v[5:6], v0, v[1:4], s[6:7] offset:24 glc
	s_waitcnt vmcnt(0)
	buffer_wbinvl1_vol
	v_cmp_ne_u64_e32 vcc, v[5:6], v[3:4]
	s_and_saveexec_b64 s[20:21], vcc
	s_cbranch_execz .LBB10_1166
; %bb.1163:
	s_mov_b64 s[22:23], 0
.LBB10_1164:                            ; =>This Inner Loop Header: Depth=1
	s_sleep 1
	global_load_dwordx2 v[1:2], v0, s[6:7] offset:40
	global_load_dwordx2 v[7:8], v0, s[6:7]
	v_mov_b32_e32 v3, v5
	v_mov_b32_e32 v4, v6
	s_waitcnt vmcnt(1)
	v_and_b32_e32 v1, v1, v3
	s_waitcnt vmcnt(0)
	v_mad_u64_u32 v[5:6], s[24:25], v1, 24, v[7:8]
	v_and_b32_e32 v2, v2, v4
	v_mov_b32_e32 v1, v6
	v_mad_u64_u32 v[1:2], s[24:25], v2, 24, v[1:2]
	v_mov_b32_e32 v6, v1
	global_load_dwordx2 v[1:2], v[5:6], off glc
	s_waitcnt vmcnt(0)
	global_atomic_cmpswap_x2 v[5:6], v0, v[1:4], s[6:7] offset:24 glc
	s_waitcnt vmcnt(0)
	buffer_wbinvl1_vol
	v_cmp_eq_u64_e32 vcc, v[5:6], v[3:4]
	s_or_b64 s[22:23], vcc, s[22:23]
	s_andn2_b64 exec, exec, s[22:23]
	s_cbranch_execnz .LBB10_1164
; %bb.1165:
	s_or_b64 exec, exec, s[22:23]
.LBB10_1166:
	s_or_b64 exec, exec, s[20:21]
.LBB10_1167:
	s_or_b64 exec, exec, s[18:19]
	v_mov_b32_e32 v4, 0
	global_load_dwordx2 v[7:8], v4, s[6:7] offset:40
	global_load_dwordx4 v[0:3], v4, s[6:7]
	v_readfirstlane_b32 s18, v5
	v_readfirstlane_b32 s19, v6
	s_mov_b64 s[20:21], exec
	s_waitcnt vmcnt(1)
	v_readfirstlane_b32 s22, v7
	v_readfirstlane_b32 s23, v8
	s_and_b64 s[22:23], s[18:19], s[22:23]
	s_mul_i32 s15, s23, 24
	s_mul_hi_u32 s24, s22, 24
	s_mul_i32 s25, s22, 24
	s_add_i32 s15, s24, s15
	v_mov_b32_e32 v5, s15
	s_waitcnt vmcnt(0)
	v_add_co_u32_e32 v7, vcc, s25, v0
	v_addc_co_u32_e32 v8, vcc, v1, v5, vcc
	s_and_saveexec_b64 s[24:25], s[4:5]
	s_cbranch_execz .LBB10_1169
; %bb.1168:
	v_mov_b32_e32 v9, s20
	v_mov_b32_e32 v10, s21
	;; [unrolled: 1-line block ×4, first 2 shown]
	global_store_dwordx4 v[7:8], v[9:12], off offset:8
.LBB10_1169:
	s_or_b64 exec, exec, s[24:25]
	s_lshl_b64 s[20:21], s[22:23], 12
	v_mov_b32_e32 v5, s21
	v_add_co_u32_e32 v2, vcc, s20, v2
	v_addc_co_u32_e32 v11, vcc, v3, v5, vcc
	s_mov_b32 s20, 0
	v_mov_b32_e32 v3, 33
	v_mov_b32_e32 v5, v4
	;; [unrolled: 1-line block ×3, first 2 shown]
	v_readfirstlane_b32 s24, v2
	v_readfirstlane_b32 s25, v11
	v_add_co_u32_e32 v9, vcc, v2, v31
	s_mov_b32 s21, s20
	s_mov_b32 s22, s20
	;; [unrolled: 1-line block ×3, first 2 shown]
	s_nop 0
	global_store_dwordx4 v31, v[3:6], s[24:25]
	v_mov_b32_e32 v2, s20
	v_addc_co_u32_e32 v10, vcc, 0, v11, vcc
	v_mov_b32_e32 v3, s21
	v_mov_b32_e32 v4, s22
	;; [unrolled: 1-line block ×3, first 2 shown]
	global_store_dwordx4 v31, v[2:5], s[24:25] offset:16
	global_store_dwordx4 v31, v[2:5], s[24:25] offset:32
	;; [unrolled: 1-line block ×3, first 2 shown]
	s_and_saveexec_b64 s[20:21], s[4:5]
	s_cbranch_execz .LBB10_1177
; %bb.1170:
	v_mov_b32_e32 v6, 0
	global_load_dwordx2 v[13:14], v6, s[6:7] offset:32 glc
	global_load_dwordx2 v[2:3], v6, s[6:7] offset:40
	v_mov_b32_e32 v11, s18
	v_mov_b32_e32 v12, s19
	s_waitcnt vmcnt(0)
	v_readfirstlane_b32 s22, v2
	v_readfirstlane_b32 s23, v3
	s_and_b64 s[22:23], s[22:23], s[18:19]
	s_mul_i32 s15, s23, 24
	s_mul_hi_u32 s23, s22, 24
	s_mul_i32 s22, s22, 24
	s_add_i32 s15, s23, s15
	v_mov_b32_e32 v2, s15
	v_add_co_u32_e32 v4, vcc, s22, v0
	v_addc_co_u32_e32 v5, vcc, v1, v2, vcc
	global_store_dwordx2 v[4:5], v[13:14], off
	s_waitcnt vmcnt(0)
	global_atomic_cmpswap_x2 v[2:3], v6, v[11:14], s[6:7] offset:32 glc
	s_waitcnt vmcnt(0)
	v_cmp_ne_u64_e32 vcc, v[2:3], v[13:14]
	s_and_saveexec_b64 s[22:23], vcc
	s_cbranch_execz .LBB10_1173
; %bb.1171:
	s_mov_b64 s[24:25], 0
.LBB10_1172:                            ; =>This Inner Loop Header: Depth=1
	s_sleep 1
	global_store_dwordx2 v[4:5], v[2:3], off
	v_mov_b32_e32 v0, s18
	v_mov_b32_e32 v1, s19
	s_waitcnt vmcnt(0)
	global_atomic_cmpswap_x2 v[0:1], v6, v[0:3], s[6:7] offset:32 glc
	s_waitcnt vmcnt(0)
	v_cmp_eq_u64_e32 vcc, v[0:1], v[2:3]
	v_mov_b32_e32 v3, v1
	s_or_b64 s[24:25], vcc, s[24:25]
	v_mov_b32_e32 v2, v0
	s_andn2_b64 exec, exec, s[24:25]
	s_cbranch_execnz .LBB10_1172
.LBB10_1173:
	s_or_b64 exec, exec, s[22:23]
	v_mov_b32_e32 v3, 0
	global_load_dwordx2 v[0:1], v3, s[6:7] offset:16
	s_mov_b64 s[22:23], exec
	v_mbcnt_lo_u32_b32 v2, s22, 0
	v_mbcnt_hi_u32_b32 v2, s23, v2
	v_cmp_eq_u32_e32 vcc, 0, v2
	s_and_saveexec_b64 s[24:25], vcc
	s_cbranch_execz .LBB10_1175
; %bb.1174:
	s_bcnt1_i32_b64 s15, s[22:23]
	v_mov_b32_e32 v2, s15
	s_waitcnt vmcnt(0)
	global_atomic_add_x2 v[0:1], v[2:3], off offset:8
.LBB10_1175:
	s_or_b64 exec, exec, s[24:25]
	s_waitcnt vmcnt(0)
	global_load_dwordx2 v[2:3], v[0:1], off offset:16
	s_waitcnt vmcnt(0)
	v_cmp_eq_u64_e32 vcc, 0, v[2:3]
	s_cbranch_vccnz .LBB10_1177
; %bb.1176:
	global_load_dword v0, v[0:1], off offset:24
	v_mov_b32_e32 v1, 0
	s_waitcnt vmcnt(0)
	global_store_dwordx2 v[2:3], v[0:1], off
	v_and_b32_e32 v0, 0xffffff, v0
	v_readfirstlane_b32 m0, v0
	s_sendmsg sendmsg(MSG_INTERRUPT)
.LBB10_1177:
	s_or_b64 exec, exec, s[20:21]
	s_branch .LBB10_1181
.LBB10_1178:                            ;   in Loop: Header=BB10_1181 Depth=1
	s_or_b64 exec, exec, s[20:21]
	v_readfirstlane_b32 s15, v0
	s_cmp_eq_u32 s15, 0
	s_cbranch_scc1 .LBB10_1180
; %bb.1179:                             ;   in Loop: Header=BB10_1181 Depth=1
	s_sleep 1
	s_cbranch_execnz .LBB10_1181
	s_branch .LBB10_1183
.LBB10_1180:
	s_branch .LBB10_1183
.LBB10_1181:                            ; =>This Inner Loop Header: Depth=1
	v_mov_b32_e32 v0, 1
	s_and_saveexec_b64 s[20:21], s[4:5]
	s_cbranch_execz .LBB10_1178
; %bb.1182:                             ;   in Loop: Header=BB10_1181 Depth=1
	global_load_dword v0, v[7:8], off offset:20 glc
	s_waitcnt vmcnt(0)
	buffer_wbinvl1_vol
	v_and_b32_e32 v0, 1, v0
	s_branch .LBB10_1178
.LBB10_1183:
	global_load_dwordx2 v[0:1], v[9:10], off
	s_and_saveexec_b64 s[20:21], s[4:5]
	s_cbranch_execz .LBB10_1186
; %bb.1184:
	v_mov_b32_e32 v8, 0
	global_load_dwordx2 v[4:5], v8, s[6:7] offset:40
	global_load_dwordx2 v[9:10], v8, s[6:7] offset:24 glc
	global_load_dwordx2 v[6:7], v8, s[6:7]
	v_mov_b32_e32 v3, s19
	s_mov_b64 s[4:5], 0
	s_waitcnt vmcnt(2)
	v_add_co_u32_e32 v11, vcc, 1, v4
	v_addc_co_u32_e32 v12, vcc, 0, v5, vcc
	v_add_co_u32_e32 v2, vcc, s18, v11
	v_addc_co_u32_e32 v3, vcc, v12, v3, vcc
	v_cmp_eq_u64_e32 vcc, 0, v[2:3]
	v_cndmask_b32_e32 v3, v3, v12, vcc
	v_cndmask_b32_e32 v2, v2, v11, vcc
	v_and_b32_e32 v5, v3, v5
	v_and_b32_e32 v4, v2, v4
	v_mul_lo_u32 v5, v5, 24
	v_mul_hi_u32 v11, v4, 24
	v_mul_lo_u32 v12, v4, 24
	s_waitcnt vmcnt(1)
	v_mov_b32_e32 v4, v9
	v_add_u32_e32 v5, v11, v5
	s_waitcnt vmcnt(0)
	v_add_co_u32_e32 v6, vcc, v6, v12
	v_addc_co_u32_e32 v7, vcc, v7, v5, vcc
	global_store_dwordx2 v[6:7], v[9:10], off
	v_mov_b32_e32 v5, v10
	s_waitcnt vmcnt(0)
	global_atomic_cmpswap_x2 v[4:5], v8, v[2:5], s[6:7] offset:24 glc
	s_waitcnt vmcnt(0)
	v_cmp_ne_u64_e32 vcc, v[4:5], v[9:10]
	s_and_b64 exec, exec, vcc
	s_cbranch_execz .LBB10_1186
.LBB10_1185:                            ; =>This Inner Loop Header: Depth=1
	s_sleep 1
	global_store_dwordx2 v[6:7], v[4:5], off
	s_waitcnt vmcnt(0)
	global_atomic_cmpswap_x2 v[9:10], v8, v[2:5], s[6:7] offset:24 glc
	s_waitcnt vmcnt(0)
	v_cmp_eq_u64_e32 vcc, v[9:10], v[4:5]
	v_mov_b32_e32 v4, v9
	s_or_b64 s[4:5], vcc, s[4:5]
	v_mov_b32_e32 v5, v10
	s_andn2_b64 exec, exec, s[4:5]
	s_cbranch_execnz .LBB10_1185
.LBB10_1186:
	s_or_b64 exec, exec, s[20:21]
	s_and_b64 vcc, exec, s[16:17]
	s_cbranch_vccz .LBB10_1271
; %bb.1187:
	s_waitcnt vmcnt(0)
	v_and_b32_e32 v33, 2, v0
	v_mov_b32_e32 v28, 0
	v_and_b32_e32 v2, -3, v0
	v_mov_b32_e32 v3, v1
	s_mov_b64 s[18:19], 3
	v_mov_b32_e32 v6, 2
	v_mov_b32_e32 v7, 1
	s_getpc_b64 s[16:17]
	s_add_u32 s16, s16, .str.6@rel32@lo+4
	s_addc_u32 s17, s17, .str.6@rel32@hi+12
	s_branch .LBB10_1189
.LBB10_1188:                            ;   in Loop: Header=BB10_1189 Depth=1
	s_or_b64 exec, exec, s[24:25]
	s_sub_u32 s18, s18, s20
	s_subb_u32 s19, s19, s21
	s_add_u32 s16, s16, s20
	s_addc_u32 s17, s17, s21
	s_cmp_lg_u64 s[18:19], 0
	s_cbranch_scc0 .LBB10_1270
.LBB10_1189:                            ; =>This Loop Header: Depth=1
                                        ;     Child Loop BB10_1192 Depth 2
                                        ;     Child Loop BB10_1199 Depth 2
	;; [unrolled: 1-line block ×11, first 2 shown]
	v_cmp_lt_u64_e64 s[4:5], s[18:19], 56
	v_cmp_gt_u64_e64 s[22:23], s[18:19], 7
	s_and_b64 s[4:5], s[4:5], exec
	s_cselect_b32 s21, s19, 0
	s_cselect_b32 s20, s18, 56
	s_and_b64 vcc, exec, s[22:23]
	s_cbranch_vccnz .LBB10_1194
; %bb.1190:                             ;   in Loop: Header=BB10_1189 Depth=1
	v_mov_b32_e32 v10, 0
	s_cmp_eq_u64 s[18:19], 0
	v_mov_b32_e32 v11, 0
	s_mov_b64 s[4:5], 0
	s_cbranch_scc1 .LBB10_1193
; %bb.1191:                             ;   in Loop: Header=BB10_1189 Depth=1
	v_mov_b32_e32 v10, 0
	s_lshl_b64 s[22:23], s[20:21], 3
	s_mov_b64 s[24:25], 0
	v_mov_b32_e32 v11, 0
	s_mov_b64 s[26:27], s[16:17]
.LBB10_1192:                            ;   Parent Loop BB10_1189 Depth=1
                                        ; =>  This Inner Loop Header: Depth=2
	global_load_ubyte v4, v28, s[26:27]
	s_waitcnt vmcnt(0)
	v_and_b32_e32 v27, 0xffff, v4
	v_lshlrev_b64 v[4:5], s24, v[27:28]
	s_add_u32 s24, s24, 8
	s_addc_u32 s25, s25, 0
	s_add_u32 s26, s26, 1
	s_addc_u32 s27, s27, 0
	v_or_b32_e32 v10, v4, v10
	s_cmp_lg_u32 s22, s24
	v_or_b32_e32 v11, v5, v11
	s_cbranch_scc1 .LBB10_1192
.LBB10_1193:                            ;   in Loop: Header=BB10_1189 Depth=1
	s_mov_b32 s15, 0
	s_andn2_b64 vcc, exec, s[4:5]
	s_mov_b64 s[4:5], s[16:17]
	s_cbranch_vccz .LBB10_1195
	s_branch .LBB10_1196
.LBB10_1194:                            ;   in Loop: Header=BB10_1189 Depth=1
                                        ; implicit-def: $vgpr10_vgpr11
                                        ; implicit-def: $sgpr15
	s_mov_b64 s[4:5], s[16:17]
.LBB10_1195:                            ;   in Loop: Header=BB10_1189 Depth=1
	global_load_dwordx2 v[10:11], v28, s[16:17]
	s_add_i32 s15, s20, -8
	s_add_u32 s4, s16, 8
	s_addc_u32 s5, s17, 0
.LBB10_1196:                            ;   in Loop: Header=BB10_1189 Depth=1
	s_cmp_gt_u32 s15, 7
	s_cbranch_scc1 .LBB10_1200
; %bb.1197:                             ;   in Loop: Header=BB10_1189 Depth=1
	s_cmp_eq_u32 s15, 0
	s_cbranch_scc1 .LBB10_1201
; %bb.1198:                             ;   in Loop: Header=BB10_1189 Depth=1
	v_mov_b32_e32 v12, 0
	s_mov_b64 s[22:23], 0
	v_mov_b32_e32 v13, 0
	s_mov_b64 s[24:25], 0
.LBB10_1199:                            ;   Parent Loop BB10_1189 Depth=1
                                        ; =>  This Inner Loop Header: Depth=2
	s_add_u32 s26, s4, s24
	s_addc_u32 s27, s5, s25
	global_load_ubyte v4, v28, s[26:27]
	s_add_u32 s24, s24, 1
	s_addc_u32 s25, s25, 0
	s_waitcnt vmcnt(0)
	v_and_b32_e32 v27, 0xffff, v4
	v_lshlrev_b64 v[4:5], s22, v[27:28]
	s_add_u32 s22, s22, 8
	s_addc_u32 s23, s23, 0
	v_or_b32_e32 v12, v4, v12
	s_cmp_lg_u32 s15, s24
	v_or_b32_e32 v13, v5, v13
	s_cbranch_scc1 .LBB10_1199
	s_branch .LBB10_1202
.LBB10_1200:                            ;   in Loop: Header=BB10_1189 Depth=1
                                        ; implicit-def: $vgpr12_vgpr13
                                        ; implicit-def: $sgpr26
	s_branch .LBB10_1203
.LBB10_1201:                            ;   in Loop: Header=BB10_1189 Depth=1
	v_mov_b32_e32 v12, 0
	v_mov_b32_e32 v13, 0
.LBB10_1202:                            ;   in Loop: Header=BB10_1189 Depth=1
	s_mov_b32 s26, 0
	s_cbranch_execnz .LBB10_1204
.LBB10_1203:                            ;   in Loop: Header=BB10_1189 Depth=1
	global_load_dwordx2 v[12:13], v28, s[4:5]
	s_add_i32 s26, s15, -8
	s_add_u32 s4, s4, 8
	s_addc_u32 s5, s5, 0
.LBB10_1204:                            ;   in Loop: Header=BB10_1189 Depth=1
	s_cmp_gt_u32 s26, 7
	s_cbranch_scc1 .LBB10_1208
; %bb.1205:                             ;   in Loop: Header=BB10_1189 Depth=1
	s_cmp_eq_u32 s26, 0
	s_cbranch_scc1 .LBB10_1209
; %bb.1206:                             ;   in Loop: Header=BB10_1189 Depth=1
	v_mov_b32_e32 v14, 0
	s_mov_b64 s[22:23], 0
	v_mov_b32_e32 v15, 0
	s_mov_b64 s[24:25], 0
.LBB10_1207:                            ;   Parent Loop BB10_1189 Depth=1
                                        ; =>  This Inner Loop Header: Depth=2
	s_add_u32 s28, s4, s24
	s_addc_u32 s29, s5, s25
	global_load_ubyte v4, v28, s[28:29]
	s_add_u32 s24, s24, 1
	s_addc_u32 s25, s25, 0
	s_waitcnt vmcnt(0)
	v_and_b32_e32 v27, 0xffff, v4
	v_lshlrev_b64 v[4:5], s22, v[27:28]
	s_add_u32 s22, s22, 8
	s_addc_u32 s23, s23, 0
	v_or_b32_e32 v14, v4, v14
	s_cmp_lg_u32 s26, s24
	v_or_b32_e32 v15, v5, v15
	s_cbranch_scc1 .LBB10_1207
	s_branch .LBB10_1210
.LBB10_1208:                            ;   in Loop: Header=BB10_1189 Depth=1
                                        ; implicit-def: $sgpr15
	s_branch .LBB10_1211
.LBB10_1209:                            ;   in Loop: Header=BB10_1189 Depth=1
	v_mov_b32_e32 v14, 0
	v_mov_b32_e32 v15, 0
.LBB10_1210:                            ;   in Loop: Header=BB10_1189 Depth=1
	s_mov_b32 s15, 0
	s_cbranch_execnz .LBB10_1212
.LBB10_1211:                            ;   in Loop: Header=BB10_1189 Depth=1
	global_load_dwordx2 v[14:15], v28, s[4:5]
	s_add_i32 s15, s26, -8
	s_add_u32 s4, s4, 8
	s_addc_u32 s5, s5, 0
.LBB10_1212:                            ;   in Loop: Header=BB10_1189 Depth=1
	s_cmp_gt_u32 s15, 7
	s_cbranch_scc1 .LBB10_1216
; %bb.1213:                             ;   in Loop: Header=BB10_1189 Depth=1
	s_cmp_eq_u32 s15, 0
	s_cbranch_scc1 .LBB10_1217
; %bb.1214:                             ;   in Loop: Header=BB10_1189 Depth=1
	v_mov_b32_e32 v16, 0
	s_mov_b64 s[22:23], 0
	v_mov_b32_e32 v17, 0
	s_mov_b64 s[24:25], 0
.LBB10_1215:                            ;   Parent Loop BB10_1189 Depth=1
                                        ; =>  This Inner Loop Header: Depth=2
	s_add_u32 s26, s4, s24
	s_addc_u32 s27, s5, s25
	global_load_ubyte v4, v28, s[26:27]
	s_add_u32 s24, s24, 1
	s_addc_u32 s25, s25, 0
	s_waitcnt vmcnt(0)
	v_and_b32_e32 v27, 0xffff, v4
	v_lshlrev_b64 v[4:5], s22, v[27:28]
	s_add_u32 s22, s22, 8
	s_addc_u32 s23, s23, 0
	v_or_b32_e32 v16, v4, v16
	s_cmp_lg_u32 s15, s24
	v_or_b32_e32 v17, v5, v17
	s_cbranch_scc1 .LBB10_1215
	s_branch .LBB10_1218
.LBB10_1216:                            ;   in Loop: Header=BB10_1189 Depth=1
                                        ; implicit-def: $vgpr16_vgpr17
                                        ; implicit-def: $sgpr26
	s_branch .LBB10_1219
.LBB10_1217:                            ;   in Loop: Header=BB10_1189 Depth=1
	v_mov_b32_e32 v16, 0
	v_mov_b32_e32 v17, 0
.LBB10_1218:                            ;   in Loop: Header=BB10_1189 Depth=1
	s_mov_b32 s26, 0
	s_cbranch_execnz .LBB10_1220
.LBB10_1219:                            ;   in Loop: Header=BB10_1189 Depth=1
	global_load_dwordx2 v[16:17], v28, s[4:5]
	s_add_i32 s26, s15, -8
	s_add_u32 s4, s4, 8
	s_addc_u32 s5, s5, 0
.LBB10_1220:                            ;   in Loop: Header=BB10_1189 Depth=1
	s_cmp_gt_u32 s26, 7
	s_cbranch_scc1 .LBB10_1224
; %bb.1221:                             ;   in Loop: Header=BB10_1189 Depth=1
	s_cmp_eq_u32 s26, 0
	s_cbranch_scc1 .LBB10_1225
; %bb.1222:                             ;   in Loop: Header=BB10_1189 Depth=1
	v_mov_b32_e32 v18, 0
	s_mov_b64 s[22:23], 0
	v_mov_b32_e32 v19, 0
	s_mov_b64 s[24:25], 0
.LBB10_1223:                            ;   Parent Loop BB10_1189 Depth=1
                                        ; =>  This Inner Loop Header: Depth=2
	s_add_u32 s28, s4, s24
	s_addc_u32 s29, s5, s25
	global_load_ubyte v4, v28, s[28:29]
	s_add_u32 s24, s24, 1
	s_addc_u32 s25, s25, 0
	s_waitcnt vmcnt(0)
	v_and_b32_e32 v27, 0xffff, v4
	v_lshlrev_b64 v[4:5], s22, v[27:28]
	s_add_u32 s22, s22, 8
	s_addc_u32 s23, s23, 0
	v_or_b32_e32 v18, v4, v18
	s_cmp_lg_u32 s26, s24
	v_or_b32_e32 v19, v5, v19
	s_cbranch_scc1 .LBB10_1223
	s_branch .LBB10_1226
.LBB10_1224:                            ;   in Loop: Header=BB10_1189 Depth=1
                                        ; implicit-def: $sgpr15
	s_branch .LBB10_1227
.LBB10_1225:                            ;   in Loop: Header=BB10_1189 Depth=1
	v_mov_b32_e32 v18, 0
	v_mov_b32_e32 v19, 0
.LBB10_1226:                            ;   in Loop: Header=BB10_1189 Depth=1
	s_mov_b32 s15, 0
	s_cbranch_execnz .LBB10_1228
.LBB10_1227:                            ;   in Loop: Header=BB10_1189 Depth=1
	global_load_dwordx2 v[18:19], v28, s[4:5]
	s_add_i32 s15, s26, -8
	s_add_u32 s4, s4, 8
	s_addc_u32 s5, s5, 0
.LBB10_1228:                            ;   in Loop: Header=BB10_1189 Depth=1
	s_cmp_gt_u32 s15, 7
	s_cbranch_scc1 .LBB10_1232
; %bb.1229:                             ;   in Loop: Header=BB10_1189 Depth=1
	s_cmp_eq_u32 s15, 0
	s_cbranch_scc1 .LBB10_1233
; %bb.1230:                             ;   in Loop: Header=BB10_1189 Depth=1
	v_mov_b32_e32 v20, 0
	s_mov_b64 s[22:23], 0
	v_mov_b32_e32 v21, 0
	s_mov_b64 s[24:25], 0
.LBB10_1231:                            ;   Parent Loop BB10_1189 Depth=1
                                        ; =>  This Inner Loop Header: Depth=2
	s_add_u32 s26, s4, s24
	s_addc_u32 s27, s5, s25
	global_load_ubyte v4, v28, s[26:27]
	s_add_u32 s24, s24, 1
	s_addc_u32 s25, s25, 0
	s_waitcnt vmcnt(0)
	v_and_b32_e32 v27, 0xffff, v4
	v_lshlrev_b64 v[4:5], s22, v[27:28]
	s_add_u32 s22, s22, 8
	s_addc_u32 s23, s23, 0
	v_or_b32_e32 v20, v4, v20
	s_cmp_lg_u32 s15, s24
	v_or_b32_e32 v21, v5, v21
	s_cbranch_scc1 .LBB10_1231
	s_branch .LBB10_1234
.LBB10_1232:                            ;   in Loop: Header=BB10_1189 Depth=1
                                        ; implicit-def: $vgpr20_vgpr21
                                        ; implicit-def: $sgpr26
	s_branch .LBB10_1235
.LBB10_1233:                            ;   in Loop: Header=BB10_1189 Depth=1
	v_mov_b32_e32 v20, 0
	v_mov_b32_e32 v21, 0
.LBB10_1234:                            ;   in Loop: Header=BB10_1189 Depth=1
	s_mov_b32 s26, 0
	s_cbranch_execnz .LBB10_1236
.LBB10_1235:                            ;   in Loop: Header=BB10_1189 Depth=1
	global_load_dwordx2 v[20:21], v28, s[4:5]
	s_add_i32 s26, s15, -8
	s_add_u32 s4, s4, 8
	s_addc_u32 s5, s5, 0
.LBB10_1236:                            ;   in Loop: Header=BB10_1189 Depth=1
	s_cmp_gt_u32 s26, 7
	s_cbranch_scc1 .LBB10_1240
; %bb.1237:                             ;   in Loop: Header=BB10_1189 Depth=1
	s_cmp_eq_u32 s26, 0
	s_cbranch_scc1 .LBB10_1241
; %bb.1238:                             ;   in Loop: Header=BB10_1189 Depth=1
	v_mov_b32_e32 v22, 0
	s_mov_b64 s[22:23], 0
	v_mov_b32_e32 v23, 0
	s_mov_b64 s[24:25], s[4:5]
.LBB10_1239:                            ;   Parent Loop BB10_1189 Depth=1
                                        ; =>  This Inner Loop Header: Depth=2
	global_load_ubyte v4, v28, s[24:25]
	s_add_i32 s26, s26, -1
	s_waitcnt vmcnt(0)
	v_and_b32_e32 v27, 0xffff, v4
	v_lshlrev_b64 v[4:5], s22, v[27:28]
	s_add_u32 s22, s22, 8
	s_addc_u32 s23, s23, 0
	s_add_u32 s24, s24, 1
	s_addc_u32 s25, s25, 0
	v_or_b32_e32 v22, v4, v22
	s_cmp_lg_u32 s26, 0
	v_or_b32_e32 v23, v5, v23
	s_cbranch_scc1 .LBB10_1239
	s_branch .LBB10_1242
.LBB10_1240:                            ;   in Loop: Header=BB10_1189 Depth=1
	s_branch .LBB10_1243
.LBB10_1241:                            ;   in Loop: Header=BB10_1189 Depth=1
	v_mov_b32_e32 v22, 0
	v_mov_b32_e32 v23, 0
.LBB10_1242:                            ;   in Loop: Header=BB10_1189 Depth=1
	s_cbranch_execnz .LBB10_1244
.LBB10_1243:                            ;   in Loop: Header=BB10_1189 Depth=1
	global_load_dwordx2 v[22:23], v28, s[4:5]
.LBB10_1244:                            ;   in Loop: Header=BB10_1189 Depth=1
	v_readfirstlane_b32 s4, v32
	s_waitcnt vmcnt(0)
	v_mov_b32_e32 v4, 0
	v_mov_b32_e32 v5, 0
	v_cmp_eq_u32_e64 s[4:5], s4, v32
	s_and_saveexec_b64 s[22:23], s[4:5]
	s_cbranch_execz .LBB10_1250
; %bb.1245:                             ;   in Loop: Header=BB10_1189 Depth=1
	global_load_dwordx2 v[26:27], v28, s[6:7] offset:24 glc
	s_waitcnt vmcnt(0)
	buffer_wbinvl1_vol
	global_load_dwordx2 v[4:5], v28, s[6:7] offset:40
	global_load_dwordx2 v[8:9], v28, s[6:7]
	s_waitcnt vmcnt(1)
	v_and_b32_e32 v4, v4, v26
	v_and_b32_e32 v5, v5, v27
	v_mul_lo_u32 v5, v5, 24
	v_mul_hi_u32 v24, v4, 24
	v_mul_lo_u32 v4, v4, 24
	v_add_u32_e32 v5, v24, v5
	s_waitcnt vmcnt(0)
	v_add_co_u32_e32 v4, vcc, v8, v4
	v_addc_co_u32_e32 v5, vcc, v9, v5, vcc
	global_load_dwordx2 v[24:25], v[4:5], off glc
	s_waitcnt vmcnt(0)
	global_atomic_cmpswap_x2 v[4:5], v28, v[24:27], s[6:7] offset:24 glc
	s_waitcnt vmcnt(0)
	buffer_wbinvl1_vol
	v_cmp_ne_u64_e32 vcc, v[4:5], v[26:27]
	s_and_saveexec_b64 s[24:25], vcc
	s_cbranch_execz .LBB10_1249
; %bb.1246:                             ;   in Loop: Header=BB10_1189 Depth=1
	s_mov_b64 s[26:27], 0
.LBB10_1247:                            ;   Parent Loop BB10_1189 Depth=1
                                        ; =>  This Inner Loop Header: Depth=2
	s_sleep 1
	global_load_dwordx2 v[8:9], v28, s[6:7] offset:40
	global_load_dwordx2 v[24:25], v28, s[6:7]
	v_mov_b32_e32 v27, v5
	v_mov_b32_e32 v26, v4
	s_waitcnt vmcnt(1)
	v_and_b32_e32 v4, v8, v26
	s_waitcnt vmcnt(0)
	v_mad_u64_u32 v[4:5], s[28:29], v4, 24, v[24:25]
	v_and_b32_e32 v8, v9, v27
	v_mad_u64_u32 v[8:9], s[28:29], v8, 24, v[5:6]
	v_mov_b32_e32 v5, v8
	global_load_dwordx2 v[24:25], v[4:5], off glc
	s_waitcnt vmcnt(0)
	global_atomic_cmpswap_x2 v[4:5], v28, v[24:27], s[6:7] offset:24 glc
	s_waitcnt vmcnt(0)
	buffer_wbinvl1_vol
	v_cmp_eq_u64_e32 vcc, v[4:5], v[26:27]
	s_or_b64 s[26:27], vcc, s[26:27]
	s_andn2_b64 exec, exec, s[26:27]
	s_cbranch_execnz .LBB10_1247
; %bb.1248:                             ;   in Loop: Header=BB10_1189 Depth=1
	s_or_b64 exec, exec, s[26:27]
.LBB10_1249:                            ;   in Loop: Header=BB10_1189 Depth=1
	s_or_b64 exec, exec, s[24:25]
.LBB10_1250:                            ;   in Loop: Header=BB10_1189 Depth=1
	s_or_b64 exec, exec, s[22:23]
	global_load_dwordx2 v[8:9], v28, s[6:7] offset:40
	global_load_dwordx4 v[24:27], v28, s[6:7]
	v_readfirstlane_b32 s22, v4
	v_readfirstlane_b32 s23, v5
	s_mov_b64 s[24:25], exec
	s_waitcnt vmcnt(1)
	v_readfirstlane_b32 s26, v8
	v_readfirstlane_b32 s27, v9
	s_and_b64 s[26:27], s[22:23], s[26:27]
	s_mul_i32 s15, s27, 24
	s_mul_hi_u32 s28, s26, 24
	s_mul_i32 s29, s26, 24
	s_add_i32 s15, s28, s15
	v_mov_b32_e32 v4, s15
	s_waitcnt vmcnt(0)
	v_add_co_u32_e32 v29, vcc, s29, v24
	v_addc_co_u32_e32 v30, vcc, v25, v4, vcc
	s_and_saveexec_b64 s[28:29], s[4:5]
	s_cbranch_execz .LBB10_1252
; %bb.1251:                             ;   in Loop: Header=BB10_1189 Depth=1
	v_mov_b32_e32 v4, s24
	v_mov_b32_e32 v5, s25
	global_store_dwordx4 v[29:30], v[4:7], off offset:8
.LBB10_1252:                            ;   in Loop: Header=BB10_1189 Depth=1
	s_or_b64 exec, exec, s[28:29]
	s_lshl_b64 s[24:25], s[26:27], 12
	v_mov_b32_e32 v4, s25
	v_add_co_u32_e32 v26, vcc, s24, v26
	v_addc_co_u32_e32 v34, vcc, v27, v4, vcc
	v_cmp_gt_u64_e64 vcc, s[18:19], 56
	v_or_b32_e32 v5, v2, v33
	s_lshl_b32 s15, s20, 2
	v_cndmask_b32_e32 v2, v5, v2, vcc
	s_add_i32 s15, s15, 28
	v_or_b32_e32 v4, 0, v3
	s_and_b32 s15, s15, 0x1e0
	v_and_b32_e32 v2, 0xffffff1f, v2
	v_cndmask_b32_e32 v9, v4, v3, vcc
	v_or_b32_e32 v8, s15, v2
	v_readfirstlane_b32 s24, v26
	v_readfirstlane_b32 s25, v34
	s_nop 4
	global_store_dwordx4 v31, v[8:11], s[24:25]
	global_store_dwordx4 v31, v[12:15], s[24:25] offset:16
	global_store_dwordx4 v31, v[16:19], s[24:25] offset:32
	;; [unrolled: 1-line block ×3, first 2 shown]
	s_and_saveexec_b64 s[24:25], s[4:5]
	s_cbranch_execz .LBB10_1260
; %bb.1253:                             ;   in Loop: Header=BB10_1189 Depth=1
	global_load_dwordx2 v[12:13], v28, s[6:7] offset:32 glc
	global_load_dwordx2 v[2:3], v28, s[6:7] offset:40
	v_mov_b32_e32 v10, s22
	v_mov_b32_e32 v11, s23
	s_waitcnt vmcnt(0)
	v_readfirstlane_b32 s26, v2
	v_readfirstlane_b32 s27, v3
	s_and_b64 s[26:27], s[26:27], s[22:23]
	s_mul_i32 s15, s27, 24
	s_mul_hi_u32 s27, s26, 24
	s_mul_i32 s26, s26, 24
	s_add_i32 s15, s27, s15
	v_mov_b32_e32 v2, s15
	v_add_co_u32_e32 v8, vcc, s26, v24
	v_addc_co_u32_e32 v9, vcc, v25, v2, vcc
	global_store_dwordx2 v[8:9], v[12:13], off
	s_waitcnt vmcnt(0)
	global_atomic_cmpswap_x2 v[4:5], v28, v[10:13], s[6:7] offset:32 glc
	s_waitcnt vmcnt(0)
	v_cmp_ne_u64_e32 vcc, v[4:5], v[12:13]
	s_and_saveexec_b64 s[26:27], vcc
	s_cbranch_execz .LBB10_1256
; %bb.1254:                             ;   in Loop: Header=BB10_1189 Depth=1
	s_mov_b64 s[28:29], 0
.LBB10_1255:                            ;   Parent Loop BB10_1189 Depth=1
                                        ; =>  This Inner Loop Header: Depth=2
	s_sleep 1
	global_store_dwordx2 v[8:9], v[4:5], off
	v_mov_b32_e32 v2, s22
	v_mov_b32_e32 v3, s23
	s_waitcnt vmcnt(0)
	global_atomic_cmpswap_x2 v[2:3], v28, v[2:5], s[6:7] offset:32 glc
	s_waitcnt vmcnt(0)
	v_cmp_eq_u64_e32 vcc, v[2:3], v[4:5]
	v_mov_b32_e32 v5, v3
	s_or_b64 s[28:29], vcc, s[28:29]
	v_mov_b32_e32 v4, v2
	s_andn2_b64 exec, exec, s[28:29]
	s_cbranch_execnz .LBB10_1255
.LBB10_1256:                            ;   in Loop: Header=BB10_1189 Depth=1
	s_or_b64 exec, exec, s[26:27]
	global_load_dwordx2 v[2:3], v28, s[6:7] offset:16
	s_mov_b64 s[28:29], exec
	v_mbcnt_lo_u32_b32 v4, s28, 0
	v_mbcnt_hi_u32_b32 v4, s29, v4
	v_cmp_eq_u32_e32 vcc, 0, v4
	s_and_saveexec_b64 s[26:27], vcc
	s_cbranch_execz .LBB10_1258
; %bb.1257:                             ;   in Loop: Header=BB10_1189 Depth=1
	s_bcnt1_i32_b64 s15, s[28:29]
	v_mov_b32_e32 v27, s15
	s_waitcnt vmcnt(0)
	global_atomic_add_x2 v[2:3], v[27:28], off offset:8
.LBB10_1258:                            ;   in Loop: Header=BB10_1189 Depth=1
	s_or_b64 exec, exec, s[26:27]
	s_waitcnt vmcnt(0)
	global_load_dwordx2 v[4:5], v[2:3], off offset:16
	s_waitcnt vmcnt(0)
	v_cmp_eq_u64_e32 vcc, 0, v[4:5]
	s_cbranch_vccnz .LBB10_1260
; %bb.1259:                             ;   in Loop: Header=BB10_1189 Depth=1
	global_load_dword v27, v[2:3], off offset:24
	s_waitcnt vmcnt(0)
	v_and_b32_e32 v2, 0xffffff, v27
	v_readfirstlane_b32 m0, v2
	global_store_dwordx2 v[4:5], v[27:28], off
	s_sendmsg sendmsg(MSG_INTERRUPT)
.LBB10_1260:                            ;   in Loop: Header=BB10_1189 Depth=1
	s_or_b64 exec, exec, s[24:25]
	v_add_co_u32_e32 v2, vcc, v26, v31
	v_addc_co_u32_e32 v3, vcc, 0, v34, vcc
	s_branch .LBB10_1264
.LBB10_1261:                            ;   in Loop: Header=BB10_1264 Depth=2
	s_or_b64 exec, exec, s[24:25]
	v_readfirstlane_b32 s15, v4
	s_cmp_eq_u32 s15, 0
	s_cbranch_scc1 .LBB10_1263
; %bb.1262:                             ;   in Loop: Header=BB10_1264 Depth=2
	s_sleep 1
	s_cbranch_execnz .LBB10_1264
	s_branch .LBB10_1266
.LBB10_1263:                            ;   in Loop: Header=BB10_1189 Depth=1
	s_branch .LBB10_1266
.LBB10_1264:                            ;   Parent Loop BB10_1189 Depth=1
                                        ; =>  This Inner Loop Header: Depth=2
	v_mov_b32_e32 v4, 1
	s_and_saveexec_b64 s[24:25], s[4:5]
	s_cbranch_execz .LBB10_1261
; %bb.1265:                             ;   in Loop: Header=BB10_1264 Depth=2
	global_load_dword v4, v[29:30], off offset:20 glc
	s_waitcnt vmcnt(0)
	buffer_wbinvl1_vol
	v_and_b32_e32 v4, 1, v4
	s_branch .LBB10_1261
.LBB10_1266:                            ;   in Loop: Header=BB10_1189 Depth=1
	global_load_dwordx4 v[2:5], v[2:3], off
	s_and_saveexec_b64 s[24:25], s[4:5]
	s_cbranch_execz .LBB10_1188
; %bb.1267:                             ;   in Loop: Header=BB10_1189 Depth=1
	global_load_dwordx2 v[4:5], v28, s[6:7] offset:40
	global_load_dwordx2 v[12:13], v28, s[6:7] offset:24 glc
	global_load_dwordx2 v[14:15], v28, s[6:7]
	v_mov_b32_e32 v9, s23
	s_waitcnt vmcnt(2)
	v_add_co_u32_e32 v10, vcc, 1, v4
	v_addc_co_u32_e32 v11, vcc, 0, v5, vcc
	v_add_co_u32_e32 v8, vcc, s22, v10
	v_addc_co_u32_e32 v9, vcc, v11, v9, vcc
	v_cmp_eq_u64_e32 vcc, 0, v[8:9]
	v_cndmask_b32_e32 v9, v9, v11, vcc
	v_cndmask_b32_e32 v8, v8, v10, vcc
	v_and_b32_e32 v5, v9, v5
	v_and_b32_e32 v4, v8, v4
	v_mul_lo_u32 v5, v5, 24
	v_mul_hi_u32 v11, v4, 24
	v_mul_lo_u32 v4, v4, 24
	s_waitcnt vmcnt(1)
	v_mov_b32_e32 v10, v12
	v_add_u32_e32 v5, v11, v5
	s_waitcnt vmcnt(0)
	v_add_co_u32_e32 v4, vcc, v14, v4
	v_addc_co_u32_e32 v5, vcc, v15, v5, vcc
	global_store_dwordx2 v[4:5], v[12:13], off
	v_mov_b32_e32 v11, v13
	s_waitcnt vmcnt(0)
	global_atomic_cmpswap_x2 v[10:11], v28, v[8:11], s[6:7] offset:24 glc
	s_waitcnt vmcnt(0)
	v_cmp_ne_u64_e32 vcc, v[10:11], v[12:13]
	s_and_b64 exec, exec, vcc
	s_cbranch_execz .LBB10_1188
; %bb.1268:                             ;   in Loop: Header=BB10_1189 Depth=1
	s_mov_b64 s[4:5], 0
.LBB10_1269:                            ;   Parent Loop BB10_1189 Depth=1
                                        ; =>  This Inner Loop Header: Depth=2
	s_sleep 1
	global_store_dwordx2 v[4:5], v[10:11], off
	s_waitcnt vmcnt(0)
	global_atomic_cmpswap_x2 v[12:13], v28, v[8:11], s[6:7] offset:24 glc
	s_waitcnt vmcnt(0)
	v_cmp_eq_u64_e32 vcc, v[12:13], v[10:11]
	v_mov_b32_e32 v10, v12
	s_or_b64 s[4:5], vcc, s[4:5]
	v_mov_b32_e32 v11, v13
	s_andn2_b64 exec, exec, s[4:5]
	s_cbranch_execnz .LBB10_1269
	s_branch .LBB10_1188
.LBB10_1270:
	s_branch .LBB10_1298
.LBB10_1271:
                                        ; implicit-def: $vgpr2_vgpr3
	s_cbranch_execz .LBB10_1298
; %bb.1272:
	v_readfirstlane_b32 s4, v32
	v_mov_b32_e32 v8, 0
	v_mov_b32_e32 v9, 0
	v_cmp_eq_u32_e64 s[4:5], s4, v32
	s_and_saveexec_b64 s[16:17], s[4:5]
	s_cbranch_execz .LBB10_1278
; %bb.1273:
	s_waitcnt vmcnt(0)
	v_mov_b32_e32 v2, 0
	global_load_dwordx2 v[5:6], v2, s[6:7] offset:24 glc
	s_waitcnt vmcnt(0)
	buffer_wbinvl1_vol
	global_load_dwordx2 v[3:4], v2, s[6:7] offset:40
	global_load_dwordx2 v[7:8], v2, s[6:7]
	s_waitcnt vmcnt(1)
	v_and_b32_e32 v3, v3, v5
	v_and_b32_e32 v4, v4, v6
	v_mul_lo_u32 v4, v4, 24
	v_mul_hi_u32 v9, v3, 24
	v_mul_lo_u32 v3, v3, 24
	v_add_u32_e32 v4, v9, v4
	s_waitcnt vmcnt(0)
	v_add_co_u32_e32 v3, vcc, v7, v3
	v_addc_co_u32_e32 v4, vcc, v8, v4, vcc
	global_load_dwordx2 v[3:4], v[3:4], off glc
	s_waitcnt vmcnt(0)
	global_atomic_cmpswap_x2 v[8:9], v2, v[3:6], s[6:7] offset:24 glc
	s_waitcnt vmcnt(0)
	buffer_wbinvl1_vol
	v_cmp_ne_u64_e32 vcc, v[8:9], v[5:6]
	s_and_saveexec_b64 s[18:19], vcc
	s_cbranch_execz .LBB10_1277
; %bb.1274:
	s_mov_b64 s[20:21], 0
.LBB10_1275:                            ; =>This Inner Loop Header: Depth=1
	s_sleep 1
	global_load_dwordx2 v[3:4], v2, s[6:7] offset:40
	global_load_dwordx2 v[10:11], v2, s[6:7]
	v_mov_b32_e32 v5, v8
	v_mov_b32_e32 v6, v9
	s_waitcnt vmcnt(1)
	v_and_b32_e32 v3, v3, v5
	s_waitcnt vmcnt(0)
	v_mad_u64_u32 v[7:8], s[22:23], v3, 24, v[10:11]
	v_and_b32_e32 v4, v4, v6
	v_mov_b32_e32 v3, v8
	v_mad_u64_u32 v[3:4], s[22:23], v4, 24, v[3:4]
	v_mov_b32_e32 v8, v3
	global_load_dwordx2 v[3:4], v[7:8], off glc
	s_waitcnt vmcnt(0)
	global_atomic_cmpswap_x2 v[8:9], v2, v[3:6], s[6:7] offset:24 glc
	s_waitcnt vmcnt(0)
	buffer_wbinvl1_vol
	v_cmp_eq_u64_e32 vcc, v[8:9], v[5:6]
	s_or_b64 s[20:21], vcc, s[20:21]
	s_andn2_b64 exec, exec, s[20:21]
	s_cbranch_execnz .LBB10_1275
; %bb.1276:
	s_or_b64 exec, exec, s[20:21]
.LBB10_1277:
	s_or_b64 exec, exec, s[18:19]
.LBB10_1278:
	s_or_b64 exec, exec, s[16:17]
	s_waitcnt vmcnt(0)
	v_mov_b32_e32 v2, 0
	global_load_dwordx2 v[10:11], v2, s[6:7] offset:40
	global_load_dwordx4 v[4:7], v2, s[6:7]
	v_readfirstlane_b32 s16, v8
	v_readfirstlane_b32 s17, v9
	s_mov_b64 s[18:19], exec
	s_waitcnt vmcnt(1)
	v_readfirstlane_b32 s20, v10
	v_readfirstlane_b32 s21, v11
	s_and_b64 s[20:21], s[16:17], s[20:21]
	s_mul_i32 s15, s21, 24
	s_mul_hi_u32 s22, s20, 24
	s_mul_i32 s23, s20, 24
	s_add_i32 s15, s22, s15
	v_mov_b32_e32 v3, s15
	s_waitcnt vmcnt(0)
	v_add_co_u32_e32 v8, vcc, s23, v4
	v_addc_co_u32_e32 v9, vcc, v5, v3, vcc
	s_and_saveexec_b64 s[22:23], s[4:5]
	s_cbranch_execz .LBB10_1280
; %bb.1279:
	v_mov_b32_e32 v10, s18
	v_mov_b32_e32 v11, s19
	v_mov_b32_e32 v12, 2
	v_mov_b32_e32 v13, 1
	global_store_dwordx4 v[8:9], v[10:13], off offset:8
.LBB10_1280:
	s_or_b64 exec, exec, s[22:23]
	s_lshl_b64 s[18:19], s[20:21], 12
	v_mov_b32_e32 v3, s19
	v_add_co_u32_e32 v10, vcc, s18, v6
	v_addc_co_u32_e32 v11, vcc, v7, v3, vcc
	s_movk_i32 s15, 0xff1f
	v_and_or_b32 v0, v0, s15, 32
	s_mov_b32 s20, 0
	v_mov_b32_e32 v3, v2
	v_readfirstlane_b32 s18, v10
	v_readfirstlane_b32 s19, v11
	v_add_co_u32_e32 v6, vcc, v10, v31
	s_mov_b32 s21, s20
	s_mov_b32 s22, s20
	;; [unrolled: 1-line block ×3, first 2 shown]
	s_nop 0
	global_store_dwordx4 v31, v[0:3], s[18:19]
	v_addc_co_u32_e32 v7, vcc, 0, v11, vcc
	v_mov_b32_e32 v0, s20
	v_mov_b32_e32 v1, s21
	;; [unrolled: 1-line block ×4, first 2 shown]
	global_store_dwordx4 v31, v[0:3], s[18:19] offset:16
	global_store_dwordx4 v31, v[0:3], s[18:19] offset:32
	;; [unrolled: 1-line block ×3, first 2 shown]
	s_and_saveexec_b64 s[18:19], s[4:5]
	s_cbranch_execz .LBB10_1288
; %bb.1281:
	v_mov_b32_e32 v10, 0
	global_load_dwordx2 v[13:14], v10, s[6:7] offset:32 glc
	global_load_dwordx2 v[0:1], v10, s[6:7] offset:40
	v_mov_b32_e32 v11, s16
	v_mov_b32_e32 v12, s17
	s_waitcnt vmcnt(0)
	v_readfirstlane_b32 s20, v0
	v_readfirstlane_b32 s21, v1
	s_and_b64 s[20:21], s[20:21], s[16:17]
	s_mul_i32 s15, s21, 24
	s_mul_hi_u32 s21, s20, 24
	s_mul_i32 s20, s20, 24
	s_add_i32 s15, s21, s15
	v_mov_b32_e32 v0, s15
	v_add_co_u32_e32 v4, vcc, s20, v4
	v_addc_co_u32_e32 v5, vcc, v5, v0, vcc
	global_store_dwordx2 v[4:5], v[13:14], off
	s_waitcnt vmcnt(0)
	global_atomic_cmpswap_x2 v[2:3], v10, v[11:14], s[6:7] offset:32 glc
	s_waitcnt vmcnt(0)
	v_cmp_ne_u64_e32 vcc, v[2:3], v[13:14]
	s_and_saveexec_b64 s[20:21], vcc
	s_cbranch_execz .LBB10_1284
; %bb.1282:
	s_mov_b64 s[22:23], 0
.LBB10_1283:                            ; =>This Inner Loop Header: Depth=1
	s_sleep 1
	global_store_dwordx2 v[4:5], v[2:3], off
	v_mov_b32_e32 v0, s16
	v_mov_b32_e32 v1, s17
	s_waitcnt vmcnt(0)
	global_atomic_cmpswap_x2 v[0:1], v10, v[0:3], s[6:7] offset:32 glc
	s_waitcnt vmcnt(0)
	v_cmp_eq_u64_e32 vcc, v[0:1], v[2:3]
	v_mov_b32_e32 v3, v1
	s_or_b64 s[22:23], vcc, s[22:23]
	v_mov_b32_e32 v2, v0
	s_andn2_b64 exec, exec, s[22:23]
	s_cbranch_execnz .LBB10_1283
.LBB10_1284:
	s_or_b64 exec, exec, s[20:21]
	v_mov_b32_e32 v3, 0
	global_load_dwordx2 v[0:1], v3, s[6:7] offset:16
	s_mov_b64 s[20:21], exec
	v_mbcnt_lo_u32_b32 v2, s20, 0
	v_mbcnt_hi_u32_b32 v2, s21, v2
	v_cmp_eq_u32_e32 vcc, 0, v2
	s_and_saveexec_b64 s[22:23], vcc
	s_cbranch_execz .LBB10_1286
; %bb.1285:
	s_bcnt1_i32_b64 s15, s[20:21]
	v_mov_b32_e32 v2, s15
	s_waitcnt vmcnt(0)
	global_atomic_add_x2 v[0:1], v[2:3], off offset:8
.LBB10_1286:
	s_or_b64 exec, exec, s[22:23]
	s_waitcnt vmcnt(0)
	global_load_dwordx2 v[2:3], v[0:1], off offset:16
	s_waitcnt vmcnt(0)
	v_cmp_eq_u64_e32 vcc, 0, v[2:3]
	s_cbranch_vccnz .LBB10_1288
; %bb.1287:
	global_load_dword v0, v[0:1], off offset:24
	v_mov_b32_e32 v1, 0
	s_waitcnt vmcnt(0)
	global_store_dwordx2 v[2:3], v[0:1], off
	v_and_b32_e32 v0, 0xffffff, v0
	v_readfirstlane_b32 m0, v0
	s_sendmsg sendmsg(MSG_INTERRUPT)
.LBB10_1288:
	s_or_b64 exec, exec, s[18:19]
	s_branch .LBB10_1292
.LBB10_1289:                            ;   in Loop: Header=BB10_1292 Depth=1
	s_or_b64 exec, exec, s[18:19]
	v_readfirstlane_b32 s15, v0
	s_cmp_eq_u32 s15, 0
	s_cbranch_scc1 .LBB10_1291
; %bb.1290:                             ;   in Loop: Header=BB10_1292 Depth=1
	s_sleep 1
	s_cbranch_execnz .LBB10_1292
	s_branch .LBB10_1294
.LBB10_1291:
	s_branch .LBB10_1294
.LBB10_1292:                            ; =>This Inner Loop Header: Depth=1
	v_mov_b32_e32 v0, 1
	s_and_saveexec_b64 s[18:19], s[4:5]
	s_cbranch_execz .LBB10_1289
; %bb.1293:                             ;   in Loop: Header=BB10_1292 Depth=1
	global_load_dword v0, v[8:9], off offset:20 glc
	s_waitcnt vmcnt(0)
	buffer_wbinvl1_vol
	v_and_b32_e32 v0, 1, v0
	s_branch .LBB10_1289
.LBB10_1294:
	global_load_dwordx2 v[2:3], v[6:7], off
	s_and_saveexec_b64 s[18:19], s[4:5]
	s_cbranch_execz .LBB10_1297
; %bb.1295:
	v_mov_b32_e32 v8, 0
	global_load_dwordx2 v[0:1], v8, s[6:7] offset:40
	global_load_dwordx2 v[9:10], v8, s[6:7] offset:24 glc
	global_load_dwordx2 v[11:12], v8, s[6:7]
	v_mov_b32_e32 v5, s17
	s_mov_b64 s[4:5], 0
	s_waitcnt vmcnt(2)
	v_add_co_u32_e32 v6, vcc, 1, v0
	v_addc_co_u32_e32 v7, vcc, 0, v1, vcc
	v_add_co_u32_e32 v4, vcc, s16, v6
	v_addc_co_u32_e32 v5, vcc, v7, v5, vcc
	v_cmp_eq_u64_e32 vcc, 0, v[4:5]
	v_cndmask_b32_e32 v5, v5, v7, vcc
	v_cndmask_b32_e32 v4, v4, v6, vcc
	v_and_b32_e32 v1, v5, v1
	v_and_b32_e32 v0, v4, v0
	v_mul_lo_u32 v1, v1, 24
	v_mul_hi_u32 v7, v0, 24
	v_mul_lo_u32 v0, v0, 24
	s_waitcnt vmcnt(1)
	v_mov_b32_e32 v6, v9
	v_add_u32_e32 v1, v7, v1
	s_waitcnt vmcnt(0)
	v_add_co_u32_e32 v0, vcc, v11, v0
	v_addc_co_u32_e32 v1, vcc, v12, v1, vcc
	global_store_dwordx2 v[0:1], v[9:10], off
	v_mov_b32_e32 v7, v10
	s_waitcnt vmcnt(0)
	global_atomic_cmpswap_x2 v[6:7], v8, v[4:7], s[6:7] offset:24 glc
	s_waitcnt vmcnt(0)
	v_cmp_ne_u64_e32 vcc, v[6:7], v[9:10]
	s_and_b64 exec, exec, vcc
	s_cbranch_execz .LBB10_1297
.LBB10_1296:                            ; =>This Inner Loop Header: Depth=1
	s_sleep 1
	global_store_dwordx2 v[0:1], v[6:7], off
	s_waitcnt vmcnt(0)
	global_atomic_cmpswap_x2 v[9:10], v8, v[4:7], s[6:7] offset:24 glc
	s_waitcnt vmcnt(0)
	v_cmp_eq_u64_e32 vcc, v[9:10], v[6:7]
	v_mov_b32_e32 v6, v9
	s_or_b64 s[4:5], vcc, s[4:5]
	v_mov_b32_e32 v7, v10
	s_andn2_b64 exec, exec, s[4:5]
	s_cbranch_execnz .LBB10_1296
.LBB10_1297:
	s_or_b64 exec, exec, s[18:19]
.LBB10_1298:
	v_readfirstlane_b32 s4, v32
	s_waitcnt vmcnt(0)
	v_mov_b32_e32 v0, 0
	v_mov_b32_e32 v1, 0
	v_cmp_eq_u32_e64 s[4:5], s4, v32
	s_and_saveexec_b64 s[16:17], s[4:5]
	s_cbranch_execz .LBB10_1304
; %bb.1299:
	v_mov_b32_e32 v4, 0
	global_load_dwordx2 v[7:8], v4, s[6:7] offset:24 glc
	s_waitcnt vmcnt(0)
	buffer_wbinvl1_vol
	global_load_dwordx2 v[0:1], v4, s[6:7] offset:40
	global_load_dwordx2 v[5:6], v4, s[6:7]
	s_waitcnt vmcnt(1)
	v_and_b32_e32 v0, v0, v7
	v_and_b32_e32 v1, v1, v8
	v_mul_lo_u32 v1, v1, 24
	v_mul_hi_u32 v9, v0, 24
	v_mul_lo_u32 v0, v0, 24
	v_add_u32_e32 v1, v9, v1
	s_waitcnt vmcnt(0)
	v_add_co_u32_e32 v0, vcc, v5, v0
	v_addc_co_u32_e32 v1, vcc, v6, v1, vcc
	global_load_dwordx2 v[5:6], v[0:1], off glc
	s_waitcnt vmcnt(0)
	global_atomic_cmpswap_x2 v[0:1], v4, v[5:8], s[6:7] offset:24 glc
	s_waitcnt vmcnt(0)
	buffer_wbinvl1_vol
	v_cmp_ne_u64_e32 vcc, v[0:1], v[7:8]
	s_and_saveexec_b64 s[18:19], vcc
	s_cbranch_execz .LBB10_1303
; %bb.1300:
	s_mov_b64 s[20:21], 0
.LBB10_1301:                            ; =>This Inner Loop Header: Depth=1
	s_sleep 1
	global_load_dwordx2 v[5:6], v4, s[6:7] offset:40
	global_load_dwordx2 v[9:10], v4, s[6:7]
	v_mov_b32_e32 v8, v1
	v_mov_b32_e32 v7, v0
	s_waitcnt vmcnt(1)
	v_and_b32_e32 v0, v5, v7
	s_waitcnt vmcnt(0)
	v_mad_u64_u32 v[0:1], s[22:23], v0, 24, v[9:10]
	v_and_b32_e32 v5, v6, v8
	v_mad_u64_u32 v[5:6], s[22:23], v5, 24, v[1:2]
	v_mov_b32_e32 v1, v5
	global_load_dwordx2 v[5:6], v[0:1], off glc
	s_waitcnt vmcnt(0)
	global_atomic_cmpswap_x2 v[0:1], v4, v[5:8], s[6:7] offset:24 glc
	s_waitcnt vmcnt(0)
	buffer_wbinvl1_vol
	v_cmp_eq_u64_e32 vcc, v[0:1], v[7:8]
	s_or_b64 s[20:21], vcc, s[20:21]
	s_andn2_b64 exec, exec, s[20:21]
	s_cbranch_execnz .LBB10_1301
; %bb.1302:
	s_or_b64 exec, exec, s[20:21]
.LBB10_1303:
	s_or_b64 exec, exec, s[18:19]
.LBB10_1304:
	s_or_b64 exec, exec, s[16:17]
	v_mov_b32_e32 v5, 0
	global_load_dwordx2 v[10:11], v5, s[6:7] offset:40
	global_load_dwordx4 v[6:9], v5, s[6:7]
	v_readfirstlane_b32 s16, v0
	v_readfirstlane_b32 s17, v1
	s_mov_b64 s[18:19], exec
	s_waitcnt vmcnt(1)
	v_readfirstlane_b32 s20, v10
	v_readfirstlane_b32 s21, v11
	s_and_b64 s[20:21], s[16:17], s[20:21]
	s_mul_i32 s15, s21, 24
	s_mul_hi_u32 s22, s20, 24
	s_mul_i32 s23, s20, 24
	s_add_i32 s15, s22, s15
	v_mov_b32_e32 v0, s15
	s_waitcnt vmcnt(0)
	v_add_co_u32_e32 v10, vcc, s23, v6
	v_addc_co_u32_e32 v11, vcc, v7, v0, vcc
	s_and_saveexec_b64 s[22:23], s[4:5]
	s_cbranch_execz .LBB10_1306
; %bb.1305:
	v_mov_b32_e32 v12, s18
	v_mov_b32_e32 v13, s19
	v_mov_b32_e32 v14, 2
	v_mov_b32_e32 v15, 1
	global_store_dwordx4 v[10:11], v[12:15], off offset:8
.LBB10_1306:
	s_or_b64 exec, exec, s[22:23]
	s_lshl_b64 s[18:19], s[20:21], 12
	v_mov_b32_e32 v0, s19
	v_add_co_u32_e32 v1, vcc, s18, v8
	v_addc_co_u32_e32 v0, vcc, v9, v0, vcc
	s_movk_i32 s15, 0xff1d
	v_and_or_b32 v2, v2, s15, 34
	s_mov_b32 s20, 0
	v_mov_b32_e32 v4, 10
	v_readfirstlane_b32 s18, v1
	v_readfirstlane_b32 s19, v0
	s_mov_b32 s21, s20
	s_mov_b32 s22, s20
	;; [unrolled: 1-line block ×3, first 2 shown]
	s_nop 1
	global_store_dwordx4 v31, v[2:5], s[18:19]
	v_mov_b32_e32 v0, s20
	v_mov_b32_e32 v1, s21
	;; [unrolled: 1-line block ×4, first 2 shown]
	global_store_dwordx4 v31, v[0:3], s[18:19] offset:16
	global_store_dwordx4 v31, v[0:3], s[18:19] offset:32
	;; [unrolled: 1-line block ×3, first 2 shown]
	s_and_saveexec_b64 s[18:19], s[4:5]
	s_cbranch_execz .LBB10_1314
; %bb.1307:
	v_mov_b32_e32 v8, 0
	global_load_dwordx2 v[14:15], v8, s[6:7] offset:32 glc
	global_load_dwordx2 v[0:1], v8, s[6:7] offset:40
	v_mov_b32_e32 v12, s16
	v_mov_b32_e32 v13, s17
	s_waitcnt vmcnt(0)
	v_readfirstlane_b32 s20, v0
	v_readfirstlane_b32 s21, v1
	s_and_b64 s[20:21], s[20:21], s[16:17]
	s_mul_i32 s15, s21, 24
	s_mul_hi_u32 s21, s20, 24
	s_mul_i32 s20, s20, 24
	s_add_i32 s15, s21, s15
	v_mov_b32_e32 v0, s15
	v_add_co_u32_e32 v4, vcc, s20, v6
	v_addc_co_u32_e32 v5, vcc, v7, v0, vcc
	global_store_dwordx2 v[4:5], v[14:15], off
	s_waitcnt vmcnt(0)
	global_atomic_cmpswap_x2 v[2:3], v8, v[12:15], s[6:7] offset:32 glc
	s_waitcnt vmcnt(0)
	v_cmp_ne_u64_e32 vcc, v[2:3], v[14:15]
	s_and_saveexec_b64 s[20:21], vcc
	s_cbranch_execz .LBB10_1310
; %bb.1308:
	s_mov_b64 s[22:23], 0
.LBB10_1309:                            ; =>This Inner Loop Header: Depth=1
	s_sleep 1
	global_store_dwordx2 v[4:5], v[2:3], off
	v_mov_b32_e32 v0, s16
	v_mov_b32_e32 v1, s17
	s_waitcnt vmcnt(0)
	global_atomic_cmpswap_x2 v[0:1], v8, v[0:3], s[6:7] offset:32 glc
	s_waitcnt vmcnt(0)
	v_cmp_eq_u64_e32 vcc, v[0:1], v[2:3]
	v_mov_b32_e32 v3, v1
	s_or_b64 s[22:23], vcc, s[22:23]
	v_mov_b32_e32 v2, v0
	s_andn2_b64 exec, exec, s[22:23]
	s_cbranch_execnz .LBB10_1309
.LBB10_1310:
	s_or_b64 exec, exec, s[20:21]
	v_mov_b32_e32 v3, 0
	global_load_dwordx2 v[0:1], v3, s[6:7] offset:16
	s_mov_b64 s[20:21], exec
	v_mbcnt_lo_u32_b32 v2, s20, 0
	v_mbcnt_hi_u32_b32 v2, s21, v2
	v_cmp_eq_u32_e32 vcc, 0, v2
	s_and_saveexec_b64 s[22:23], vcc
	s_cbranch_execz .LBB10_1312
; %bb.1311:
	s_bcnt1_i32_b64 s15, s[20:21]
	v_mov_b32_e32 v2, s15
	s_waitcnt vmcnt(0)
	global_atomic_add_x2 v[0:1], v[2:3], off offset:8
.LBB10_1312:
	s_or_b64 exec, exec, s[22:23]
	s_waitcnt vmcnt(0)
	global_load_dwordx2 v[2:3], v[0:1], off offset:16
	s_waitcnt vmcnt(0)
	v_cmp_eq_u64_e32 vcc, 0, v[2:3]
	s_cbranch_vccnz .LBB10_1314
; %bb.1313:
	global_load_dword v0, v[0:1], off offset:24
	v_mov_b32_e32 v1, 0
	s_waitcnt vmcnt(0)
	global_store_dwordx2 v[2:3], v[0:1], off
	v_and_b32_e32 v0, 0xffffff, v0
	v_readfirstlane_b32 m0, v0
	s_sendmsg sendmsg(MSG_INTERRUPT)
.LBB10_1314:
	s_or_b64 exec, exec, s[18:19]
	s_branch .LBB10_1318
.LBB10_1315:                            ;   in Loop: Header=BB10_1318 Depth=1
	s_or_b64 exec, exec, s[18:19]
	v_readfirstlane_b32 s15, v0
	s_cmp_eq_u32 s15, 0
	s_cbranch_scc1 .LBB10_1317
; %bb.1316:                             ;   in Loop: Header=BB10_1318 Depth=1
	s_sleep 1
	s_cbranch_execnz .LBB10_1318
	s_branch .LBB10_1320
.LBB10_1317:
	s_branch .LBB10_1320
.LBB10_1318:                            ; =>This Inner Loop Header: Depth=1
	v_mov_b32_e32 v0, 1
	s_and_saveexec_b64 s[18:19], s[4:5]
	s_cbranch_execz .LBB10_1315
; %bb.1319:                             ;   in Loop: Header=BB10_1318 Depth=1
	global_load_dword v0, v[10:11], off offset:20 glc
	s_waitcnt vmcnt(0)
	buffer_wbinvl1_vol
	v_and_b32_e32 v0, 1, v0
	s_branch .LBB10_1315
.LBB10_1320:
	s_and_saveexec_b64 s[18:19], s[4:5]
	s_cbranch_execz .LBB10_1323
; %bb.1321:
	v_mov_b32_e32 v6, 0
	global_load_dwordx2 v[2:3], v6, s[6:7] offset:40
	global_load_dwordx2 v[7:8], v6, s[6:7] offset:24 glc
	global_load_dwordx2 v[4:5], v6, s[6:7]
	v_mov_b32_e32 v1, s17
	s_mov_b64 s[4:5], 0
	s_waitcnt vmcnt(2)
	v_add_co_u32_e32 v9, vcc, 1, v2
	v_addc_co_u32_e32 v10, vcc, 0, v3, vcc
	v_add_co_u32_e32 v0, vcc, s16, v9
	v_addc_co_u32_e32 v1, vcc, v10, v1, vcc
	v_cmp_eq_u64_e32 vcc, 0, v[0:1]
	v_cndmask_b32_e32 v1, v1, v10, vcc
	v_cndmask_b32_e32 v0, v0, v9, vcc
	v_and_b32_e32 v3, v1, v3
	v_and_b32_e32 v2, v0, v2
	v_mul_lo_u32 v3, v3, 24
	v_mul_hi_u32 v9, v2, 24
	v_mul_lo_u32 v10, v2, 24
	s_waitcnt vmcnt(1)
	v_mov_b32_e32 v2, v7
	v_add_u32_e32 v3, v9, v3
	s_waitcnt vmcnt(0)
	v_add_co_u32_e32 v4, vcc, v4, v10
	v_addc_co_u32_e32 v5, vcc, v5, v3, vcc
	global_store_dwordx2 v[4:5], v[7:8], off
	v_mov_b32_e32 v3, v8
	s_waitcnt vmcnt(0)
	global_atomic_cmpswap_x2 v[2:3], v6, v[0:3], s[6:7] offset:24 glc
	s_waitcnt vmcnt(0)
	v_cmp_ne_u64_e32 vcc, v[2:3], v[7:8]
	s_and_b64 exec, exec, vcc
	s_cbranch_execz .LBB10_1323
.LBB10_1322:                            ; =>This Inner Loop Header: Depth=1
	s_sleep 1
	global_store_dwordx2 v[4:5], v[2:3], off
	s_waitcnt vmcnt(0)
	global_atomic_cmpswap_x2 v[7:8], v6, v[0:3], s[6:7] offset:24 glc
	s_waitcnt vmcnt(0)
	v_cmp_eq_u64_e32 vcc, v[7:8], v[2:3]
	v_mov_b32_e32 v2, v7
	s_or_b64 s[4:5], vcc, s[4:5]
	v_mov_b32_e32 v3, v8
	s_andn2_b64 exec, exec, s[4:5]
	s_cbranch_execnz .LBB10_1322
.LBB10_1323:
	s_or_b64 exec, exec, s[18:19]
	v_readfirstlane_b32 s4, v32
	v_mov_b32_e32 v5, 0
	v_mov_b32_e32 v6, 0
	v_cmp_eq_u32_e64 s[4:5], s4, v32
	s_and_saveexec_b64 s[16:17], s[4:5]
	s_cbranch_execz .LBB10_1329
; %bb.1324:
	v_mov_b32_e32 v0, 0
	global_load_dwordx2 v[3:4], v0, s[6:7] offset:24 glc
	s_waitcnt vmcnt(0)
	buffer_wbinvl1_vol
	global_load_dwordx2 v[1:2], v0, s[6:7] offset:40
	global_load_dwordx2 v[5:6], v0, s[6:7]
	s_waitcnt vmcnt(1)
	v_and_b32_e32 v1, v1, v3
	v_and_b32_e32 v2, v2, v4
	v_mul_lo_u32 v2, v2, 24
	v_mul_hi_u32 v7, v1, 24
	v_mul_lo_u32 v1, v1, 24
	v_add_u32_e32 v2, v7, v2
	s_waitcnt vmcnt(0)
	v_add_co_u32_e32 v1, vcc, v5, v1
	v_addc_co_u32_e32 v2, vcc, v6, v2, vcc
	global_load_dwordx2 v[1:2], v[1:2], off glc
	s_waitcnt vmcnt(0)
	global_atomic_cmpswap_x2 v[5:6], v0, v[1:4], s[6:7] offset:24 glc
	s_waitcnt vmcnt(0)
	buffer_wbinvl1_vol
	v_cmp_ne_u64_e32 vcc, v[5:6], v[3:4]
	s_and_saveexec_b64 s[18:19], vcc
	s_cbranch_execz .LBB10_1328
; %bb.1325:
	s_mov_b64 s[20:21], 0
.LBB10_1326:                            ; =>This Inner Loop Header: Depth=1
	s_sleep 1
	global_load_dwordx2 v[1:2], v0, s[6:7] offset:40
	global_load_dwordx2 v[7:8], v0, s[6:7]
	v_mov_b32_e32 v3, v5
	v_mov_b32_e32 v4, v6
	s_waitcnt vmcnt(1)
	v_and_b32_e32 v1, v1, v3
	s_waitcnt vmcnt(0)
	v_mad_u64_u32 v[5:6], s[22:23], v1, 24, v[7:8]
	v_and_b32_e32 v2, v2, v4
	v_mov_b32_e32 v1, v6
	v_mad_u64_u32 v[1:2], s[22:23], v2, 24, v[1:2]
	v_mov_b32_e32 v6, v1
	global_load_dwordx2 v[1:2], v[5:6], off glc
	s_waitcnt vmcnt(0)
	global_atomic_cmpswap_x2 v[5:6], v0, v[1:4], s[6:7] offset:24 glc
	s_waitcnt vmcnt(0)
	buffer_wbinvl1_vol
	v_cmp_eq_u64_e32 vcc, v[5:6], v[3:4]
	s_or_b64 s[20:21], vcc, s[20:21]
	s_andn2_b64 exec, exec, s[20:21]
	s_cbranch_execnz .LBB10_1326
; %bb.1327:
	s_or_b64 exec, exec, s[20:21]
.LBB10_1328:
	s_or_b64 exec, exec, s[18:19]
.LBB10_1329:
	s_or_b64 exec, exec, s[16:17]
	v_mov_b32_e32 v4, 0
	global_load_dwordx2 v[7:8], v4, s[6:7] offset:40
	global_load_dwordx4 v[0:3], v4, s[6:7]
	v_readfirstlane_b32 s16, v5
	v_readfirstlane_b32 s17, v6
	s_mov_b64 s[18:19], exec
	s_waitcnt vmcnt(1)
	v_readfirstlane_b32 s20, v7
	v_readfirstlane_b32 s21, v8
	s_and_b64 s[20:21], s[16:17], s[20:21]
	s_mul_i32 s15, s21, 24
	s_mul_hi_u32 s22, s20, 24
	s_mul_i32 s23, s20, 24
	s_add_i32 s15, s22, s15
	v_mov_b32_e32 v5, s15
	s_waitcnt vmcnt(0)
	v_add_co_u32_e32 v7, vcc, s23, v0
	v_addc_co_u32_e32 v8, vcc, v1, v5, vcc
	s_and_saveexec_b64 s[22:23], s[4:5]
	s_cbranch_execz .LBB10_1331
; %bb.1330:
	v_mov_b32_e32 v9, s18
	v_mov_b32_e32 v10, s19
	v_mov_b32_e32 v11, 2
	v_mov_b32_e32 v12, 1
	global_store_dwordx4 v[7:8], v[9:12], off offset:8
.LBB10_1331:
	s_or_b64 exec, exec, s[22:23]
	s_lshl_b64 s[18:19], s[20:21], 12
	v_mov_b32_e32 v5, s19
	v_add_co_u32_e32 v2, vcc, s18, v2
	v_addc_co_u32_e32 v11, vcc, v3, v5, vcc
	s_mov_b32 s20, 0
	v_mov_b32_e32 v3, 33
	v_mov_b32_e32 v5, v4
	;; [unrolled: 1-line block ×3, first 2 shown]
	v_readfirstlane_b32 s18, v2
	v_readfirstlane_b32 s19, v11
	v_add_co_u32_e32 v9, vcc, v2, v31
	s_mov_b32 s21, s20
	s_mov_b32 s22, s20
	;; [unrolled: 1-line block ×3, first 2 shown]
	s_nop 0
	global_store_dwordx4 v31, v[3:6], s[18:19]
	v_mov_b32_e32 v2, s20
	v_addc_co_u32_e32 v10, vcc, 0, v11, vcc
	v_mov_b32_e32 v3, s21
	v_mov_b32_e32 v4, s22
	;; [unrolled: 1-line block ×3, first 2 shown]
	global_store_dwordx4 v31, v[2:5], s[18:19] offset:16
	global_store_dwordx4 v31, v[2:5], s[18:19] offset:32
	;; [unrolled: 1-line block ×3, first 2 shown]
	s_and_saveexec_b64 s[18:19], s[4:5]
	s_cbranch_execz .LBB10_1339
; %bb.1332:
	v_mov_b32_e32 v6, 0
	global_load_dwordx2 v[13:14], v6, s[6:7] offset:32 glc
	global_load_dwordx2 v[2:3], v6, s[6:7] offset:40
	v_mov_b32_e32 v11, s16
	v_mov_b32_e32 v12, s17
	s_waitcnt vmcnt(0)
	v_readfirstlane_b32 s20, v2
	v_readfirstlane_b32 s21, v3
	s_and_b64 s[20:21], s[20:21], s[16:17]
	s_mul_i32 s15, s21, 24
	s_mul_hi_u32 s21, s20, 24
	s_mul_i32 s20, s20, 24
	s_add_i32 s15, s21, s15
	v_mov_b32_e32 v2, s15
	v_add_co_u32_e32 v4, vcc, s20, v0
	v_addc_co_u32_e32 v5, vcc, v1, v2, vcc
	global_store_dwordx2 v[4:5], v[13:14], off
	s_waitcnt vmcnt(0)
	global_atomic_cmpswap_x2 v[2:3], v6, v[11:14], s[6:7] offset:32 glc
	s_waitcnt vmcnt(0)
	v_cmp_ne_u64_e32 vcc, v[2:3], v[13:14]
	s_and_saveexec_b64 s[20:21], vcc
	s_cbranch_execz .LBB10_1335
; %bb.1333:
	s_mov_b64 s[22:23], 0
.LBB10_1334:                            ; =>This Inner Loop Header: Depth=1
	s_sleep 1
	global_store_dwordx2 v[4:5], v[2:3], off
	v_mov_b32_e32 v0, s16
	v_mov_b32_e32 v1, s17
	s_waitcnt vmcnt(0)
	global_atomic_cmpswap_x2 v[0:1], v6, v[0:3], s[6:7] offset:32 glc
	s_waitcnt vmcnt(0)
	v_cmp_eq_u64_e32 vcc, v[0:1], v[2:3]
	v_mov_b32_e32 v3, v1
	s_or_b64 s[22:23], vcc, s[22:23]
	v_mov_b32_e32 v2, v0
	s_andn2_b64 exec, exec, s[22:23]
	s_cbranch_execnz .LBB10_1334
.LBB10_1335:
	s_or_b64 exec, exec, s[20:21]
	v_mov_b32_e32 v3, 0
	global_load_dwordx2 v[0:1], v3, s[6:7] offset:16
	s_mov_b64 s[20:21], exec
	v_mbcnt_lo_u32_b32 v2, s20, 0
	v_mbcnt_hi_u32_b32 v2, s21, v2
	v_cmp_eq_u32_e32 vcc, 0, v2
	s_and_saveexec_b64 s[22:23], vcc
	s_cbranch_execz .LBB10_1337
; %bb.1336:
	s_bcnt1_i32_b64 s15, s[20:21]
	v_mov_b32_e32 v2, s15
	s_waitcnt vmcnt(0)
	global_atomic_add_x2 v[0:1], v[2:3], off offset:8
.LBB10_1337:
	s_or_b64 exec, exec, s[22:23]
	s_waitcnt vmcnt(0)
	global_load_dwordx2 v[2:3], v[0:1], off offset:16
	s_waitcnt vmcnt(0)
	v_cmp_eq_u64_e32 vcc, 0, v[2:3]
	s_cbranch_vccnz .LBB10_1339
; %bb.1338:
	global_load_dword v0, v[0:1], off offset:24
	v_mov_b32_e32 v1, 0
	s_waitcnt vmcnt(0)
	global_store_dwordx2 v[2:3], v[0:1], off
	v_and_b32_e32 v0, 0xffffff, v0
	v_readfirstlane_b32 m0, v0
	s_sendmsg sendmsg(MSG_INTERRUPT)
.LBB10_1339:
	s_or_b64 exec, exec, s[18:19]
	s_branch .LBB10_1343
.LBB10_1340:                            ;   in Loop: Header=BB10_1343 Depth=1
	s_or_b64 exec, exec, s[18:19]
	v_readfirstlane_b32 s15, v0
	s_cmp_eq_u32 s15, 0
	s_cbranch_scc1 .LBB10_1342
; %bb.1341:                             ;   in Loop: Header=BB10_1343 Depth=1
	s_sleep 1
	s_cbranch_execnz .LBB10_1343
	s_branch .LBB10_1345
.LBB10_1342:
	s_branch .LBB10_1345
.LBB10_1343:                            ; =>This Inner Loop Header: Depth=1
	v_mov_b32_e32 v0, 1
	s_and_saveexec_b64 s[18:19], s[4:5]
	s_cbranch_execz .LBB10_1340
; %bb.1344:                             ;   in Loop: Header=BB10_1343 Depth=1
	global_load_dword v0, v[7:8], off offset:20 glc
	s_waitcnt vmcnt(0)
	buffer_wbinvl1_vol
	v_and_b32_e32 v0, 1, v0
	s_branch .LBB10_1340
.LBB10_1345:
	global_load_dwordx2 v[4:5], v[9:10], off
	s_and_saveexec_b64 s[18:19], s[4:5]
	s_cbranch_execz .LBB10_1348
; %bb.1346:
	v_mov_b32_e32 v8, 0
	global_load_dwordx2 v[2:3], v8, s[6:7] offset:40
	global_load_dwordx2 v[9:10], v8, s[6:7] offset:24 glc
	global_load_dwordx2 v[6:7], v8, s[6:7]
	v_mov_b32_e32 v1, s17
	s_mov_b64 s[4:5], 0
	s_waitcnt vmcnt(2)
	v_add_co_u32_e32 v11, vcc, 1, v2
	v_addc_co_u32_e32 v12, vcc, 0, v3, vcc
	v_add_co_u32_e32 v0, vcc, s16, v11
	v_addc_co_u32_e32 v1, vcc, v12, v1, vcc
	v_cmp_eq_u64_e32 vcc, 0, v[0:1]
	v_cndmask_b32_e32 v1, v1, v12, vcc
	v_cndmask_b32_e32 v0, v0, v11, vcc
	v_and_b32_e32 v3, v1, v3
	v_and_b32_e32 v2, v0, v2
	v_mul_lo_u32 v3, v3, 24
	v_mul_hi_u32 v11, v2, 24
	v_mul_lo_u32 v12, v2, 24
	s_waitcnt vmcnt(1)
	v_mov_b32_e32 v2, v9
	v_add_u32_e32 v3, v11, v3
	s_waitcnt vmcnt(0)
	v_add_co_u32_e32 v6, vcc, v6, v12
	v_addc_co_u32_e32 v7, vcc, v7, v3, vcc
	global_store_dwordx2 v[6:7], v[9:10], off
	v_mov_b32_e32 v3, v10
	s_waitcnt vmcnt(0)
	global_atomic_cmpswap_x2 v[2:3], v8, v[0:3], s[6:7] offset:24 glc
	s_waitcnt vmcnt(0)
	v_cmp_ne_u64_e32 vcc, v[2:3], v[9:10]
	s_and_b64 exec, exec, vcc
	s_cbranch_execz .LBB10_1348
.LBB10_1347:                            ; =>This Inner Loop Header: Depth=1
	s_sleep 1
	global_store_dwordx2 v[6:7], v[2:3], off
	s_waitcnt vmcnt(0)
	global_atomic_cmpswap_x2 v[9:10], v8, v[0:3], s[6:7] offset:24 glc
	s_waitcnt vmcnt(0)
	v_cmp_eq_u64_e32 vcc, v[9:10], v[2:3]
	v_mov_b32_e32 v2, v9
	s_or_b64 s[4:5], vcc, s[4:5]
	v_mov_b32_e32 v3, v10
	s_andn2_b64 exec, exec, s[4:5]
	s_cbranch_execnz .LBB10_1347
.LBB10_1348:
	s_or_b64 exec, exec, s[18:19]
	s_and_b64 vcc, exec, s[10:11]
	s_cbranch_vccz .LBB10_1433
; %bb.1349:
	s_waitcnt vmcnt(0)
	v_and_b32_e32 v29, 2, v4
	v_mov_b32_e32 v26, 0
	v_and_b32_e32 v0, -3, v4
	v_mov_b32_e32 v1, v5
	s_mov_b64 s[16:17], 3
	v_mov_b32_e32 v8, 2
	v_mov_b32_e32 v9, 1
	s_getpc_b64 s[10:11]
	s_add_u32 s10, s10, .str.5@rel32@lo+4
	s_addc_u32 s11, s11, .str.5@rel32@hi+12
	s_branch .LBB10_1351
.LBB10_1350:                            ;   in Loop: Header=BB10_1351 Depth=1
	s_or_b64 exec, exec, s[22:23]
	s_sub_u32 s16, s16, s18
	s_subb_u32 s17, s17, s19
	s_add_u32 s10, s10, s18
	s_addc_u32 s11, s11, s19
	s_cmp_lg_u64 s[16:17], 0
	s_cbranch_scc0 .LBB10_1432
.LBB10_1351:                            ; =>This Loop Header: Depth=1
                                        ;     Child Loop BB10_1354 Depth 2
                                        ;     Child Loop BB10_1361 Depth 2
	;; [unrolled: 1-line block ×11, first 2 shown]
	v_cmp_lt_u64_e64 s[4:5], s[16:17], 56
	v_cmp_gt_u64_e64 s[20:21], s[16:17], 7
	s_and_b64 s[4:5], s[4:5], exec
	s_cselect_b32 s19, s17, 0
	s_cselect_b32 s18, s16, 56
	s_and_b64 vcc, exec, s[20:21]
	s_cbranch_vccnz .LBB10_1356
; %bb.1352:                             ;   in Loop: Header=BB10_1351 Depth=1
	s_waitcnt vmcnt(0)
	v_mov_b32_e32 v2, 0
	s_cmp_eq_u64 s[16:17], 0
	v_mov_b32_e32 v3, 0
	s_mov_b64 s[4:5], 0
	s_cbranch_scc1 .LBB10_1355
; %bb.1353:                             ;   in Loop: Header=BB10_1351 Depth=1
	v_mov_b32_e32 v2, 0
	s_lshl_b64 s[20:21], s[18:19], 3
	s_mov_b64 s[22:23], 0
	v_mov_b32_e32 v3, 0
	s_mov_b64 s[24:25], s[10:11]
.LBB10_1354:                            ;   Parent Loop BB10_1351 Depth=1
                                        ; =>  This Inner Loop Header: Depth=2
	global_load_ubyte v6, v26, s[24:25]
	s_waitcnt vmcnt(0)
	v_and_b32_e32 v25, 0xffff, v6
	v_lshlrev_b64 v[6:7], s22, v[25:26]
	s_add_u32 s22, s22, 8
	s_addc_u32 s23, s23, 0
	s_add_u32 s24, s24, 1
	s_addc_u32 s25, s25, 0
	v_or_b32_e32 v2, v6, v2
	s_cmp_lg_u32 s20, s22
	v_or_b32_e32 v3, v7, v3
	s_cbranch_scc1 .LBB10_1354
.LBB10_1355:                            ;   in Loop: Header=BB10_1351 Depth=1
	s_mov_b32 s15, 0
	s_andn2_b64 vcc, exec, s[4:5]
	s_mov_b64 s[4:5], s[10:11]
	s_cbranch_vccz .LBB10_1357
	s_branch .LBB10_1358
.LBB10_1356:                            ;   in Loop: Header=BB10_1351 Depth=1
                                        ; implicit-def: $vgpr2_vgpr3
                                        ; implicit-def: $sgpr15
	s_mov_b64 s[4:5], s[10:11]
.LBB10_1357:                            ;   in Loop: Header=BB10_1351 Depth=1
	global_load_dwordx2 v[2:3], v26, s[10:11]
	s_add_i32 s15, s18, -8
	s_add_u32 s4, s10, 8
	s_addc_u32 s5, s11, 0
.LBB10_1358:                            ;   in Loop: Header=BB10_1351 Depth=1
	s_cmp_gt_u32 s15, 7
	s_cbranch_scc1 .LBB10_1362
; %bb.1359:                             ;   in Loop: Header=BB10_1351 Depth=1
	s_cmp_eq_u32 s15, 0
	s_cbranch_scc1 .LBB10_1363
; %bb.1360:                             ;   in Loop: Header=BB10_1351 Depth=1
	v_mov_b32_e32 v10, 0
	s_mov_b64 s[20:21], 0
	v_mov_b32_e32 v11, 0
	s_mov_b64 s[22:23], 0
.LBB10_1361:                            ;   Parent Loop BB10_1351 Depth=1
                                        ; =>  This Inner Loop Header: Depth=2
	s_add_u32 s24, s4, s22
	s_addc_u32 s25, s5, s23
	global_load_ubyte v6, v26, s[24:25]
	s_add_u32 s22, s22, 1
	s_addc_u32 s23, s23, 0
	s_waitcnt vmcnt(0)
	v_and_b32_e32 v25, 0xffff, v6
	v_lshlrev_b64 v[6:7], s20, v[25:26]
	s_add_u32 s20, s20, 8
	s_addc_u32 s21, s21, 0
	v_or_b32_e32 v10, v6, v10
	s_cmp_lg_u32 s15, s22
	v_or_b32_e32 v11, v7, v11
	s_cbranch_scc1 .LBB10_1361
	s_branch .LBB10_1364
.LBB10_1362:                            ;   in Loop: Header=BB10_1351 Depth=1
                                        ; implicit-def: $vgpr10_vgpr11
                                        ; implicit-def: $sgpr24
	s_branch .LBB10_1365
.LBB10_1363:                            ;   in Loop: Header=BB10_1351 Depth=1
	v_mov_b32_e32 v10, 0
	v_mov_b32_e32 v11, 0
.LBB10_1364:                            ;   in Loop: Header=BB10_1351 Depth=1
	s_mov_b32 s24, 0
	s_cbranch_execnz .LBB10_1366
.LBB10_1365:                            ;   in Loop: Header=BB10_1351 Depth=1
	global_load_dwordx2 v[10:11], v26, s[4:5]
	s_add_i32 s24, s15, -8
	s_add_u32 s4, s4, 8
	s_addc_u32 s5, s5, 0
.LBB10_1366:                            ;   in Loop: Header=BB10_1351 Depth=1
	s_cmp_gt_u32 s24, 7
	s_cbranch_scc1 .LBB10_1370
; %bb.1367:                             ;   in Loop: Header=BB10_1351 Depth=1
	s_cmp_eq_u32 s24, 0
	s_cbranch_scc1 .LBB10_1371
; %bb.1368:                             ;   in Loop: Header=BB10_1351 Depth=1
	v_mov_b32_e32 v12, 0
	s_mov_b64 s[20:21], 0
	v_mov_b32_e32 v13, 0
	s_mov_b64 s[22:23], 0
.LBB10_1369:                            ;   Parent Loop BB10_1351 Depth=1
                                        ; =>  This Inner Loop Header: Depth=2
	s_add_u32 s26, s4, s22
	s_addc_u32 s27, s5, s23
	global_load_ubyte v6, v26, s[26:27]
	s_add_u32 s22, s22, 1
	s_addc_u32 s23, s23, 0
	s_waitcnt vmcnt(0)
	v_and_b32_e32 v25, 0xffff, v6
	v_lshlrev_b64 v[6:7], s20, v[25:26]
	s_add_u32 s20, s20, 8
	s_addc_u32 s21, s21, 0
	v_or_b32_e32 v12, v6, v12
	s_cmp_lg_u32 s24, s22
	v_or_b32_e32 v13, v7, v13
	s_cbranch_scc1 .LBB10_1369
	s_branch .LBB10_1372
.LBB10_1370:                            ;   in Loop: Header=BB10_1351 Depth=1
                                        ; implicit-def: $sgpr15
	s_branch .LBB10_1373
.LBB10_1371:                            ;   in Loop: Header=BB10_1351 Depth=1
	v_mov_b32_e32 v12, 0
	v_mov_b32_e32 v13, 0
.LBB10_1372:                            ;   in Loop: Header=BB10_1351 Depth=1
	s_mov_b32 s15, 0
	s_cbranch_execnz .LBB10_1374
.LBB10_1373:                            ;   in Loop: Header=BB10_1351 Depth=1
	global_load_dwordx2 v[12:13], v26, s[4:5]
	s_add_i32 s15, s24, -8
	s_add_u32 s4, s4, 8
	s_addc_u32 s5, s5, 0
.LBB10_1374:                            ;   in Loop: Header=BB10_1351 Depth=1
	s_cmp_gt_u32 s15, 7
	s_cbranch_scc1 .LBB10_1378
; %bb.1375:                             ;   in Loop: Header=BB10_1351 Depth=1
	s_cmp_eq_u32 s15, 0
	s_cbranch_scc1 .LBB10_1379
; %bb.1376:                             ;   in Loop: Header=BB10_1351 Depth=1
	v_mov_b32_e32 v14, 0
	s_mov_b64 s[20:21], 0
	v_mov_b32_e32 v15, 0
	s_mov_b64 s[22:23], 0
.LBB10_1377:                            ;   Parent Loop BB10_1351 Depth=1
                                        ; =>  This Inner Loop Header: Depth=2
	s_add_u32 s24, s4, s22
	s_addc_u32 s25, s5, s23
	global_load_ubyte v6, v26, s[24:25]
	s_add_u32 s22, s22, 1
	s_addc_u32 s23, s23, 0
	s_waitcnt vmcnt(0)
	v_and_b32_e32 v25, 0xffff, v6
	v_lshlrev_b64 v[6:7], s20, v[25:26]
	s_add_u32 s20, s20, 8
	s_addc_u32 s21, s21, 0
	v_or_b32_e32 v14, v6, v14
	s_cmp_lg_u32 s15, s22
	v_or_b32_e32 v15, v7, v15
	s_cbranch_scc1 .LBB10_1377
	s_branch .LBB10_1380
.LBB10_1378:                            ;   in Loop: Header=BB10_1351 Depth=1
                                        ; implicit-def: $vgpr14_vgpr15
                                        ; implicit-def: $sgpr24
	s_branch .LBB10_1381
.LBB10_1379:                            ;   in Loop: Header=BB10_1351 Depth=1
	v_mov_b32_e32 v14, 0
	v_mov_b32_e32 v15, 0
.LBB10_1380:                            ;   in Loop: Header=BB10_1351 Depth=1
	s_mov_b32 s24, 0
	s_cbranch_execnz .LBB10_1382
.LBB10_1381:                            ;   in Loop: Header=BB10_1351 Depth=1
	global_load_dwordx2 v[14:15], v26, s[4:5]
	s_add_i32 s24, s15, -8
	s_add_u32 s4, s4, 8
	s_addc_u32 s5, s5, 0
.LBB10_1382:                            ;   in Loop: Header=BB10_1351 Depth=1
	s_cmp_gt_u32 s24, 7
	s_cbranch_scc1 .LBB10_1386
; %bb.1383:                             ;   in Loop: Header=BB10_1351 Depth=1
	s_cmp_eq_u32 s24, 0
	s_cbranch_scc1 .LBB10_1387
; %bb.1384:                             ;   in Loop: Header=BB10_1351 Depth=1
	v_mov_b32_e32 v16, 0
	s_mov_b64 s[20:21], 0
	v_mov_b32_e32 v17, 0
	s_mov_b64 s[22:23], 0
.LBB10_1385:                            ;   Parent Loop BB10_1351 Depth=1
                                        ; =>  This Inner Loop Header: Depth=2
	s_add_u32 s26, s4, s22
	s_addc_u32 s27, s5, s23
	global_load_ubyte v6, v26, s[26:27]
	s_add_u32 s22, s22, 1
	s_addc_u32 s23, s23, 0
	s_waitcnt vmcnt(0)
	v_and_b32_e32 v25, 0xffff, v6
	v_lshlrev_b64 v[6:7], s20, v[25:26]
	s_add_u32 s20, s20, 8
	s_addc_u32 s21, s21, 0
	v_or_b32_e32 v16, v6, v16
	s_cmp_lg_u32 s24, s22
	v_or_b32_e32 v17, v7, v17
	s_cbranch_scc1 .LBB10_1385
	s_branch .LBB10_1388
.LBB10_1386:                            ;   in Loop: Header=BB10_1351 Depth=1
                                        ; implicit-def: $sgpr15
	s_branch .LBB10_1389
.LBB10_1387:                            ;   in Loop: Header=BB10_1351 Depth=1
	v_mov_b32_e32 v16, 0
	v_mov_b32_e32 v17, 0
.LBB10_1388:                            ;   in Loop: Header=BB10_1351 Depth=1
	s_mov_b32 s15, 0
	s_cbranch_execnz .LBB10_1390
.LBB10_1389:                            ;   in Loop: Header=BB10_1351 Depth=1
	global_load_dwordx2 v[16:17], v26, s[4:5]
	s_add_i32 s15, s24, -8
	s_add_u32 s4, s4, 8
	s_addc_u32 s5, s5, 0
.LBB10_1390:                            ;   in Loop: Header=BB10_1351 Depth=1
	s_cmp_gt_u32 s15, 7
	s_cbranch_scc1 .LBB10_1394
; %bb.1391:                             ;   in Loop: Header=BB10_1351 Depth=1
	s_cmp_eq_u32 s15, 0
	s_cbranch_scc1 .LBB10_1395
; %bb.1392:                             ;   in Loop: Header=BB10_1351 Depth=1
	v_mov_b32_e32 v18, 0
	s_mov_b64 s[20:21], 0
	v_mov_b32_e32 v19, 0
	s_mov_b64 s[22:23], 0
.LBB10_1393:                            ;   Parent Loop BB10_1351 Depth=1
                                        ; =>  This Inner Loop Header: Depth=2
	s_add_u32 s24, s4, s22
	s_addc_u32 s25, s5, s23
	global_load_ubyte v6, v26, s[24:25]
	s_add_u32 s22, s22, 1
	s_addc_u32 s23, s23, 0
	s_waitcnt vmcnt(0)
	v_and_b32_e32 v25, 0xffff, v6
	v_lshlrev_b64 v[6:7], s20, v[25:26]
	s_add_u32 s20, s20, 8
	s_addc_u32 s21, s21, 0
	v_or_b32_e32 v18, v6, v18
	s_cmp_lg_u32 s15, s22
	v_or_b32_e32 v19, v7, v19
	s_cbranch_scc1 .LBB10_1393
	s_branch .LBB10_1396
.LBB10_1394:                            ;   in Loop: Header=BB10_1351 Depth=1
                                        ; implicit-def: $vgpr18_vgpr19
                                        ; implicit-def: $sgpr24
	s_branch .LBB10_1397
.LBB10_1395:                            ;   in Loop: Header=BB10_1351 Depth=1
	v_mov_b32_e32 v18, 0
	v_mov_b32_e32 v19, 0
.LBB10_1396:                            ;   in Loop: Header=BB10_1351 Depth=1
	s_mov_b32 s24, 0
	s_cbranch_execnz .LBB10_1398
.LBB10_1397:                            ;   in Loop: Header=BB10_1351 Depth=1
	global_load_dwordx2 v[18:19], v26, s[4:5]
	s_add_i32 s24, s15, -8
	s_add_u32 s4, s4, 8
	s_addc_u32 s5, s5, 0
.LBB10_1398:                            ;   in Loop: Header=BB10_1351 Depth=1
	s_cmp_gt_u32 s24, 7
	s_cbranch_scc1 .LBB10_1402
; %bb.1399:                             ;   in Loop: Header=BB10_1351 Depth=1
	s_cmp_eq_u32 s24, 0
	s_cbranch_scc1 .LBB10_1403
; %bb.1400:                             ;   in Loop: Header=BB10_1351 Depth=1
	v_mov_b32_e32 v20, 0
	s_mov_b64 s[20:21], 0
	v_mov_b32_e32 v21, 0
	s_mov_b64 s[22:23], s[4:5]
.LBB10_1401:                            ;   Parent Loop BB10_1351 Depth=1
                                        ; =>  This Inner Loop Header: Depth=2
	global_load_ubyte v6, v26, s[22:23]
	s_add_i32 s24, s24, -1
	s_waitcnt vmcnt(0)
	v_and_b32_e32 v25, 0xffff, v6
	v_lshlrev_b64 v[6:7], s20, v[25:26]
	s_add_u32 s20, s20, 8
	s_addc_u32 s21, s21, 0
	s_add_u32 s22, s22, 1
	s_addc_u32 s23, s23, 0
	v_or_b32_e32 v20, v6, v20
	s_cmp_lg_u32 s24, 0
	v_or_b32_e32 v21, v7, v21
	s_cbranch_scc1 .LBB10_1401
	s_branch .LBB10_1404
.LBB10_1402:                            ;   in Loop: Header=BB10_1351 Depth=1
	s_branch .LBB10_1405
.LBB10_1403:                            ;   in Loop: Header=BB10_1351 Depth=1
	v_mov_b32_e32 v20, 0
	v_mov_b32_e32 v21, 0
.LBB10_1404:                            ;   in Loop: Header=BB10_1351 Depth=1
	s_cbranch_execnz .LBB10_1406
.LBB10_1405:                            ;   in Loop: Header=BB10_1351 Depth=1
	global_load_dwordx2 v[20:21], v26, s[4:5]
.LBB10_1406:                            ;   in Loop: Header=BB10_1351 Depth=1
	v_readfirstlane_b32 s4, v32
	v_mov_b32_e32 v6, 0
	v_mov_b32_e32 v7, 0
	v_cmp_eq_u32_e64 s[4:5], s4, v32
	s_and_saveexec_b64 s[20:21], s[4:5]
	s_cbranch_execz .LBB10_1412
; %bb.1407:                             ;   in Loop: Header=BB10_1351 Depth=1
	global_load_dwordx2 v[24:25], v26, s[6:7] offset:24 glc
	s_waitcnt vmcnt(0)
	buffer_wbinvl1_vol
	global_load_dwordx2 v[6:7], v26, s[6:7] offset:40
	global_load_dwordx2 v[22:23], v26, s[6:7]
	s_waitcnt vmcnt(1)
	v_and_b32_e32 v6, v6, v24
	v_and_b32_e32 v7, v7, v25
	v_mul_lo_u32 v7, v7, 24
	v_mul_hi_u32 v27, v6, 24
	v_mul_lo_u32 v6, v6, 24
	v_add_u32_e32 v7, v27, v7
	s_waitcnt vmcnt(0)
	v_add_co_u32_e32 v6, vcc, v22, v6
	v_addc_co_u32_e32 v7, vcc, v23, v7, vcc
	global_load_dwordx2 v[22:23], v[6:7], off glc
	s_waitcnt vmcnt(0)
	global_atomic_cmpswap_x2 v[6:7], v26, v[22:25], s[6:7] offset:24 glc
	s_waitcnt vmcnt(0)
	buffer_wbinvl1_vol
	v_cmp_ne_u64_e32 vcc, v[6:7], v[24:25]
	s_and_saveexec_b64 s[22:23], vcc
	s_cbranch_execz .LBB10_1411
; %bb.1408:                             ;   in Loop: Header=BB10_1351 Depth=1
	s_mov_b64 s[24:25], 0
.LBB10_1409:                            ;   Parent Loop BB10_1351 Depth=1
                                        ; =>  This Inner Loop Header: Depth=2
	s_sleep 1
	global_load_dwordx2 v[22:23], v26, s[6:7] offset:40
	global_load_dwordx2 v[27:28], v26, s[6:7]
	v_mov_b32_e32 v25, v7
	v_mov_b32_e32 v24, v6
	s_waitcnt vmcnt(1)
	v_and_b32_e32 v6, v22, v24
	s_waitcnt vmcnt(0)
	v_mad_u64_u32 v[6:7], s[26:27], v6, 24, v[27:28]
	v_and_b32_e32 v22, v23, v25
	v_mad_u64_u32 v[22:23], s[26:27], v22, 24, v[7:8]
	v_mov_b32_e32 v7, v22
	global_load_dwordx2 v[22:23], v[6:7], off glc
	s_waitcnt vmcnt(0)
	global_atomic_cmpswap_x2 v[6:7], v26, v[22:25], s[6:7] offset:24 glc
	s_waitcnt vmcnt(0)
	buffer_wbinvl1_vol
	v_cmp_eq_u64_e32 vcc, v[6:7], v[24:25]
	s_or_b64 s[24:25], vcc, s[24:25]
	s_andn2_b64 exec, exec, s[24:25]
	s_cbranch_execnz .LBB10_1409
; %bb.1410:                             ;   in Loop: Header=BB10_1351 Depth=1
	s_or_b64 exec, exec, s[24:25]
.LBB10_1411:                            ;   in Loop: Header=BB10_1351 Depth=1
	s_or_b64 exec, exec, s[22:23]
.LBB10_1412:                            ;   in Loop: Header=BB10_1351 Depth=1
	s_or_b64 exec, exec, s[20:21]
	global_load_dwordx2 v[27:28], v26, s[6:7] offset:40
	global_load_dwordx4 v[22:25], v26, s[6:7]
	v_readfirstlane_b32 s20, v6
	v_readfirstlane_b32 s21, v7
	s_mov_b64 s[22:23], exec
	s_waitcnt vmcnt(1)
	v_readfirstlane_b32 s24, v27
	v_readfirstlane_b32 s25, v28
	s_and_b64 s[24:25], s[20:21], s[24:25]
	s_mul_i32 s15, s25, 24
	s_mul_hi_u32 s26, s24, 24
	s_mul_i32 s27, s24, 24
	s_add_i32 s15, s26, s15
	v_mov_b32_e32 v6, s15
	s_waitcnt vmcnt(0)
	v_add_co_u32_e32 v27, vcc, s27, v22
	v_addc_co_u32_e32 v28, vcc, v23, v6, vcc
	s_and_saveexec_b64 s[26:27], s[4:5]
	s_cbranch_execz .LBB10_1414
; %bb.1413:                             ;   in Loop: Header=BB10_1351 Depth=1
	v_mov_b32_e32 v6, s22
	v_mov_b32_e32 v7, s23
	global_store_dwordx4 v[27:28], v[6:9], off offset:8
.LBB10_1414:                            ;   in Loop: Header=BB10_1351 Depth=1
	s_or_b64 exec, exec, s[26:27]
	s_lshl_b64 s[22:23], s[24:25], 12
	v_mov_b32_e32 v6, s23
	v_add_co_u32_e32 v24, vcc, s22, v24
	v_addc_co_u32_e32 v30, vcc, v25, v6, vcc
	v_cmp_gt_u64_e64 vcc, s[16:17], 56
	v_or_b32_e32 v7, v0, v29
	s_lshl_b32 s15, s18, 2
	v_cndmask_b32_e32 v0, v7, v0, vcc
	s_add_i32 s15, s15, 28
	v_or_b32_e32 v6, 0, v1
	s_and_b32 s15, s15, 0x1e0
	v_and_b32_e32 v0, 0xffffff1f, v0
	v_cndmask_b32_e32 v1, v6, v1, vcc
	v_or_b32_e32 v0, s15, v0
	v_readfirstlane_b32 s22, v24
	v_readfirstlane_b32 s23, v30
	s_nop 4
	global_store_dwordx4 v31, v[0:3], s[22:23]
	global_store_dwordx4 v31, v[10:13], s[22:23] offset:16
	global_store_dwordx4 v31, v[14:17], s[22:23] offset:32
	global_store_dwordx4 v31, v[18:21], s[22:23] offset:48
	s_and_saveexec_b64 s[22:23], s[4:5]
	s_cbranch_execz .LBB10_1422
; %bb.1415:                             ;   in Loop: Header=BB10_1351 Depth=1
	global_load_dwordx2 v[12:13], v26, s[6:7] offset:32 glc
	global_load_dwordx2 v[0:1], v26, s[6:7] offset:40
	v_mov_b32_e32 v10, s20
	v_mov_b32_e32 v11, s21
	s_waitcnt vmcnt(0)
	v_readfirstlane_b32 s24, v0
	v_readfirstlane_b32 s25, v1
	s_and_b64 s[24:25], s[24:25], s[20:21]
	s_mul_i32 s15, s25, 24
	s_mul_hi_u32 s25, s24, 24
	s_mul_i32 s24, s24, 24
	s_add_i32 s15, s25, s15
	v_mov_b32_e32 v0, s15
	v_add_co_u32_e32 v6, vcc, s24, v22
	v_addc_co_u32_e32 v7, vcc, v23, v0, vcc
	global_store_dwordx2 v[6:7], v[12:13], off
	s_waitcnt vmcnt(0)
	global_atomic_cmpswap_x2 v[2:3], v26, v[10:13], s[6:7] offset:32 glc
	s_waitcnt vmcnt(0)
	v_cmp_ne_u64_e32 vcc, v[2:3], v[12:13]
	s_and_saveexec_b64 s[24:25], vcc
	s_cbranch_execz .LBB10_1418
; %bb.1416:                             ;   in Loop: Header=BB10_1351 Depth=1
	s_mov_b64 s[26:27], 0
.LBB10_1417:                            ;   Parent Loop BB10_1351 Depth=1
                                        ; =>  This Inner Loop Header: Depth=2
	s_sleep 1
	global_store_dwordx2 v[6:7], v[2:3], off
	v_mov_b32_e32 v0, s20
	v_mov_b32_e32 v1, s21
	s_waitcnt vmcnt(0)
	global_atomic_cmpswap_x2 v[0:1], v26, v[0:3], s[6:7] offset:32 glc
	s_waitcnt vmcnt(0)
	v_cmp_eq_u64_e32 vcc, v[0:1], v[2:3]
	v_mov_b32_e32 v3, v1
	s_or_b64 s[26:27], vcc, s[26:27]
	v_mov_b32_e32 v2, v0
	s_andn2_b64 exec, exec, s[26:27]
	s_cbranch_execnz .LBB10_1417
.LBB10_1418:                            ;   in Loop: Header=BB10_1351 Depth=1
	s_or_b64 exec, exec, s[24:25]
	global_load_dwordx2 v[0:1], v26, s[6:7] offset:16
	s_mov_b64 s[26:27], exec
	v_mbcnt_lo_u32_b32 v2, s26, 0
	v_mbcnt_hi_u32_b32 v2, s27, v2
	v_cmp_eq_u32_e32 vcc, 0, v2
	s_and_saveexec_b64 s[24:25], vcc
	s_cbranch_execz .LBB10_1420
; %bb.1419:                             ;   in Loop: Header=BB10_1351 Depth=1
	s_bcnt1_i32_b64 s15, s[26:27]
	v_mov_b32_e32 v25, s15
	s_waitcnt vmcnt(0)
	global_atomic_add_x2 v[0:1], v[25:26], off offset:8
.LBB10_1420:                            ;   in Loop: Header=BB10_1351 Depth=1
	s_or_b64 exec, exec, s[24:25]
	s_waitcnt vmcnt(0)
	global_load_dwordx2 v[2:3], v[0:1], off offset:16
	s_waitcnt vmcnt(0)
	v_cmp_eq_u64_e32 vcc, 0, v[2:3]
	s_cbranch_vccnz .LBB10_1422
; %bb.1421:                             ;   in Loop: Header=BB10_1351 Depth=1
	global_load_dword v25, v[0:1], off offset:24
	s_waitcnt vmcnt(0)
	v_and_b32_e32 v0, 0xffffff, v25
	v_readfirstlane_b32 m0, v0
	global_store_dwordx2 v[2:3], v[25:26], off
	s_sendmsg sendmsg(MSG_INTERRUPT)
.LBB10_1422:                            ;   in Loop: Header=BB10_1351 Depth=1
	s_or_b64 exec, exec, s[22:23]
	v_add_co_u32_e32 v0, vcc, v24, v31
	v_addc_co_u32_e32 v1, vcc, 0, v30, vcc
	s_branch .LBB10_1426
.LBB10_1423:                            ;   in Loop: Header=BB10_1426 Depth=2
	s_or_b64 exec, exec, s[22:23]
	v_readfirstlane_b32 s15, v2
	s_cmp_eq_u32 s15, 0
	s_cbranch_scc1 .LBB10_1425
; %bb.1424:                             ;   in Loop: Header=BB10_1426 Depth=2
	s_sleep 1
	s_cbranch_execnz .LBB10_1426
	s_branch .LBB10_1428
.LBB10_1425:                            ;   in Loop: Header=BB10_1351 Depth=1
	s_branch .LBB10_1428
.LBB10_1426:                            ;   Parent Loop BB10_1351 Depth=1
                                        ; =>  This Inner Loop Header: Depth=2
	v_mov_b32_e32 v2, 1
	s_and_saveexec_b64 s[22:23], s[4:5]
	s_cbranch_execz .LBB10_1423
; %bb.1427:                             ;   in Loop: Header=BB10_1426 Depth=2
	global_load_dword v2, v[27:28], off offset:20 glc
	s_waitcnt vmcnt(0)
	buffer_wbinvl1_vol
	v_and_b32_e32 v2, 1, v2
	s_branch .LBB10_1423
.LBB10_1428:                            ;   in Loop: Header=BB10_1351 Depth=1
	global_load_dwordx4 v[0:3], v[0:1], off
	s_and_saveexec_b64 s[22:23], s[4:5]
	s_cbranch_execz .LBB10_1350
; %bb.1429:                             ;   in Loop: Header=BB10_1351 Depth=1
	global_load_dwordx2 v[2:3], v26, s[6:7] offset:40
	global_load_dwordx2 v[6:7], v26, s[6:7] offset:24 glc
	global_load_dwordx2 v[13:14], v26, s[6:7]
	v_mov_b32_e32 v11, s21
	s_waitcnt vmcnt(2)
	v_add_co_u32_e32 v12, vcc, 1, v2
	v_addc_co_u32_e32 v15, vcc, 0, v3, vcc
	v_add_co_u32_e32 v10, vcc, s20, v12
	v_addc_co_u32_e32 v11, vcc, v15, v11, vcc
	v_cmp_eq_u64_e32 vcc, 0, v[10:11]
	v_cndmask_b32_e32 v11, v11, v15, vcc
	v_cndmask_b32_e32 v10, v10, v12, vcc
	v_and_b32_e32 v3, v11, v3
	v_and_b32_e32 v2, v10, v2
	v_mul_lo_u32 v3, v3, 24
	v_mul_hi_u32 v15, v2, 24
	v_mul_lo_u32 v2, v2, 24
	s_waitcnt vmcnt(1)
	v_mov_b32_e32 v12, v6
	v_add_u32_e32 v3, v15, v3
	s_waitcnt vmcnt(0)
	v_add_co_u32_e32 v2, vcc, v13, v2
	v_addc_co_u32_e32 v3, vcc, v14, v3, vcc
	global_store_dwordx2 v[2:3], v[6:7], off
	v_mov_b32_e32 v13, v7
	s_waitcnt vmcnt(0)
	global_atomic_cmpswap_x2 v[12:13], v26, v[10:13], s[6:7] offset:24 glc
	s_waitcnt vmcnt(0)
	v_cmp_ne_u64_e32 vcc, v[12:13], v[6:7]
	s_and_b64 exec, exec, vcc
	s_cbranch_execz .LBB10_1350
; %bb.1430:                             ;   in Loop: Header=BB10_1351 Depth=1
	s_mov_b64 s[4:5], 0
.LBB10_1431:                            ;   Parent Loop BB10_1351 Depth=1
                                        ; =>  This Inner Loop Header: Depth=2
	s_sleep 1
	global_store_dwordx2 v[2:3], v[12:13], off
	s_waitcnt vmcnt(0)
	global_atomic_cmpswap_x2 v[6:7], v26, v[10:13], s[6:7] offset:24 glc
	s_waitcnt vmcnt(0)
	v_cmp_eq_u64_e32 vcc, v[6:7], v[12:13]
	v_mov_b32_e32 v13, v7
	s_or_b64 s[4:5], vcc, s[4:5]
	v_mov_b32_e32 v12, v6
	s_andn2_b64 exec, exec, s[4:5]
	s_cbranch_execnz .LBB10_1431
	s_branch .LBB10_1350
.LBB10_1432:
	s_branch .LBB10_1460
.LBB10_1433:
                                        ; implicit-def: $vgpr0_vgpr1
	s_cbranch_execz .LBB10_1460
; %bb.1434:
	v_readfirstlane_b32 s4, v32
	v_mov_b32_e32 v7, 0
	v_mov_b32_e32 v8, 0
	v_cmp_eq_u32_e64 s[4:5], s4, v32
	s_and_saveexec_b64 s[10:11], s[4:5]
	s_cbranch_execz .LBB10_1440
; %bb.1435:
	s_waitcnt vmcnt(0)
	v_mov_b32_e32 v0, 0
	global_load_dwordx2 v[9:10], v0, s[6:7] offset:24 glc
	s_waitcnt vmcnt(0)
	buffer_wbinvl1_vol
	global_load_dwordx2 v[1:2], v0, s[6:7] offset:40
	global_load_dwordx2 v[6:7], v0, s[6:7]
	s_waitcnt vmcnt(1)
	v_and_b32_e32 v1, v1, v9
	v_and_b32_e32 v2, v2, v10
	v_mul_lo_u32 v2, v2, 24
	v_mul_hi_u32 v3, v1, 24
	v_mul_lo_u32 v1, v1, 24
	v_add_u32_e32 v2, v3, v2
	s_waitcnt vmcnt(0)
	v_add_co_u32_e32 v1, vcc, v6, v1
	v_addc_co_u32_e32 v2, vcc, v7, v2, vcc
	global_load_dwordx2 v[7:8], v[1:2], off glc
	s_waitcnt vmcnt(0)
	global_atomic_cmpswap_x2 v[7:8], v0, v[7:10], s[6:7] offset:24 glc
	s_waitcnt vmcnt(0)
	buffer_wbinvl1_vol
	v_cmp_ne_u64_e32 vcc, v[7:8], v[9:10]
	s_and_saveexec_b64 s[16:17], vcc
	s_cbranch_execz .LBB10_1439
; %bb.1436:
	s_mov_b64 s[18:19], 0
.LBB10_1437:                            ; =>This Inner Loop Header: Depth=1
	s_sleep 1
	global_load_dwordx2 v[1:2], v0, s[6:7] offset:40
	global_load_dwordx2 v[11:12], v0, s[6:7]
	v_mov_b32_e32 v10, v8
	v_mov_b32_e32 v9, v7
	s_waitcnt vmcnt(1)
	v_and_b32_e32 v1, v1, v9
	s_waitcnt vmcnt(0)
	v_mad_u64_u32 v[6:7], s[20:21], v1, 24, v[11:12]
	v_and_b32_e32 v2, v2, v10
	v_mov_b32_e32 v1, v7
	v_mad_u64_u32 v[1:2], s[20:21], v2, 24, v[1:2]
	v_mov_b32_e32 v7, v1
	global_load_dwordx2 v[7:8], v[6:7], off glc
	s_waitcnt vmcnt(0)
	global_atomic_cmpswap_x2 v[7:8], v0, v[7:10], s[6:7] offset:24 glc
	s_waitcnt vmcnt(0)
	buffer_wbinvl1_vol
	v_cmp_eq_u64_e32 vcc, v[7:8], v[9:10]
	s_or_b64 s[18:19], vcc, s[18:19]
	s_andn2_b64 exec, exec, s[18:19]
	s_cbranch_execnz .LBB10_1437
; %bb.1438:
	s_or_b64 exec, exec, s[18:19]
.LBB10_1439:
	s_or_b64 exec, exec, s[16:17]
.LBB10_1440:
	s_or_b64 exec, exec, s[10:11]
	v_mov_b32_e32 v6, 0
	global_load_dwordx2 v[9:10], v6, s[6:7] offset:40
	global_load_dwordx4 v[0:3], v6, s[6:7]
	v_readfirstlane_b32 s10, v7
	v_readfirstlane_b32 s11, v8
	s_mov_b64 s[16:17], exec
	s_waitcnt vmcnt(1)
	v_readfirstlane_b32 s18, v9
	v_readfirstlane_b32 s19, v10
	s_and_b64 s[18:19], s[10:11], s[18:19]
	s_mul_i32 s15, s19, 24
	s_mul_hi_u32 s20, s18, 24
	s_mul_i32 s21, s18, 24
	s_add_i32 s15, s20, s15
	v_mov_b32_e32 v7, s15
	s_waitcnt vmcnt(0)
	v_add_co_u32_e32 v8, vcc, s21, v0
	v_addc_co_u32_e32 v9, vcc, v1, v7, vcc
	s_and_saveexec_b64 s[20:21], s[4:5]
	s_cbranch_execz .LBB10_1442
; %bb.1441:
	v_mov_b32_e32 v10, s16
	v_mov_b32_e32 v11, s17
	;; [unrolled: 1-line block ×4, first 2 shown]
	global_store_dwordx4 v[8:9], v[10:13], off offset:8
.LBB10_1442:
	s_or_b64 exec, exec, s[20:21]
	s_lshl_b64 s[16:17], s[18:19], 12
	v_mov_b32_e32 v7, s17
	v_add_co_u32_e32 v2, vcc, s16, v2
	v_addc_co_u32_e32 v3, vcc, v3, v7, vcc
	s_movk_i32 s15, 0xff1f
	v_and_or_b32 v4, v4, s15, 32
	v_add_co_u32_e32 v10, vcc, v2, v31
	s_mov_b32 s16, 0
	v_mov_b32_e32 v7, v6
	v_readfirstlane_b32 s20, v2
	v_readfirstlane_b32 s21, v3
	v_addc_co_u32_e32 v11, vcc, 0, v3, vcc
	s_mov_b32 s17, s16
	s_mov_b32 s18, s16
	;; [unrolled: 1-line block ×3, first 2 shown]
	s_nop 0
	global_store_dwordx4 v31, v[4:7], s[20:21]
	v_mov_b32_e32 v2, s16
	v_mov_b32_e32 v3, s17
	;; [unrolled: 1-line block ×4, first 2 shown]
	global_store_dwordx4 v31, v[2:5], s[20:21] offset:16
	global_store_dwordx4 v31, v[2:5], s[20:21] offset:32
	;; [unrolled: 1-line block ×3, first 2 shown]
	s_and_saveexec_b64 s[16:17], s[4:5]
	s_cbranch_execz .LBB10_1450
; %bb.1443:
	v_mov_b32_e32 v6, 0
	global_load_dwordx2 v[14:15], v6, s[6:7] offset:32 glc
	global_load_dwordx2 v[2:3], v6, s[6:7] offset:40
	v_mov_b32_e32 v12, s10
	v_mov_b32_e32 v13, s11
	s_waitcnt vmcnt(0)
	v_readfirstlane_b32 s18, v2
	v_readfirstlane_b32 s19, v3
	s_and_b64 s[18:19], s[18:19], s[10:11]
	s_mul_i32 s15, s19, 24
	s_mul_hi_u32 s19, s18, 24
	s_mul_i32 s18, s18, 24
	s_add_i32 s15, s19, s15
	v_mov_b32_e32 v2, s15
	v_add_co_u32_e32 v4, vcc, s18, v0
	v_addc_co_u32_e32 v5, vcc, v1, v2, vcc
	global_store_dwordx2 v[4:5], v[14:15], off
	s_waitcnt vmcnt(0)
	global_atomic_cmpswap_x2 v[2:3], v6, v[12:15], s[6:7] offset:32 glc
	s_waitcnt vmcnt(0)
	v_cmp_ne_u64_e32 vcc, v[2:3], v[14:15]
	s_and_saveexec_b64 s[18:19], vcc
	s_cbranch_execz .LBB10_1446
; %bb.1444:
	s_mov_b64 s[20:21], 0
.LBB10_1445:                            ; =>This Inner Loop Header: Depth=1
	s_sleep 1
	global_store_dwordx2 v[4:5], v[2:3], off
	v_mov_b32_e32 v0, s10
	v_mov_b32_e32 v1, s11
	s_waitcnt vmcnt(0)
	global_atomic_cmpswap_x2 v[0:1], v6, v[0:3], s[6:7] offset:32 glc
	s_waitcnt vmcnt(0)
	v_cmp_eq_u64_e32 vcc, v[0:1], v[2:3]
	v_mov_b32_e32 v3, v1
	s_or_b64 s[20:21], vcc, s[20:21]
	v_mov_b32_e32 v2, v0
	s_andn2_b64 exec, exec, s[20:21]
	s_cbranch_execnz .LBB10_1445
.LBB10_1446:
	s_or_b64 exec, exec, s[18:19]
	v_mov_b32_e32 v3, 0
	global_load_dwordx2 v[0:1], v3, s[6:7] offset:16
	s_mov_b64 s[18:19], exec
	v_mbcnt_lo_u32_b32 v2, s18, 0
	v_mbcnt_hi_u32_b32 v2, s19, v2
	v_cmp_eq_u32_e32 vcc, 0, v2
	s_and_saveexec_b64 s[20:21], vcc
	s_cbranch_execz .LBB10_1448
; %bb.1447:
	s_bcnt1_i32_b64 s15, s[18:19]
	v_mov_b32_e32 v2, s15
	s_waitcnt vmcnt(0)
	global_atomic_add_x2 v[0:1], v[2:3], off offset:8
.LBB10_1448:
	s_or_b64 exec, exec, s[20:21]
	s_waitcnt vmcnt(0)
	global_load_dwordx2 v[2:3], v[0:1], off offset:16
	s_waitcnt vmcnt(0)
	v_cmp_eq_u64_e32 vcc, 0, v[2:3]
	s_cbranch_vccnz .LBB10_1450
; %bb.1449:
	global_load_dword v0, v[0:1], off offset:24
	v_mov_b32_e32 v1, 0
	s_waitcnt vmcnt(0)
	global_store_dwordx2 v[2:3], v[0:1], off
	v_and_b32_e32 v0, 0xffffff, v0
	v_readfirstlane_b32 m0, v0
	s_sendmsg sendmsg(MSG_INTERRUPT)
.LBB10_1450:
	s_or_b64 exec, exec, s[16:17]
	s_branch .LBB10_1454
.LBB10_1451:                            ;   in Loop: Header=BB10_1454 Depth=1
	s_or_b64 exec, exec, s[16:17]
	v_readfirstlane_b32 s15, v0
	s_cmp_eq_u32 s15, 0
	s_cbranch_scc1 .LBB10_1453
; %bb.1452:                             ;   in Loop: Header=BB10_1454 Depth=1
	s_sleep 1
	s_cbranch_execnz .LBB10_1454
	s_branch .LBB10_1456
.LBB10_1453:
	s_branch .LBB10_1456
.LBB10_1454:                            ; =>This Inner Loop Header: Depth=1
	v_mov_b32_e32 v0, 1
	s_and_saveexec_b64 s[16:17], s[4:5]
	s_cbranch_execz .LBB10_1451
; %bb.1455:                             ;   in Loop: Header=BB10_1454 Depth=1
	global_load_dword v0, v[8:9], off offset:20 glc
	s_waitcnt vmcnt(0)
	buffer_wbinvl1_vol
	v_and_b32_e32 v0, 1, v0
	s_branch .LBB10_1451
.LBB10_1456:
	global_load_dwordx2 v[0:1], v[10:11], off
	s_and_saveexec_b64 s[16:17], s[4:5]
	s_cbranch_execz .LBB10_1459
; %bb.1457:
	v_mov_b32_e32 v8, 0
	global_load_dwordx2 v[4:5], v8, s[6:7] offset:40
	global_load_dwordx2 v[9:10], v8, s[6:7] offset:24 glc
	global_load_dwordx2 v[6:7], v8, s[6:7]
	v_mov_b32_e32 v3, s11
	s_mov_b64 s[4:5], 0
	s_waitcnt vmcnt(2)
	v_add_co_u32_e32 v11, vcc, 1, v4
	v_addc_co_u32_e32 v12, vcc, 0, v5, vcc
	v_add_co_u32_e32 v2, vcc, s10, v11
	v_addc_co_u32_e32 v3, vcc, v12, v3, vcc
	v_cmp_eq_u64_e32 vcc, 0, v[2:3]
	v_cndmask_b32_e32 v3, v3, v12, vcc
	v_cndmask_b32_e32 v2, v2, v11, vcc
	v_and_b32_e32 v5, v3, v5
	v_and_b32_e32 v4, v2, v4
	v_mul_lo_u32 v5, v5, 24
	v_mul_hi_u32 v11, v4, 24
	v_mul_lo_u32 v12, v4, 24
	s_waitcnt vmcnt(1)
	v_mov_b32_e32 v4, v9
	v_add_u32_e32 v5, v11, v5
	s_waitcnt vmcnt(0)
	v_add_co_u32_e32 v6, vcc, v6, v12
	v_addc_co_u32_e32 v7, vcc, v7, v5, vcc
	global_store_dwordx2 v[6:7], v[9:10], off
	v_mov_b32_e32 v5, v10
	s_waitcnt vmcnt(0)
	global_atomic_cmpswap_x2 v[4:5], v8, v[2:5], s[6:7] offset:24 glc
	s_waitcnt vmcnt(0)
	v_cmp_ne_u64_e32 vcc, v[4:5], v[9:10]
	s_and_b64 exec, exec, vcc
	s_cbranch_execz .LBB10_1459
.LBB10_1458:                            ; =>This Inner Loop Header: Depth=1
	s_sleep 1
	global_store_dwordx2 v[6:7], v[4:5], off
	s_waitcnt vmcnt(0)
	global_atomic_cmpswap_x2 v[9:10], v8, v[2:5], s[6:7] offset:24 glc
	s_waitcnt vmcnt(0)
	v_cmp_eq_u64_e32 vcc, v[9:10], v[4:5]
	v_mov_b32_e32 v4, v9
	s_or_b64 s[4:5], vcc, s[4:5]
	v_mov_b32_e32 v5, v10
	s_andn2_b64 exec, exec, s[4:5]
	s_cbranch_execnz .LBB10_1458
.LBB10_1459:
	s_or_b64 exec, exec, s[16:17]
.LBB10_1460:
	s_getpc_b64 s[10:11]
	s_add_u32 s10, s10, .str.2@rel32@lo+4
	s_addc_u32 s11, s11, .str.2@rel32@hi+12
	s_cmp_lg_u64 s[10:11], 0
	s_cbranch_scc0 .LBB10_1545
; %bb.1461:
	s_waitcnt vmcnt(0)
	v_and_b32_e32 v6, -3, v0
	v_mov_b32_e32 v7, v1
	s_mov_b64 s[16:17], 13
	v_mov_b32_e32 v26, 0
	v_mov_b32_e32 v4, 2
	;; [unrolled: 1-line block ×3, first 2 shown]
	s_branch .LBB10_1463
.LBB10_1462:                            ;   in Loop: Header=BB10_1463 Depth=1
	s_or_b64 exec, exec, s[22:23]
	s_sub_u32 s16, s16, s18
	s_subb_u32 s17, s17, s19
	s_add_u32 s10, s10, s18
	s_addc_u32 s11, s11, s19
	s_cmp_lg_u64 s[16:17], 0
	s_cbranch_scc0 .LBB10_1544
.LBB10_1463:                            ; =>This Loop Header: Depth=1
                                        ;     Child Loop BB10_1466 Depth 2
                                        ;     Child Loop BB10_1473 Depth 2
	;; [unrolled: 1-line block ×11, first 2 shown]
	v_cmp_lt_u64_e64 s[4:5], s[16:17], 56
	v_cmp_gt_u64_e64 s[20:21], s[16:17], 7
	s_and_b64 s[4:5], s[4:5], exec
	s_cselect_b32 s19, s17, 0
	s_cselect_b32 s18, s16, 56
	s_and_b64 vcc, exec, s[20:21]
	s_cbranch_vccnz .LBB10_1468
; %bb.1464:                             ;   in Loop: Header=BB10_1463 Depth=1
	s_waitcnt vmcnt(0)
	v_mov_b32_e32 v8, 0
	s_cmp_eq_u64 s[16:17], 0
	v_mov_b32_e32 v9, 0
	s_mov_b64 s[4:5], 0
	s_cbranch_scc1 .LBB10_1467
; %bb.1465:                             ;   in Loop: Header=BB10_1463 Depth=1
	v_mov_b32_e32 v8, 0
	s_lshl_b64 s[20:21], s[18:19], 3
	s_mov_b64 s[22:23], 0
	v_mov_b32_e32 v9, 0
	s_mov_b64 s[24:25], s[10:11]
.LBB10_1466:                            ;   Parent Loop BB10_1463 Depth=1
                                        ; =>  This Inner Loop Header: Depth=2
	global_load_ubyte v2, v26, s[24:25]
	s_waitcnt vmcnt(0)
	v_and_b32_e32 v25, 0xffff, v2
	v_lshlrev_b64 v[2:3], s22, v[25:26]
	s_add_u32 s22, s22, 8
	s_addc_u32 s23, s23, 0
	s_add_u32 s24, s24, 1
	s_addc_u32 s25, s25, 0
	v_or_b32_e32 v8, v2, v8
	s_cmp_lg_u32 s20, s22
	v_or_b32_e32 v9, v3, v9
	s_cbranch_scc1 .LBB10_1466
.LBB10_1467:                            ;   in Loop: Header=BB10_1463 Depth=1
	s_mov_b32 s15, 0
	s_andn2_b64 vcc, exec, s[4:5]
	s_mov_b64 s[4:5], s[10:11]
	s_cbranch_vccz .LBB10_1469
	s_branch .LBB10_1470
.LBB10_1468:                            ;   in Loop: Header=BB10_1463 Depth=1
                                        ; implicit-def: $sgpr15
	s_mov_b64 s[4:5], s[10:11]
.LBB10_1469:                            ;   in Loop: Header=BB10_1463 Depth=1
	global_load_dwordx2 v[8:9], v26, s[10:11]
	s_add_i32 s15, s18, -8
	s_add_u32 s4, s10, 8
	s_addc_u32 s5, s11, 0
.LBB10_1470:                            ;   in Loop: Header=BB10_1463 Depth=1
	s_cmp_gt_u32 s15, 7
	s_cbranch_scc1 .LBB10_1474
; %bb.1471:                             ;   in Loop: Header=BB10_1463 Depth=1
	s_cmp_eq_u32 s15, 0
	s_cbranch_scc1 .LBB10_1475
; %bb.1472:                             ;   in Loop: Header=BB10_1463 Depth=1
	v_mov_b32_e32 v10, 0
	s_mov_b64 s[20:21], 0
	v_mov_b32_e32 v11, 0
	s_mov_b64 s[22:23], 0
.LBB10_1473:                            ;   Parent Loop BB10_1463 Depth=1
                                        ; =>  This Inner Loop Header: Depth=2
	s_add_u32 s24, s4, s22
	s_addc_u32 s25, s5, s23
	global_load_ubyte v2, v26, s[24:25]
	s_add_u32 s22, s22, 1
	s_addc_u32 s23, s23, 0
	s_waitcnt vmcnt(0)
	v_and_b32_e32 v25, 0xffff, v2
	v_lshlrev_b64 v[2:3], s20, v[25:26]
	s_add_u32 s20, s20, 8
	s_addc_u32 s21, s21, 0
	v_or_b32_e32 v10, v2, v10
	s_cmp_lg_u32 s15, s22
	v_or_b32_e32 v11, v3, v11
	s_cbranch_scc1 .LBB10_1473
	s_branch .LBB10_1476
.LBB10_1474:                            ;   in Loop: Header=BB10_1463 Depth=1
                                        ; implicit-def: $vgpr10_vgpr11
                                        ; implicit-def: $sgpr24
	s_branch .LBB10_1477
.LBB10_1475:                            ;   in Loop: Header=BB10_1463 Depth=1
	v_mov_b32_e32 v10, 0
	v_mov_b32_e32 v11, 0
.LBB10_1476:                            ;   in Loop: Header=BB10_1463 Depth=1
	s_mov_b32 s24, 0
	s_cbranch_execnz .LBB10_1478
.LBB10_1477:                            ;   in Loop: Header=BB10_1463 Depth=1
	global_load_dwordx2 v[10:11], v26, s[4:5]
	s_add_i32 s24, s15, -8
	s_add_u32 s4, s4, 8
	s_addc_u32 s5, s5, 0
.LBB10_1478:                            ;   in Loop: Header=BB10_1463 Depth=1
	s_cmp_gt_u32 s24, 7
	s_cbranch_scc1 .LBB10_1482
; %bb.1479:                             ;   in Loop: Header=BB10_1463 Depth=1
	s_cmp_eq_u32 s24, 0
	s_cbranch_scc1 .LBB10_1483
; %bb.1480:                             ;   in Loop: Header=BB10_1463 Depth=1
	v_mov_b32_e32 v12, 0
	s_mov_b64 s[20:21], 0
	v_mov_b32_e32 v13, 0
	s_mov_b64 s[22:23], 0
.LBB10_1481:                            ;   Parent Loop BB10_1463 Depth=1
                                        ; =>  This Inner Loop Header: Depth=2
	s_add_u32 s26, s4, s22
	s_addc_u32 s27, s5, s23
	global_load_ubyte v2, v26, s[26:27]
	s_add_u32 s22, s22, 1
	s_addc_u32 s23, s23, 0
	s_waitcnt vmcnt(0)
	v_and_b32_e32 v25, 0xffff, v2
	v_lshlrev_b64 v[2:3], s20, v[25:26]
	s_add_u32 s20, s20, 8
	s_addc_u32 s21, s21, 0
	v_or_b32_e32 v12, v2, v12
	s_cmp_lg_u32 s24, s22
	v_or_b32_e32 v13, v3, v13
	s_cbranch_scc1 .LBB10_1481
	s_branch .LBB10_1484
.LBB10_1482:                            ;   in Loop: Header=BB10_1463 Depth=1
                                        ; implicit-def: $sgpr15
	s_branch .LBB10_1485
.LBB10_1483:                            ;   in Loop: Header=BB10_1463 Depth=1
	v_mov_b32_e32 v12, 0
	v_mov_b32_e32 v13, 0
.LBB10_1484:                            ;   in Loop: Header=BB10_1463 Depth=1
	s_mov_b32 s15, 0
	s_cbranch_execnz .LBB10_1486
.LBB10_1485:                            ;   in Loop: Header=BB10_1463 Depth=1
	global_load_dwordx2 v[12:13], v26, s[4:5]
	s_add_i32 s15, s24, -8
	s_add_u32 s4, s4, 8
	s_addc_u32 s5, s5, 0
.LBB10_1486:                            ;   in Loop: Header=BB10_1463 Depth=1
	s_cmp_gt_u32 s15, 7
	s_cbranch_scc1 .LBB10_1490
; %bb.1487:                             ;   in Loop: Header=BB10_1463 Depth=1
	s_cmp_eq_u32 s15, 0
	s_cbranch_scc1 .LBB10_1491
; %bb.1488:                             ;   in Loop: Header=BB10_1463 Depth=1
	v_mov_b32_e32 v14, 0
	s_mov_b64 s[20:21], 0
	v_mov_b32_e32 v15, 0
	s_mov_b64 s[22:23], 0
.LBB10_1489:                            ;   Parent Loop BB10_1463 Depth=1
                                        ; =>  This Inner Loop Header: Depth=2
	s_add_u32 s24, s4, s22
	s_addc_u32 s25, s5, s23
	global_load_ubyte v2, v26, s[24:25]
	s_add_u32 s22, s22, 1
	s_addc_u32 s23, s23, 0
	s_waitcnt vmcnt(0)
	v_and_b32_e32 v25, 0xffff, v2
	v_lshlrev_b64 v[2:3], s20, v[25:26]
	s_add_u32 s20, s20, 8
	s_addc_u32 s21, s21, 0
	v_or_b32_e32 v14, v2, v14
	s_cmp_lg_u32 s15, s22
	v_or_b32_e32 v15, v3, v15
	s_cbranch_scc1 .LBB10_1489
	s_branch .LBB10_1492
.LBB10_1490:                            ;   in Loop: Header=BB10_1463 Depth=1
                                        ; implicit-def: $vgpr14_vgpr15
                                        ; implicit-def: $sgpr24
	s_branch .LBB10_1493
.LBB10_1491:                            ;   in Loop: Header=BB10_1463 Depth=1
	v_mov_b32_e32 v14, 0
	v_mov_b32_e32 v15, 0
.LBB10_1492:                            ;   in Loop: Header=BB10_1463 Depth=1
	s_mov_b32 s24, 0
	s_cbranch_execnz .LBB10_1494
.LBB10_1493:                            ;   in Loop: Header=BB10_1463 Depth=1
	global_load_dwordx2 v[14:15], v26, s[4:5]
	s_add_i32 s24, s15, -8
	s_add_u32 s4, s4, 8
	s_addc_u32 s5, s5, 0
.LBB10_1494:                            ;   in Loop: Header=BB10_1463 Depth=1
	s_cmp_gt_u32 s24, 7
	s_cbranch_scc1 .LBB10_1498
; %bb.1495:                             ;   in Loop: Header=BB10_1463 Depth=1
	s_cmp_eq_u32 s24, 0
	s_cbranch_scc1 .LBB10_1499
; %bb.1496:                             ;   in Loop: Header=BB10_1463 Depth=1
	v_mov_b32_e32 v16, 0
	s_mov_b64 s[20:21], 0
	v_mov_b32_e32 v17, 0
	s_mov_b64 s[22:23], 0
.LBB10_1497:                            ;   Parent Loop BB10_1463 Depth=1
                                        ; =>  This Inner Loop Header: Depth=2
	s_add_u32 s26, s4, s22
	s_addc_u32 s27, s5, s23
	global_load_ubyte v2, v26, s[26:27]
	s_add_u32 s22, s22, 1
	s_addc_u32 s23, s23, 0
	s_waitcnt vmcnt(0)
	v_and_b32_e32 v25, 0xffff, v2
	v_lshlrev_b64 v[2:3], s20, v[25:26]
	s_add_u32 s20, s20, 8
	s_addc_u32 s21, s21, 0
	v_or_b32_e32 v16, v2, v16
	s_cmp_lg_u32 s24, s22
	v_or_b32_e32 v17, v3, v17
	s_cbranch_scc1 .LBB10_1497
	s_branch .LBB10_1500
.LBB10_1498:                            ;   in Loop: Header=BB10_1463 Depth=1
                                        ; implicit-def: $sgpr15
	s_branch .LBB10_1501
.LBB10_1499:                            ;   in Loop: Header=BB10_1463 Depth=1
	v_mov_b32_e32 v16, 0
	v_mov_b32_e32 v17, 0
.LBB10_1500:                            ;   in Loop: Header=BB10_1463 Depth=1
	s_mov_b32 s15, 0
	s_cbranch_execnz .LBB10_1502
.LBB10_1501:                            ;   in Loop: Header=BB10_1463 Depth=1
	global_load_dwordx2 v[16:17], v26, s[4:5]
	s_add_i32 s15, s24, -8
	s_add_u32 s4, s4, 8
	s_addc_u32 s5, s5, 0
.LBB10_1502:                            ;   in Loop: Header=BB10_1463 Depth=1
	s_cmp_gt_u32 s15, 7
	s_cbranch_scc1 .LBB10_1506
; %bb.1503:                             ;   in Loop: Header=BB10_1463 Depth=1
	s_cmp_eq_u32 s15, 0
	s_cbranch_scc1 .LBB10_1507
; %bb.1504:                             ;   in Loop: Header=BB10_1463 Depth=1
	v_mov_b32_e32 v18, 0
	s_mov_b64 s[20:21], 0
	v_mov_b32_e32 v19, 0
	s_mov_b64 s[22:23], 0
.LBB10_1505:                            ;   Parent Loop BB10_1463 Depth=1
                                        ; =>  This Inner Loop Header: Depth=2
	s_add_u32 s24, s4, s22
	s_addc_u32 s25, s5, s23
	global_load_ubyte v2, v26, s[24:25]
	s_add_u32 s22, s22, 1
	s_addc_u32 s23, s23, 0
	s_waitcnt vmcnt(0)
	v_and_b32_e32 v25, 0xffff, v2
	v_lshlrev_b64 v[2:3], s20, v[25:26]
	s_add_u32 s20, s20, 8
	s_addc_u32 s21, s21, 0
	v_or_b32_e32 v18, v2, v18
	s_cmp_lg_u32 s15, s22
	v_or_b32_e32 v19, v3, v19
	s_cbranch_scc1 .LBB10_1505
	s_branch .LBB10_1508
.LBB10_1506:                            ;   in Loop: Header=BB10_1463 Depth=1
                                        ; implicit-def: $vgpr18_vgpr19
                                        ; implicit-def: $sgpr24
	s_branch .LBB10_1509
.LBB10_1507:                            ;   in Loop: Header=BB10_1463 Depth=1
	v_mov_b32_e32 v18, 0
	v_mov_b32_e32 v19, 0
.LBB10_1508:                            ;   in Loop: Header=BB10_1463 Depth=1
	s_mov_b32 s24, 0
	s_cbranch_execnz .LBB10_1510
.LBB10_1509:                            ;   in Loop: Header=BB10_1463 Depth=1
	global_load_dwordx2 v[18:19], v26, s[4:5]
	s_add_i32 s24, s15, -8
	s_add_u32 s4, s4, 8
	s_addc_u32 s5, s5, 0
.LBB10_1510:                            ;   in Loop: Header=BB10_1463 Depth=1
	s_cmp_gt_u32 s24, 7
	s_cbranch_scc1 .LBB10_1514
; %bb.1511:                             ;   in Loop: Header=BB10_1463 Depth=1
	s_cmp_eq_u32 s24, 0
	s_cbranch_scc1 .LBB10_1515
; %bb.1512:                             ;   in Loop: Header=BB10_1463 Depth=1
	v_mov_b32_e32 v20, 0
	s_mov_b64 s[20:21], 0
	v_mov_b32_e32 v21, 0
	s_mov_b64 s[22:23], s[4:5]
.LBB10_1513:                            ;   Parent Loop BB10_1463 Depth=1
                                        ; =>  This Inner Loop Header: Depth=2
	global_load_ubyte v2, v26, s[22:23]
	s_add_i32 s24, s24, -1
	s_waitcnt vmcnt(0)
	v_and_b32_e32 v25, 0xffff, v2
	v_lshlrev_b64 v[2:3], s20, v[25:26]
	s_add_u32 s20, s20, 8
	s_addc_u32 s21, s21, 0
	s_add_u32 s22, s22, 1
	s_addc_u32 s23, s23, 0
	v_or_b32_e32 v20, v2, v20
	s_cmp_lg_u32 s24, 0
	v_or_b32_e32 v21, v3, v21
	s_cbranch_scc1 .LBB10_1513
	s_branch .LBB10_1516
.LBB10_1514:                            ;   in Loop: Header=BB10_1463 Depth=1
	s_branch .LBB10_1517
.LBB10_1515:                            ;   in Loop: Header=BB10_1463 Depth=1
	v_mov_b32_e32 v20, 0
	v_mov_b32_e32 v21, 0
.LBB10_1516:                            ;   in Loop: Header=BB10_1463 Depth=1
	s_cbranch_execnz .LBB10_1518
.LBB10_1517:                            ;   in Loop: Header=BB10_1463 Depth=1
	global_load_dwordx2 v[20:21], v26, s[4:5]
.LBB10_1518:                            ;   in Loop: Header=BB10_1463 Depth=1
	v_readfirstlane_b32 s4, v32
	v_mov_b32_e32 v2, 0
	v_mov_b32_e32 v3, 0
	v_cmp_eq_u32_e64 s[4:5], s4, v32
	s_and_saveexec_b64 s[20:21], s[4:5]
	s_cbranch_execz .LBB10_1524
; %bb.1519:                             ;   in Loop: Header=BB10_1463 Depth=1
	global_load_dwordx2 v[24:25], v26, s[6:7] offset:24 glc
	s_waitcnt vmcnt(0)
	buffer_wbinvl1_vol
	global_load_dwordx2 v[2:3], v26, s[6:7] offset:40
	global_load_dwordx2 v[22:23], v26, s[6:7]
	s_waitcnt vmcnt(1)
	v_and_b32_e32 v2, v2, v24
	v_and_b32_e32 v3, v3, v25
	v_mul_lo_u32 v3, v3, 24
	v_mul_hi_u32 v27, v2, 24
	v_mul_lo_u32 v2, v2, 24
	v_add_u32_e32 v3, v27, v3
	s_waitcnt vmcnt(0)
	v_add_co_u32_e32 v2, vcc, v22, v2
	v_addc_co_u32_e32 v3, vcc, v23, v3, vcc
	global_load_dwordx2 v[22:23], v[2:3], off glc
	s_waitcnt vmcnt(0)
	global_atomic_cmpswap_x2 v[2:3], v26, v[22:25], s[6:7] offset:24 glc
	s_waitcnt vmcnt(0)
	buffer_wbinvl1_vol
	v_cmp_ne_u64_e32 vcc, v[2:3], v[24:25]
	s_and_saveexec_b64 s[22:23], vcc
	s_cbranch_execz .LBB10_1523
; %bb.1520:                             ;   in Loop: Header=BB10_1463 Depth=1
	s_mov_b64 s[24:25], 0
.LBB10_1521:                            ;   Parent Loop BB10_1463 Depth=1
                                        ; =>  This Inner Loop Header: Depth=2
	s_sleep 1
	global_load_dwordx2 v[22:23], v26, s[6:7] offset:40
	global_load_dwordx2 v[27:28], v26, s[6:7]
	v_mov_b32_e32 v25, v3
	v_mov_b32_e32 v24, v2
	s_waitcnt vmcnt(1)
	v_and_b32_e32 v2, v22, v24
	s_waitcnt vmcnt(0)
	v_mad_u64_u32 v[2:3], s[26:27], v2, 24, v[27:28]
	v_and_b32_e32 v22, v23, v25
	v_mad_u64_u32 v[22:23], s[26:27], v22, 24, v[3:4]
	v_mov_b32_e32 v3, v22
	global_load_dwordx2 v[22:23], v[2:3], off glc
	s_waitcnt vmcnt(0)
	global_atomic_cmpswap_x2 v[2:3], v26, v[22:25], s[6:7] offset:24 glc
	s_waitcnt vmcnt(0)
	buffer_wbinvl1_vol
	v_cmp_eq_u64_e32 vcc, v[2:3], v[24:25]
	s_or_b64 s[24:25], vcc, s[24:25]
	s_andn2_b64 exec, exec, s[24:25]
	s_cbranch_execnz .LBB10_1521
; %bb.1522:                             ;   in Loop: Header=BB10_1463 Depth=1
	s_or_b64 exec, exec, s[24:25]
.LBB10_1523:                            ;   in Loop: Header=BB10_1463 Depth=1
	s_or_b64 exec, exec, s[22:23]
.LBB10_1524:                            ;   in Loop: Header=BB10_1463 Depth=1
	s_or_b64 exec, exec, s[20:21]
	global_load_dwordx2 v[27:28], v26, s[6:7] offset:40
	global_load_dwordx4 v[22:25], v26, s[6:7]
	v_readfirstlane_b32 s20, v2
	v_readfirstlane_b32 s21, v3
	s_mov_b64 s[22:23], exec
	s_waitcnt vmcnt(1)
	v_readfirstlane_b32 s24, v27
	v_readfirstlane_b32 s25, v28
	s_and_b64 s[24:25], s[20:21], s[24:25]
	s_mul_i32 s15, s25, 24
	s_mul_hi_u32 s26, s24, 24
	s_mul_i32 s27, s24, 24
	s_add_i32 s15, s26, s15
	v_mov_b32_e32 v2, s15
	s_waitcnt vmcnt(0)
	v_add_co_u32_e32 v27, vcc, s27, v22
	v_addc_co_u32_e32 v28, vcc, v23, v2, vcc
	s_and_saveexec_b64 s[26:27], s[4:5]
	s_cbranch_execz .LBB10_1526
; %bb.1525:                             ;   in Loop: Header=BB10_1463 Depth=1
	v_mov_b32_e32 v2, s22
	v_mov_b32_e32 v3, s23
	global_store_dwordx4 v[27:28], v[2:5], off offset:8
.LBB10_1526:                            ;   in Loop: Header=BB10_1463 Depth=1
	s_or_b64 exec, exec, s[26:27]
	s_lshl_b64 s[22:23], s[24:25], 12
	v_mov_b32_e32 v2, s23
	v_add_co_u32_e32 v24, vcc, s22, v24
	v_addc_co_u32_e32 v29, vcc, v25, v2, vcc
	v_cmp_gt_u64_e64 vcc, s[16:17], 56
	v_or_b32_e32 v2, 2, v6
	s_lshl_b32 s15, s18, 2
	v_cndmask_b32_e32 v2, v2, v6, vcc
	s_add_i32 s15, s15, 28
	s_and_b32 s15, s15, 0x1e0
	v_and_b32_e32 v2, 0xffffff1f, v2
	v_or_b32_e32 v6, s15, v2
	v_readfirstlane_b32 s22, v24
	v_readfirstlane_b32 s23, v29
	s_nop 4
	global_store_dwordx4 v31, v[6:9], s[22:23]
	global_store_dwordx4 v31, v[10:13], s[22:23] offset:16
	global_store_dwordx4 v31, v[14:17], s[22:23] offset:32
	;; [unrolled: 1-line block ×3, first 2 shown]
	s_and_saveexec_b64 s[22:23], s[4:5]
	s_cbranch_execz .LBB10_1534
; %bb.1527:                             ;   in Loop: Header=BB10_1463 Depth=1
	global_load_dwordx2 v[10:11], v26, s[6:7] offset:32 glc
	global_load_dwordx2 v[2:3], v26, s[6:7] offset:40
	v_mov_b32_e32 v8, s20
	v_mov_b32_e32 v9, s21
	s_waitcnt vmcnt(0)
	v_readfirstlane_b32 s24, v2
	v_readfirstlane_b32 s25, v3
	s_and_b64 s[24:25], s[24:25], s[20:21]
	s_mul_i32 s15, s25, 24
	s_mul_hi_u32 s25, s24, 24
	s_mul_i32 s24, s24, 24
	s_add_i32 s15, s25, s15
	v_mov_b32_e32 v3, s15
	v_add_co_u32_e32 v2, vcc, s24, v22
	v_addc_co_u32_e32 v3, vcc, v23, v3, vcc
	global_store_dwordx2 v[2:3], v[10:11], off
	s_waitcnt vmcnt(0)
	global_atomic_cmpswap_x2 v[8:9], v26, v[8:11], s[6:7] offset:32 glc
	s_waitcnt vmcnt(0)
	v_cmp_ne_u64_e32 vcc, v[8:9], v[10:11]
	s_and_saveexec_b64 s[24:25], vcc
	s_cbranch_execz .LBB10_1530
; %bb.1528:                             ;   in Loop: Header=BB10_1463 Depth=1
	s_mov_b64 s[26:27], 0
.LBB10_1529:                            ;   Parent Loop BB10_1463 Depth=1
                                        ; =>  This Inner Loop Header: Depth=2
	s_sleep 1
	global_store_dwordx2 v[2:3], v[8:9], off
	v_mov_b32_e32 v6, s20
	v_mov_b32_e32 v7, s21
	s_waitcnt vmcnt(0)
	global_atomic_cmpswap_x2 v[6:7], v26, v[6:9], s[6:7] offset:32 glc
	s_waitcnt vmcnt(0)
	v_cmp_eq_u64_e32 vcc, v[6:7], v[8:9]
	v_mov_b32_e32 v9, v7
	s_or_b64 s[26:27], vcc, s[26:27]
	v_mov_b32_e32 v8, v6
	s_andn2_b64 exec, exec, s[26:27]
	s_cbranch_execnz .LBB10_1529
.LBB10_1530:                            ;   in Loop: Header=BB10_1463 Depth=1
	s_or_b64 exec, exec, s[24:25]
	global_load_dwordx2 v[2:3], v26, s[6:7] offset:16
	s_mov_b64 s[26:27], exec
	v_mbcnt_lo_u32_b32 v6, s26, 0
	v_mbcnt_hi_u32_b32 v6, s27, v6
	v_cmp_eq_u32_e32 vcc, 0, v6
	s_and_saveexec_b64 s[24:25], vcc
	s_cbranch_execz .LBB10_1532
; %bb.1531:                             ;   in Loop: Header=BB10_1463 Depth=1
	s_bcnt1_i32_b64 s15, s[26:27]
	v_mov_b32_e32 v25, s15
	s_waitcnt vmcnt(0)
	global_atomic_add_x2 v[2:3], v[25:26], off offset:8
.LBB10_1532:                            ;   in Loop: Header=BB10_1463 Depth=1
	s_or_b64 exec, exec, s[24:25]
	s_waitcnt vmcnt(0)
	global_load_dwordx2 v[6:7], v[2:3], off offset:16
	s_waitcnt vmcnt(0)
	v_cmp_eq_u64_e32 vcc, 0, v[6:7]
	s_cbranch_vccnz .LBB10_1534
; %bb.1533:                             ;   in Loop: Header=BB10_1463 Depth=1
	global_load_dword v25, v[2:3], off offset:24
	s_waitcnt vmcnt(0)
	v_and_b32_e32 v2, 0xffffff, v25
	v_readfirstlane_b32 m0, v2
	global_store_dwordx2 v[6:7], v[25:26], off
	s_sendmsg sendmsg(MSG_INTERRUPT)
.LBB10_1534:                            ;   in Loop: Header=BB10_1463 Depth=1
	s_or_b64 exec, exec, s[22:23]
	v_add_co_u32_e32 v2, vcc, v24, v31
	v_addc_co_u32_e32 v3, vcc, 0, v29, vcc
	s_branch .LBB10_1538
.LBB10_1535:                            ;   in Loop: Header=BB10_1538 Depth=2
	s_or_b64 exec, exec, s[22:23]
	v_readfirstlane_b32 s15, v6
	s_cmp_eq_u32 s15, 0
	s_cbranch_scc1 .LBB10_1537
; %bb.1536:                             ;   in Loop: Header=BB10_1538 Depth=2
	s_sleep 1
	s_cbranch_execnz .LBB10_1538
	s_branch .LBB10_1540
.LBB10_1537:                            ;   in Loop: Header=BB10_1463 Depth=1
	s_branch .LBB10_1540
.LBB10_1538:                            ;   Parent Loop BB10_1463 Depth=1
                                        ; =>  This Inner Loop Header: Depth=2
	v_mov_b32_e32 v6, 1
	s_and_saveexec_b64 s[22:23], s[4:5]
	s_cbranch_execz .LBB10_1535
; %bb.1539:                             ;   in Loop: Header=BB10_1538 Depth=2
	global_load_dword v6, v[27:28], off offset:20 glc
	s_waitcnt vmcnt(0)
	buffer_wbinvl1_vol
	v_and_b32_e32 v6, 1, v6
	s_branch .LBB10_1535
.LBB10_1540:                            ;   in Loop: Header=BB10_1463 Depth=1
	global_load_dwordx4 v[6:9], v[2:3], off
	s_and_saveexec_b64 s[22:23], s[4:5]
	s_cbranch_execz .LBB10_1462
; %bb.1541:                             ;   in Loop: Header=BB10_1463 Depth=1
	global_load_dwordx2 v[2:3], v26, s[6:7] offset:40
	global_load_dwordx2 v[12:13], v26, s[6:7] offset:24 glc
	global_load_dwordx2 v[14:15], v26, s[6:7]
	s_waitcnt vmcnt(3)
	v_mov_b32_e32 v9, s21
	s_waitcnt vmcnt(2)
	v_add_co_u32_e32 v10, vcc, 1, v2
	v_addc_co_u32_e32 v11, vcc, 0, v3, vcc
	v_add_co_u32_e32 v8, vcc, s20, v10
	v_addc_co_u32_e32 v9, vcc, v11, v9, vcc
	v_cmp_eq_u64_e32 vcc, 0, v[8:9]
	v_cndmask_b32_e32 v9, v9, v11, vcc
	v_cndmask_b32_e32 v8, v8, v10, vcc
	v_and_b32_e32 v3, v9, v3
	v_and_b32_e32 v2, v8, v2
	v_mul_lo_u32 v3, v3, 24
	v_mul_hi_u32 v11, v2, 24
	v_mul_lo_u32 v2, v2, 24
	s_waitcnt vmcnt(1)
	v_mov_b32_e32 v10, v12
	v_add_u32_e32 v3, v11, v3
	s_waitcnt vmcnt(0)
	v_add_co_u32_e32 v2, vcc, v14, v2
	v_addc_co_u32_e32 v3, vcc, v15, v3, vcc
	global_store_dwordx2 v[2:3], v[12:13], off
	v_mov_b32_e32 v11, v13
	s_waitcnt vmcnt(0)
	global_atomic_cmpswap_x2 v[10:11], v26, v[8:11], s[6:7] offset:24 glc
	s_waitcnt vmcnt(0)
	v_cmp_ne_u64_e32 vcc, v[10:11], v[12:13]
	s_and_b64 exec, exec, vcc
	s_cbranch_execz .LBB10_1462
; %bb.1542:                             ;   in Loop: Header=BB10_1463 Depth=1
	s_mov_b64 s[4:5], 0
.LBB10_1543:                            ;   Parent Loop BB10_1463 Depth=1
                                        ; =>  This Inner Loop Header: Depth=2
	s_sleep 1
	global_store_dwordx2 v[2:3], v[10:11], off
	s_waitcnt vmcnt(0)
	global_atomic_cmpswap_x2 v[12:13], v26, v[8:11], s[6:7] offset:24 glc
	s_waitcnt vmcnt(0)
	v_cmp_eq_u64_e32 vcc, v[12:13], v[10:11]
	v_mov_b32_e32 v10, v12
	s_or_b64 s[4:5], vcc, s[4:5]
	v_mov_b32_e32 v11, v13
	s_andn2_b64 exec, exec, s[4:5]
	s_cbranch_execnz .LBB10_1543
	s_branch .LBB10_1462
.LBB10_1544:
	s_mov_b64 s[4:5], 0
	s_branch .LBB10_1546
.LBB10_1545:
	s_mov_b64 s[4:5], -1
.LBB10_1546:
	s_mov_b32 s41, s12
	s_mov_b32 s48, s13
	s_mov_b32 s49, s14
	s_and_b64 vcc, exec, s[4:5]
	s_cbranch_vccz .LBB10_1573
; %bb.1547:
	v_readfirstlane_b32 s4, v32
	s_waitcnt vmcnt(0)
	v_mov_b32_e32 v8, 0
	v_mov_b32_e32 v9, 0
	v_cmp_eq_u32_e64 s[4:5], s4, v32
	s_and_saveexec_b64 s[10:11], s[4:5]
	s_cbranch_execz .LBB10_1553
; %bb.1548:
	v_mov_b32_e32 v2, 0
	global_load_dwordx2 v[5:6], v2, s[6:7] offset:24 glc
	s_waitcnt vmcnt(0)
	buffer_wbinvl1_vol
	global_load_dwordx2 v[3:4], v2, s[6:7] offset:40
	global_load_dwordx2 v[7:8], v2, s[6:7]
	s_waitcnt vmcnt(1)
	v_and_b32_e32 v3, v3, v5
	v_and_b32_e32 v4, v4, v6
	v_mul_lo_u32 v4, v4, 24
	v_mul_hi_u32 v9, v3, 24
	v_mul_lo_u32 v3, v3, 24
	v_add_u32_e32 v4, v9, v4
	s_waitcnt vmcnt(0)
	v_add_co_u32_e32 v3, vcc, v7, v3
	v_addc_co_u32_e32 v4, vcc, v8, v4, vcc
	global_load_dwordx2 v[3:4], v[3:4], off glc
	s_waitcnt vmcnt(0)
	global_atomic_cmpswap_x2 v[8:9], v2, v[3:6], s[6:7] offset:24 glc
	s_waitcnt vmcnt(0)
	buffer_wbinvl1_vol
	v_cmp_ne_u64_e32 vcc, v[8:9], v[5:6]
	s_and_saveexec_b64 s[12:13], vcc
	s_cbranch_execz .LBB10_1552
; %bb.1549:
	s_mov_b64 s[14:15], 0
.LBB10_1550:                            ; =>This Inner Loop Header: Depth=1
	s_sleep 1
	global_load_dwordx2 v[3:4], v2, s[6:7] offset:40
	global_load_dwordx2 v[10:11], v2, s[6:7]
	v_mov_b32_e32 v5, v8
	v_mov_b32_e32 v6, v9
	s_waitcnt vmcnt(1)
	v_and_b32_e32 v3, v3, v5
	s_waitcnt vmcnt(0)
	v_mad_u64_u32 v[7:8], s[16:17], v3, 24, v[10:11]
	v_and_b32_e32 v4, v4, v6
	v_mov_b32_e32 v3, v8
	v_mad_u64_u32 v[3:4], s[16:17], v4, 24, v[3:4]
	v_mov_b32_e32 v8, v3
	global_load_dwordx2 v[3:4], v[7:8], off glc
	s_waitcnt vmcnt(0)
	global_atomic_cmpswap_x2 v[8:9], v2, v[3:6], s[6:7] offset:24 glc
	s_waitcnt vmcnt(0)
	buffer_wbinvl1_vol
	v_cmp_eq_u64_e32 vcc, v[8:9], v[5:6]
	s_or_b64 s[14:15], vcc, s[14:15]
	s_andn2_b64 exec, exec, s[14:15]
	s_cbranch_execnz .LBB10_1550
; %bb.1551:
	s_or_b64 exec, exec, s[14:15]
.LBB10_1552:
	s_or_b64 exec, exec, s[12:13]
.LBB10_1553:
	s_or_b64 exec, exec, s[10:11]
	v_mov_b32_e32 v2, 0
	global_load_dwordx2 v[10:11], v2, s[6:7] offset:40
	global_load_dwordx4 v[4:7], v2, s[6:7]
	v_readfirstlane_b32 s10, v8
	v_readfirstlane_b32 s11, v9
	s_mov_b64 s[12:13], exec
	s_waitcnt vmcnt(1)
	v_readfirstlane_b32 s14, v10
	v_readfirstlane_b32 s15, v11
	s_and_b64 s[14:15], s[10:11], s[14:15]
	s_mul_i32 s16, s15, 24
	s_mul_hi_u32 s17, s14, 24
	s_mul_i32 s18, s14, 24
	s_add_i32 s16, s17, s16
	v_mov_b32_e32 v3, s16
	s_waitcnt vmcnt(0)
	v_add_co_u32_e32 v8, vcc, s18, v4
	v_addc_co_u32_e32 v9, vcc, v5, v3, vcc
	s_and_saveexec_b64 s[16:17], s[4:5]
	s_cbranch_execz .LBB10_1555
; %bb.1554:
	v_mov_b32_e32 v10, s12
	v_mov_b32_e32 v11, s13
	;; [unrolled: 1-line block ×4, first 2 shown]
	global_store_dwordx4 v[8:9], v[10:13], off offset:8
.LBB10_1555:
	s_or_b64 exec, exec, s[16:17]
	s_lshl_b64 s[12:13], s[14:15], 12
	v_mov_b32_e32 v3, s13
	v_add_co_u32_e32 v6, vcc, s12, v6
	v_addc_co_u32_e32 v7, vcc, v7, v3, vcc
	s_movk_i32 s12, 0xff1d
	v_and_or_b32 v0, v0, s12, 34
	s_mov_b32 s12, 0
	v_mov_b32_e32 v3, v2
	v_readfirstlane_b32 s16, v6
	v_readfirstlane_b32 s17, v7
	s_mov_b32 s13, s12
	s_mov_b32 s14, s12
	;; [unrolled: 1-line block ×3, first 2 shown]
	s_nop 1
	global_store_dwordx4 v31, v[0:3], s[16:17]
	s_nop 0
	v_mov_b32_e32 v0, s12
	v_mov_b32_e32 v1, s13
	;; [unrolled: 1-line block ×4, first 2 shown]
	global_store_dwordx4 v31, v[0:3], s[16:17] offset:16
	global_store_dwordx4 v31, v[0:3], s[16:17] offset:32
	;; [unrolled: 1-line block ×3, first 2 shown]
	s_and_saveexec_b64 s[12:13], s[4:5]
	s_cbranch_execz .LBB10_1563
; %bb.1556:
	v_mov_b32_e32 v6, 0
	global_load_dwordx2 v[12:13], v6, s[6:7] offset:32 glc
	global_load_dwordx2 v[0:1], v6, s[6:7] offset:40
	v_mov_b32_e32 v10, s10
	v_mov_b32_e32 v11, s11
	s_waitcnt vmcnt(0)
	v_readfirstlane_b32 s14, v0
	v_readfirstlane_b32 s15, v1
	s_and_b64 s[14:15], s[14:15], s[10:11]
	s_mul_i32 s15, s15, 24
	s_mul_hi_u32 s16, s14, 24
	s_mul_i32 s14, s14, 24
	s_add_i32 s15, s16, s15
	v_mov_b32_e32 v0, s15
	v_add_co_u32_e32 v4, vcc, s14, v4
	v_addc_co_u32_e32 v5, vcc, v5, v0, vcc
	global_store_dwordx2 v[4:5], v[12:13], off
	s_waitcnt vmcnt(0)
	global_atomic_cmpswap_x2 v[2:3], v6, v[10:13], s[6:7] offset:32 glc
	s_waitcnt vmcnt(0)
	v_cmp_ne_u64_e32 vcc, v[2:3], v[12:13]
	s_and_saveexec_b64 s[14:15], vcc
	s_cbranch_execz .LBB10_1559
; %bb.1557:
	s_mov_b64 s[16:17], 0
.LBB10_1558:                            ; =>This Inner Loop Header: Depth=1
	s_sleep 1
	global_store_dwordx2 v[4:5], v[2:3], off
	v_mov_b32_e32 v0, s10
	v_mov_b32_e32 v1, s11
	s_waitcnt vmcnt(0)
	global_atomic_cmpswap_x2 v[0:1], v6, v[0:3], s[6:7] offset:32 glc
	s_waitcnt vmcnt(0)
	v_cmp_eq_u64_e32 vcc, v[0:1], v[2:3]
	v_mov_b32_e32 v3, v1
	s_or_b64 s[16:17], vcc, s[16:17]
	v_mov_b32_e32 v2, v0
	s_andn2_b64 exec, exec, s[16:17]
	s_cbranch_execnz .LBB10_1558
.LBB10_1559:
	s_or_b64 exec, exec, s[14:15]
	v_mov_b32_e32 v3, 0
	global_load_dwordx2 v[0:1], v3, s[6:7] offset:16
	s_mov_b64 s[14:15], exec
	v_mbcnt_lo_u32_b32 v2, s14, 0
	v_mbcnt_hi_u32_b32 v2, s15, v2
	v_cmp_eq_u32_e32 vcc, 0, v2
	s_and_saveexec_b64 s[16:17], vcc
	s_cbranch_execz .LBB10_1561
; %bb.1560:
	s_bcnt1_i32_b64 s14, s[14:15]
	v_mov_b32_e32 v2, s14
	s_waitcnt vmcnt(0)
	global_atomic_add_x2 v[0:1], v[2:3], off offset:8
.LBB10_1561:
	s_or_b64 exec, exec, s[16:17]
	s_waitcnt vmcnt(0)
	global_load_dwordx2 v[2:3], v[0:1], off offset:16
	s_waitcnt vmcnt(0)
	v_cmp_eq_u64_e32 vcc, 0, v[2:3]
	s_cbranch_vccnz .LBB10_1563
; %bb.1562:
	global_load_dword v0, v[0:1], off offset:24
	v_mov_b32_e32 v1, 0
	s_waitcnt vmcnt(0)
	global_store_dwordx2 v[2:3], v[0:1], off
	v_and_b32_e32 v0, 0xffffff, v0
	v_readfirstlane_b32 m0, v0
	s_sendmsg sendmsg(MSG_INTERRUPT)
.LBB10_1563:
	s_or_b64 exec, exec, s[12:13]
	s_branch .LBB10_1567
.LBB10_1564:                            ;   in Loop: Header=BB10_1567 Depth=1
	s_or_b64 exec, exec, s[12:13]
	v_readfirstlane_b32 s12, v0
	s_cmp_eq_u32 s12, 0
	s_cbranch_scc1 .LBB10_1566
; %bb.1565:                             ;   in Loop: Header=BB10_1567 Depth=1
	s_sleep 1
	s_cbranch_execnz .LBB10_1567
	s_branch .LBB10_1569
.LBB10_1566:
	s_branch .LBB10_1569
.LBB10_1567:                            ; =>This Inner Loop Header: Depth=1
	v_mov_b32_e32 v0, 1
	s_and_saveexec_b64 s[12:13], s[4:5]
	s_cbranch_execz .LBB10_1564
; %bb.1568:                             ;   in Loop: Header=BB10_1567 Depth=1
	global_load_dword v0, v[8:9], off offset:20 glc
	s_waitcnt vmcnt(0)
	buffer_wbinvl1_vol
	v_and_b32_e32 v0, 1, v0
	s_branch .LBB10_1564
.LBB10_1569:
	s_and_saveexec_b64 s[12:13], s[4:5]
	s_cbranch_execz .LBB10_1572
; %bb.1570:
	v_mov_b32_e32 v6, 0
	global_load_dwordx2 v[2:3], v6, s[6:7] offset:40
	global_load_dwordx2 v[7:8], v6, s[6:7] offset:24 glc
	global_load_dwordx2 v[4:5], v6, s[6:7]
	v_mov_b32_e32 v1, s11
	s_mov_b64 s[4:5], 0
	s_waitcnt vmcnt(2)
	v_add_co_u32_e32 v9, vcc, 1, v2
	v_addc_co_u32_e32 v10, vcc, 0, v3, vcc
	v_add_co_u32_e32 v0, vcc, s10, v9
	v_addc_co_u32_e32 v1, vcc, v10, v1, vcc
	v_cmp_eq_u64_e32 vcc, 0, v[0:1]
	v_cndmask_b32_e32 v1, v1, v10, vcc
	v_cndmask_b32_e32 v0, v0, v9, vcc
	v_and_b32_e32 v3, v1, v3
	v_and_b32_e32 v2, v0, v2
	v_mul_lo_u32 v3, v3, 24
	v_mul_hi_u32 v9, v2, 24
	v_mul_lo_u32 v10, v2, 24
	s_waitcnt vmcnt(1)
	v_mov_b32_e32 v2, v7
	v_add_u32_e32 v3, v9, v3
	s_waitcnt vmcnt(0)
	v_add_co_u32_e32 v4, vcc, v4, v10
	v_addc_co_u32_e32 v5, vcc, v5, v3, vcc
	global_store_dwordx2 v[4:5], v[7:8], off
	v_mov_b32_e32 v3, v8
	s_waitcnt vmcnt(0)
	global_atomic_cmpswap_x2 v[2:3], v6, v[0:3], s[6:7] offset:24 glc
	s_waitcnt vmcnt(0)
	v_cmp_ne_u64_e32 vcc, v[2:3], v[7:8]
	s_and_b64 exec, exec, vcc
	s_cbranch_execz .LBB10_1572
.LBB10_1571:                            ; =>This Inner Loop Header: Depth=1
	s_sleep 1
	global_store_dwordx2 v[4:5], v[2:3], off
	s_waitcnt vmcnt(0)
	global_atomic_cmpswap_x2 v[7:8], v6, v[0:3], s[6:7] offset:24 glc
	s_waitcnt vmcnt(0)
	v_cmp_eq_u64_e32 vcc, v[7:8], v[2:3]
	v_mov_b32_e32 v2, v7
	s_or_b64 s[4:5], vcc, s[4:5]
	v_mov_b32_e32 v3, v8
	s_andn2_b64 exec, exec, s[4:5]
	s_cbranch_execnz .LBB10_1571
.LBB10_1572:
	s_or_b64 exec, exec, s[12:13]
.LBB10_1573:
	s_getpc_b64 s[4:5]
	s_add_u32 s4, s4, .str@rel32@lo+4
	s_addc_u32 s5, s5, .str@rel32@hi+12
	s_waitcnt vmcnt(0)
	v_mov_b32_e32 v0, s4
	v_mov_b32_e32 v1, s5
	s_mov_b64 s[24:25], src_private_base
	s_getpc_b64 s[50:51]
	s_add_u32 s50, s50, _ZNK8migraphx13basic_printerIZNS_4coutEvEUlT_E_ElsEPKc@rel32@lo+4
	s_addc_u32 s51, s51, _ZNK8migraphx13basic_printerIZNS_4coutEvEUlT_E_ElsEPKc@rel32@hi+12
	s_mov_b64 s[42:43], s[8:9]
	s_swappc_b64 s[30:31], s[50:51]
	s_getpc_b64 s[4:5]
	s_add_u32 s4, s4, .str.3@rel32@lo+4
	s_addc_u32 s5, s5, .str.3@rel32@hi+12
	s_mov_b64 s[8:9], s[42:43]
	v_mov_b32_e32 v0, s4
	v_mov_b32_e32 v1, s5
	s_swappc_b64 s[30:31], s[50:51]
	v_lshrrev_b32_e64 v0, 6, s33
	s_mov_b64 s[8:9], s[42:43]
	v_add_u32_e32 v0, 0x60, v0
	v_mov_b32_e32 v1, s25
	s_getpc_b64 s[4:5]
	s_add_u32 s4, s4, _ZN8migraphx4testlsIKNS_13basic_printerIZNS_4coutEvEUlT_E_EEEERS3_S7_RKNS0_10expressionINS0_14lhs_expressionIRNS_5arrayIiLj8EEENS0_3nopEEESC_NS0_5equalEEE@rel32@lo+4
	s_addc_u32 s5, s5, _ZN8migraphx4testlsIKNS_13basic_printerIZNS_4coutEvEUlT_E_EEEERS3_S7_RKNS0_10expressionINS0_14lhs_expressionIRNS_5arrayIiLj8EEENS0_3nopEEESC_NS0_5equalEEE@rel32@hi+12
	s_swappc_b64 s[30:31], s[4:5]
	s_getpc_b64 s[4:5]
	s_add_u32 s4, s4, .str.4@rel32@lo+4
	s_addc_u32 s5, s5, .str.4@rel32@hi+12
	s_mov_b64 s[8:9], s[42:43]
	v_mov_b32_e32 v0, s4
	v_mov_b32_e32 v1, s5
	s_swappc_b64 s[30:31], s[50:51]
	s_mov_b64 s[8:9], s[42:43]
	v_mov_b32_e32 v0, 10
	s_getpc_b64 s[4:5]
	s_add_u32 s4, s4, _ZNK8migraphx13basic_printerIZNS_4coutEvEUlT_E_ElsEc@rel32@lo+4
	s_addc_u32 s5, s5, _ZNK8migraphx13basic_printerIZNS_4coutEvEUlT_E_ElsEc@rel32@hi+12
	s_swappc_b64 s[30:31], s[4:5]
	flat_load_dwordx2 v[0:1], v[42:43]
	s_mov_b64 s[8:9], s[42:43]
	s_mov_b32 s14, s49
	s_mov_b32 s13, s48
	;; [unrolled: 1-line block ×3, first 2 shown]
	s_waitcnt vmcnt(0) lgkmcnt(0)
	flat_load_dword v2, v[0:1]
	s_waitcnt vmcnt(0) lgkmcnt(0)
	v_add_u32_e32 v2, 1, v2
	flat_store_dword v[0:1], v2
.LBB10_1574:
	s_or_b64 exec, exec, s[46:47]
	s_getpc_b64 s[4:5]
	s_add_u32 s4, s4, _ZN8migraphx4test4failEv@rel32@lo+4
	s_addc_u32 s5, s5, _ZN8migraphx4test4failEv@rel32@hi+12
	s_swappc_b64 s[30:31], s[4:5]
	; divergent unreachable
.LBB10_1575:
	s_andn2_saveexec_b64 s[4:5], s[44:45]
	s_or_b64 exec, exec, s[4:5]
	v_readlane_b32 s30, v44, 0
	v_readlane_b32 s31, v44, 1
	;; [unrolled: 1-line block ×3, first 2 shown]
	s_or_saveexec_b64 s[6:7], -1
	buffer_load_dword v44, off, s[0:3], s33 offset:112 ; 4-byte Folded Reload
	s_mov_b64 exec, s[6:7]
	s_addk_i32 s32, 0xe000
	s_mov_b32 s33, s4
	s_waitcnt vmcnt(0)
	s_setpc_b64 s[30:31]
.Lfunc_end10:
	.size	_ZL20merge_stability_testRN8migraphx4test12test_managerE, .Lfunc_end10-_ZL20merge_stability_testRN8migraphx4test12test_managerE
                                        ; -- End function
	.section	.AMDGPU.csdata,"",@progbits
; Function info:
; codeLenInByte = 54092
; NumSgprs: 56
; NumVgprs: 56
; ScratchSize: 144
; MemoryBound: 0
	.text
	.protected	gpu_test_kernel         ; -- Begin function gpu_test_kernel
	.globl	gpu_test_kernel
	.p2align	8
	.type	gpu_test_kernel,@function
gpu_test_kernel:                        ; @gpu_test_kernel
; %bb.0:
	s_load_dwordx2 s[4:5], s[4:5], 0x4
	s_add_u32 flat_scratch_lo, s8, s13
	s_addc_u32 flat_scratch_hi, s9, 0
	s_add_u32 s0, s0, s13
	s_addc_u32 s1, s1, 0
	s_waitcnt lgkmcnt(0)
	s_lshr_b32 s4, s4, 16
	s_mov_b64 s[52:53], s[6:7]
	v_mov_b32_e32 v46, v0
	s_mul_i32 s4, s4, s5
	s_load_dwordx2 s[6:7], s[6:7], 0x8
	v_mul_lo_u32 v0, s4, v46
	s_load_dword s57, s[52:53], 0x0
	v_mul_u32_u24_e32 v1, s5, v1
	s_mov_b32 s54, s12
	v_add3_u32 v47, v0, v1, v2
	s_waitcnt lgkmcnt(0)
	v_mov_b32_e32 v0, s6
	v_lshlrev_b32_e32 v45, 3, v47
	v_mov_b32_e32 v1, s7
	s_mov_b32 s55, s11
	s_mov_b32 s56, s10
	s_mov_b64 s[58:59], src_shared_base
	s_cmp_lt_i32 s57, 3
	s_mov_b64 s[4:5], -1
	s_movk_i32 s32, 0x1400
	ds_write_b64 v45, v[0:1]
	s_cbranch_scc1 .LBB11_12
; %bb.1:
	s_cmp_lt_i32 s57, 4
	s_cbranch_scc1 .LBB11_9
; %bb.2:
	s_cmp_lt_i32 s57, 5
	s_cbranch_scc1 .LBB11_6
; %bb.3:
	s_cmp_eq_u32 s57, 5
	s_cbranch_scc0 .LBB11_5
; %bb.4:
	s_add_u32 s8, s52, 16
	s_addc_u32 s9, s53, 0
	v_mov_b32_e32 v1, s59
	s_mov_b32 s12, s56
	s_mov_b32 s13, s55
	;; [unrolled: 1-line block ×3, first 2 shown]
	v_mov_b32_e32 v31, v46
	v_mov_b32_e32 v0, v45
	s_getpc_b64 s[4:5]
	s_add_u32 s4, s4, _ZL20merge_stability_testRN8migraphx4test12test_managerE@rel32@lo+4
	s_addc_u32 s5, s5, _ZL20merge_stability_testRN8migraphx4test12test_managerE@rel32@hi+12
	s_swappc_b64 s[30:31], s[4:5]
.LBB11_5:
	s_mov_b64 s[4:5], 0
.LBB11_6:
	s_andn2_b64 vcc, exec, s[4:5]
	s_cbranch_vccnz .LBB11_8
; %bb.7:
	s_add_u32 s8, s52, 16
	s_addc_u32 s9, s53, 0
	v_mov_b32_e32 v1, s59
	s_mov_b32 s12, s56
	s_mov_b32 s13, s55
	;; [unrolled: 1-line block ×3, first 2 shown]
	v_mov_b32_e32 v31, v46
	v_mov_b32_e32 v0, v45
	s_getpc_b64 s[4:5]
	s_add_u32 s4, s4, _ZL20merge_partial_rangesRN8migraphx4test12test_managerE@rel32@lo+4
	s_addc_u32 s5, s5, _ZL20merge_partial_rangesRN8migraphx4test12test_managerE@rel32@hi+12
	s_swappc_b64 s[30:31], s[4:5]
.LBB11_8:
	s_mov_b64 s[4:5], 0
.LBB11_9:
	s_andn2_b64 vcc, exec, s[4:5]
	s_cbranch_vccnz .LBB11_11
; %bb.10:
	s_add_u32 s8, s52, 16
	s_addc_u32 s9, s53, 0
	v_mov_b32_e32 v1, s59
	s_mov_b32 s12, s56
	s_mov_b32 s13, s55
	;; [unrolled: 1-line block ×3, first 2 shown]
	v_mov_b32_e32 v31, v46
	v_mov_b32_e32 v0, v45
	s_getpc_b64 s[4:5]
	s_add_u32 s4, s4, _ZL22merge_large_differenceRN8migraphx4test12test_managerE@rel32@lo+4
	s_addc_u32 s5, s5, _ZL22merge_large_differenceRN8migraphx4test12test_managerE@rel32@hi+12
	s_swappc_b64 s[30:31], s[4:5]
.LBB11_11:
	s_mov_b64 s[4:5], 0
.LBB11_12:
	s_andn2_b64 vcc, exec, s[4:5]
	s_cbranch_vccnz .LBB11_21
; %bb.13:
	s_cmp_lt_i32 s57, 1
	s_mov_b64 s[4:5], -1
	s_cbranch_scc1 .LBB11_19
; %bb.14:
	s_cmp_gt_i32 s57, 1
	s_cbranch_scc0 .LBB11_16
; %bb.15:
	s_add_u32 s8, s52, 16
	s_addc_u32 s9, s53, 0
	v_mov_b32_e32 v1, s59
	s_mov_b32 s12, s56
	s_mov_b32 s13, s55
	;; [unrolled: 1-line block ×3, first 2 shown]
	v_mov_b32_e32 v31, v46
	v_mov_b32_e32 v0, v45
	s_getpc_b64 s[4:5]
	s_add_u32 s4, s4, _ZL22merge_negative_numbersRN8migraphx4test12test_managerE@rel32@lo+4
	s_addc_u32 s5, s5, _ZL22merge_negative_numbersRN8migraphx4test12test_managerE@rel32@hi+12
	s_swappc_b64 s[30:31], s[4:5]
	s_mov_b64 s[4:5], 0
.LBB11_16:
	s_andn2_b64 vcc, exec, s[4:5]
	s_cbranch_vccnz .LBB11_18
; %bb.17:
	s_add_u32 s8, s52, 16
	s_addc_u32 s9, s53, 0
	v_mov_b32_e32 v1, s59
	s_mov_b32 s12, s56
	s_mov_b32 s13, s55
	;; [unrolled: 1-line block ×3, first 2 shown]
	v_mov_b32_e32 v31, v46
	v_mov_b32_e32 v0, v45
	s_getpc_b64 s[4:5]
	s_add_u32 s4, s4, _ZL19merge_reverse_orderRN8migraphx4test12test_managerE@rel32@lo+4
	s_addc_u32 s5, s5, _ZL19merge_reverse_orderRN8migraphx4test12test_managerE@rel32@hi+12
	s_swappc_b64 s[30:31], s[4:5]
.LBB11_18:
	s_mov_b64 s[4:5], 0
.LBB11_19:
	s_andn2_b64 vcc, exec, s[4:5]
	s_cbranch_vccnz .LBB11_21
; %bb.20:
	s_cmp_lg_u32 s57, 0
	s_cbranch_scc0 .LBB11_22
.LBB11_21:
	s_endpgm
.LBB11_22:
	v_lshlrev_b32_e32 v2, 4, v47
	v_mov_b32_e32 v0, 3
	v_add_u32_e32 v4, 0x2000, v2
	buffer_store_dword v0, off, s[0:3], 0
	v_mov_b32_e32 v0, 1
	v_mov_b32_e32 v1, 2
	ds_write2_b32 v4, v0, v1 offset1:1
	v_add_u32_e32 v0, 0x2008, v2
	v_mov_b32_e32 v1, 4
	v_mov_b32_e32 v3, 5
	ds_write2_b32 v0, v1, v3 offset1:1
	v_mov_b32_e32 v3, 0
	v_mov_b32_e32 v5, 4
	s_mov_b64 s[4:5], 0
	v_mov_b32_e32 v6, 0
	buffer_store_dword v3, off, s[0:3], 0 offset:4
	buffer_store_dword v3, off, s[0:3], 0 offset:8
	;; [unrolled: 1-line block ×5, first 2 shown]
                                        ; implicit-def: $sgpr6_sgpr7
                                        ; implicit-def: $sgpr10_sgpr11
                                        ; implicit-def: $sgpr8_sgpr9
	s_branch .LBB11_24
.LBB11_23:                              ;   in Loop: Header=BB11_24 Depth=1
	s_or_b64 exec, exec, s[12:13]
	s_and_b64 s[12:13], exec, s[10:11]
	s_or_b64 s[4:5], s[12:13], s[4:5]
	s_andn2_b64 s[6:7], s[6:7], exec
	s_and_b64 s[12:13], s[8:9], exec
	s_or_b64 s[6:7], s[6:7], s[12:13]
	s_andn2_b64 exec, exec, s[4:5]
	s_cbranch_execz .LBB11_26
.LBB11_24:                              ; =>This Inner Loop Header: Depth=1
	v_mov_b32_e32 v1, v6
	v_mov_b32_e32 v0, v5
	v_cmp_ne_u32_e32 vcc, 16, v3
	s_or_b64 s[8:9], s[8:9], exec
	s_or_b64 s[10:11], s[10:11], exec
                                        ; implicit-def: $vgpr6
                                        ; implicit-def: $vgpr5
	s_and_saveexec_b64 s[12:13], vcc
	s_cbranch_execz .LBB11_23
; %bb.25:                               ;   in Loop: Header=BB11_24 Depth=1
	v_add_u32_e32 v5, 0, v1
	buffer_load_dword v6, v5, s[0:3], 0 offen
	v_add_u32_e32 v5, v4, v3
	ds_read_b32 v7, v5
	s_andn2_b64 s[10:11], s[10:11], exec
	v_add_u32_e32 v5, 4, v0
	s_andn2_b64 s[8:9], s[8:9], exec
	s_waitcnt vmcnt(0) lgkmcnt(0)
	v_cmp_ge_i32_e32 vcc, v7, v6
	v_cndmask_b32_e64 v9, 0, 1, vcc
	v_min_i32_e32 v8, v7, v6
	v_cmp_lt_i32_e32 vcc, v7, v6
	v_lshl_add_u32 v6, v9, 2, v1
	v_cndmask_b32_e64 v7, 0, 1, vcc
	v_cmp_eq_u32_e32 vcc, 4, v6
	s_and_b64 s[14:15], vcc, exec
	v_lshl_add_u32 v3, v7, 2, v3
	s_or_b64 s[10:11], s[10:11], s[14:15]
	buffer_store_dword v8, v0, s[0:3], 0 offen
	s_branch .LBB11_23
.LBB11_26:
	s_or_b64 exec, exec, s[4:5]
	s_xor_b64 s[4:5], s[6:7], -1
	s_and_saveexec_b64 s[6:7], s[4:5]
	s_xor_b64 s[4:5], exec, s[6:7]
	s_cbranch_execz .LBB11_31
; %bb.27:
	v_cmp_ne_u32_e32 vcc, 16, v3
	s_and_saveexec_b64 s[6:7], vcc
	s_cbranch_execz .LBB11_30
; %bb.28:
	s_movk_i32 s8, 0x2000
	v_sub_u32_e32 v4, 16, v3
	v_add3_u32 v2, v2, v3, s8
	s_mov_b32 s10, 0
	s_mov_b64 s[8:9], 0
.LBB11_29:                              ; =>This Inner Loop Header: Depth=1
	v_add_u32_e32 v3, s10, v2
	ds_read_b32 v3, v3
	v_add_u32_e32 v6, s10, v5
	s_add_i32 s10, s10, 4
	v_cmp_eq_u32_e32 vcc, s10, v4
	s_or_b64 s[8:9], vcc, s[8:9]
	s_waitcnt lgkmcnt(0)
	buffer_store_dword v3, v6, s[0:3], 0 offen
	s_andn2_b64 exec, exec, s[8:9]
	s_cbranch_execnz .LBB11_29
.LBB11_30:
	s_or_b64 exec, exec, s[6:7]
.LBB11_31:
	s_andn2_saveexec_b64 s[4:5], s[4:5]
	s_cbranch_execz .LBB11_35
; %bb.32:
	v_add_u32_e32 v2, 0, v1
	v_sub_u32_e32 v1, 4, v1
	s_mov_b32 s8, 0
	s_mov_b64 s[6:7], 0
.LBB11_33:                              ; =>This Inner Loop Header: Depth=1
	v_add_u32_e32 v3, s8, v2
	buffer_load_dword v3, v3, s[0:3], 0 offen
	v_add_u32_e32 v4, s8, v0
	s_add_i32 s8, s8, 4
	v_cmp_eq_u32_e32 vcc, s8, v1
	s_or_b64 s[6:7], vcc, s[6:7]
	s_waitcnt vmcnt(0)
	buffer_store_dword v3, v4, s[0:3], 0 offen
	s_andn2_b64 exec, exec, s[6:7]
	s_cbranch_execnz .LBB11_33
; %bb.34:
	s_or_b64 exec, exec, s[6:7]
.LBB11_35:
	s_or_b64 exec, exec, s[4:5]
	buffer_load_dword v0, off, s[0:3], 0 offset:20
	buffer_load_dword v1, off, s[0:3], 0 offset:12
	;; [unrolled: 1-line block ×5, first 2 shown]
	s_mov_b64 s[4:5], src_private_base
	v_mov_b32_e32 v5, 1
	v_mov_b32_e32 v6, 2
	;; [unrolled: 1-line block ×5, first 2 shown]
	buffer_store_dword v5, off, s[0:3], 0 offset:24
	buffer_store_dword v6, off, s[0:3], 0 offset:28
	;; [unrolled: 1-line block ×5, first 2 shown]
	v_mov_b32_e32 v5, s5
	v_mov_b32_e32 v10, 4
	;; [unrolled: 1-line block ×3, first 2 shown]
	buffer_store_dword v10, off, s[0:3], 0 offset:48
	buffer_store_dword v11, off, s[0:3], 0 offset:56
	buffer_store_dword v5, off, s[0:3], 0 offset:52
	buffer_store_dword v5, off, s[0:3], 0 offset:60
	s_waitcnt vmcnt(13)
	v_cmp_ne_u32_e32 vcc, 5, v0
	s_waitcnt vmcnt(12)
	v_cmp_ne_u32_e64 s[4:5], 3, v1
	v_cndmask_b32_e64 v0, 0, 1, s[4:5]
	s_waitcnt vmcnt(11)
	v_cmp_ne_u32_e64 s[4:5], 4, v2
	v_cndmask_b32_e64 v1, 0, 1, s[4:5]
	;; [unrolled: 3-line block ×4, first 2 shown]
	v_lshlrev_b16_e32 v0, 2, v0
	v_lshlrev_b16_e32 v1, 3, v1
	;; [unrolled: 1-line block ×3, first 2 shown]
	v_or_b32_e32 v0, v1, v0
	v_or_b32_e32 v1, v3, v2
	v_and_b32_e32 v1, 3, v1
	v_or_b32_e32 v0, v1, v0
	v_and_b32_e32 v0, 15, v0
	v_cmp_ne_u16_e64 s[4:5], 0, v0
	s_or_b64 s[4:5], s[4:5], vcc
	s_and_saveexec_b64 s[6:7], s[4:5]
	s_xor_b64 s[44:45], exec, s[6:7]
	s_cbranch_execz .LBB11_1607
; %bb.36:
	v_cmp_eq_u32_e32 vcc, 0, v46
	s_and_saveexec_b64 s[46:47], vcc
	s_cbranch_execz .LBB11_1606
; %bb.37:
	s_load_dwordx2 s[6:7], s[52:53], 0x60
	v_mbcnt_lo_u32_b32 v0, -1, 0
	v_mbcnt_hi_u32_b32 v32, -1, v0
	v_readfirstlane_b32 s4, v32
	v_mov_b32_e32 v5, 0
	v_mov_b32_e32 v6, 0
	v_cmp_eq_u32_e64 s[4:5], s4, v32
	s_and_saveexec_b64 s[8:9], s[4:5]
	s_cbranch_execz .LBB11_43
; %bb.38:
	v_mov_b32_e32 v0, 0
	s_waitcnt lgkmcnt(0)
	global_load_dwordx2 v[3:4], v0, s[6:7] offset:24 glc
	s_waitcnt vmcnt(0)
	buffer_wbinvl1_vol
	global_load_dwordx2 v[1:2], v0, s[6:7] offset:40
	global_load_dwordx2 v[5:6], v0, s[6:7]
	s_waitcnt vmcnt(1)
	v_and_b32_e32 v1, v1, v3
	v_and_b32_e32 v2, v2, v4
	v_mul_lo_u32 v2, v2, 24
	v_mul_hi_u32 v7, v1, 24
	v_mul_lo_u32 v1, v1, 24
	v_add_u32_e32 v2, v7, v2
	s_waitcnt vmcnt(0)
	v_add_co_u32_e32 v1, vcc, v5, v1
	v_addc_co_u32_e32 v2, vcc, v6, v2, vcc
	global_load_dwordx2 v[1:2], v[1:2], off glc
	s_waitcnt vmcnt(0)
	global_atomic_cmpswap_x2 v[5:6], v0, v[1:4], s[6:7] offset:24 glc
	s_waitcnt vmcnt(0)
	buffer_wbinvl1_vol
	v_cmp_ne_u64_e32 vcc, v[5:6], v[3:4]
	s_and_saveexec_b64 s[10:11], vcc
	s_cbranch_execz .LBB11_42
; %bb.39:
	s_mov_b64 s[12:13], 0
.LBB11_40:                              ; =>This Inner Loop Header: Depth=1
	s_sleep 1
	global_load_dwordx2 v[1:2], v0, s[6:7] offset:40
	global_load_dwordx2 v[7:8], v0, s[6:7]
	v_mov_b32_e32 v3, v5
	v_mov_b32_e32 v4, v6
	s_waitcnt vmcnt(1)
	v_and_b32_e32 v1, v1, v3
	s_waitcnt vmcnt(0)
	v_mad_u64_u32 v[5:6], s[14:15], v1, 24, v[7:8]
	v_and_b32_e32 v2, v2, v4
	v_mov_b32_e32 v1, v6
	v_mad_u64_u32 v[1:2], s[14:15], v2, 24, v[1:2]
	v_mov_b32_e32 v6, v1
	global_load_dwordx2 v[1:2], v[5:6], off glc
	s_waitcnt vmcnt(0)
	global_atomic_cmpswap_x2 v[5:6], v0, v[1:4], s[6:7] offset:24 glc
	s_waitcnt vmcnt(0)
	buffer_wbinvl1_vol
	v_cmp_eq_u64_e32 vcc, v[5:6], v[3:4]
	s_or_b64 s[12:13], vcc, s[12:13]
	s_andn2_b64 exec, exec, s[12:13]
	s_cbranch_execnz .LBB11_40
; %bb.41:
	s_or_b64 exec, exec, s[12:13]
.LBB11_42:
	s_or_b64 exec, exec, s[10:11]
.LBB11_43:
	s_or_b64 exec, exec, s[8:9]
	v_mov_b32_e32 v4, 0
	s_waitcnt lgkmcnt(0)
	global_load_dwordx2 v[7:8], v4, s[6:7] offset:40
	global_load_dwordx4 v[0:3], v4, s[6:7]
	v_readfirstlane_b32 s8, v5
	v_readfirstlane_b32 s9, v6
	s_mov_b64 s[10:11], exec
	s_waitcnt vmcnt(1)
	v_readfirstlane_b32 s12, v7
	v_readfirstlane_b32 s13, v8
	s_and_b64 s[12:13], s[8:9], s[12:13]
	s_mul_i32 s14, s13, 24
	s_mul_hi_u32 s15, s12, 24
	s_mul_i32 s16, s12, 24
	s_add_i32 s14, s15, s14
	v_mov_b32_e32 v5, s14
	s_waitcnt vmcnt(0)
	v_add_co_u32_e32 v7, vcc, s16, v0
	v_addc_co_u32_e32 v8, vcc, v1, v5, vcc
	s_and_saveexec_b64 s[14:15], s[4:5]
	s_cbranch_execz .LBB11_45
; %bb.44:
	v_mov_b32_e32 v9, s10
	v_mov_b32_e32 v10, s11
	;; [unrolled: 1-line block ×4, first 2 shown]
	global_store_dwordx4 v[7:8], v[9:12], off offset:8
.LBB11_45:
	s_or_b64 exec, exec, s[14:15]
	s_lshl_b64 s[10:11], s[12:13], 12
	v_mov_b32_e32 v5, s11
	v_add_co_u32_e32 v2, vcc, s10, v2
	v_addc_co_u32_e32 v11, vcc, v3, v5, vcc
	s_mov_b32 s12, 0
	v_lshlrev_b32_e32 v31, 6, v32
	v_mov_b32_e32 v3, 33
	v_mov_b32_e32 v5, v4
	;; [unrolled: 1-line block ×3, first 2 shown]
	v_readfirstlane_b32 s10, v2
	v_readfirstlane_b32 s11, v11
	v_add_co_u32_e32 v9, vcc, v2, v31
	s_mov_b32 s13, s12
	s_mov_b32 s14, s12
	;; [unrolled: 1-line block ×3, first 2 shown]
	s_nop 0
	global_store_dwordx4 v31, v[3:6], s[10:11]
	v_mov_b32_e32 v2, s12
	v_addc_co_u32_e32 v10, vcc, 0, v11, vcc
	v_mov_b32_e32 v3, s13
	v_mov_b32_e32 v4, s14
	;; [unrolled: 1-line block ×3, first 2 shown]
	global_store_dwordx4 v31, v[2:5], s[10:11] offset:16
	global_store_dwordx4 v31, v[2:5], s[10:11] offset:32
	;; [unrolled: 1-line block ×3, first 2 shown]
	s_and_saveexec_b64 s[10:11], s[4:5]
	s_cbranch_execz .LBB11_53
; %bb.46:
	v_mov_b32_e32 v6, 0
	global_load_dwordx2 v[13:14], v6, s[6:7] offset:32 glc
	global_load_dwordx2 v[2:3], v6, s[6:7] offset:40
	v_mov_b32_e32 v11, s8
	v_mov_b32_e32 v12, s9
	s_waitcnt vmcnt(0)
	v_and_b32_e32 v2, s8, v2
	v_and_b32_e32 v3, s9, v3
	v_mul_lo_u32 v3, v3, 24
	v_mul_hi_u32 v4, v2, 24
	v_mul_lo_u32 v2, v2, 24
	v_add_u32_e32 v3, v4, v3
	v_add_co_u32_e32 v4, vcc, v0, v2
	v_addc_co_u32_e32 v5, vcc, v1, v3, vcc
	global_store_dwordx2 v[4:5], v[13:14], off
	s_waitcnt vmcnt(0)
	global_atomic_cmpswap_x2 v[2:3], v6, v[11:14], s[6:7] offset:32 glc
	s_waitcnt vmcnt(0)
	v_cmp_ne_u64_e32 vcc, v[2:3], v[13:14]
	s_and_saveexec_b64 s[12:13], vcc
	s_cbranch_execz .LBB11_49
; %bb.47:
	s_mov_b64 s[14:15], 0
.LBB11_48:                              ; =>This Inner Loop Header: Depth=1
	s_sleep 1
	global_store_dwordx2 v[4:5], v[2:3], off
	v_mov_b32_e32 v0, s8
	v_mov_b32_e32 v1, s9
	s_waitcnt vmcnt(0)
	global_atomic_cmpswap_x2 v[0:1], v6, v[0:3], s[6:7] offset:32 glc
	s_waitcnt vmcnt(0)
	v_cmp_eq_u64_e32 vcc, v[0:1], v[2:3]
	v_mov_b32_e32 v3, v1
	s_or_b64 s[14:15], vcc, s[14:15]
	v_mov_b32_e32 v2, v0
	s_andn2_b64 exec, exec, s[14:15]
	s_cbranch_execnz .LBB11_48
.LBB11_49:
	s_or_b64 exec, exec, s[12:13]
	v_mov_b32_e32 v3, 0
	global_load_dwordx2 v[0:1], v3, s[6:7] offset:16
	s_mov_b64 s[12:13], exec
	v_mbcnt_lo_u32_b32 v2, s12, 0
	v_mbcnt_hi_u32_b32 v2, s13, v2
	v_cmp_eq_u32_e32 vcc, 0, v2
	s_and_saveexec_b64 s[14:15], vcc
	s_cbranch_execz .LBB11_51
; %bb.50:
	s_bcnt1_i32_b64 s12, s[12:13]
	v_mov_b32_e32 v2, s12
	s_waitcnt vmcnt(0)
	global_atomic_add_x2 v[0:1], v[2:3], off offset:8
.LBB11_51:
	s_or_b64 exec, exec, s[14:15]
	s_waitcnt vmcnt(0)
	global_load_dwordx2 v[2:3], v[0:1], off offset:16
	s_waitcnt vmcnt(0)
	v_cmp_eq_u64_e32 vcc, 0, v[2:3]
	s_cbranch_vccnz .LBB11_53
; %bb.52:
	global_load_dword v0, v[0:1], off offset:24
	v_mov_b32_e32 v1, 0
	s_waitcnt vmcnt(0)
	global_store_dwordx2 v[2:3], v[0:1], off
	v_and_b32_e32 v0, 0xffffff, v0
	v_readfirstlane_b32 m0, v0
	s_sendmsg sendmsg(MSG_INTERRUPT)
.LBB11_53:
	s_or_b64 exec, exec, s[10:11]
	s_branch .LBB11_57
.LBB11_54:                              ;   in Loop: Header=BB11_57 Depth=1
	s_or_b64 exec, exec, s[10:11]
	v_readfirstlane_b32 s10, v0
	s_cmp_eq_u32 s10, 0
	s_cbranch_scc1 .LBB11_56
; %bb.55:                               ;   in Loop: Header=BB11_57 Depth=1
	s_sleep 1
	s_cbranch_execnz .LBB11_57
	s_branch .LBB11_59
.LBB11_56:
	s_branch .LBB11_59
.LBB11_57:                              ; =>This Inner Loop Header: Depth=1
	v_mov_b32_e32 v0, 1
	s_and_saveexec_b64 s[10:11], s[4:5]
	s_cbranch_execz .LBB11_54
; %bb.58:                               ;   in Loop: Header=BB11_57 Depth=1
	global_load_dword v0, v[7:8], off offset:20 glc
	s_waitcnt vmcnt(0)
	buffer_wbinvl1_vol
	v_and_b32_e32 v0, 1, v0
	s_branch .LBB11_54
.LBB11_59:
	global_load_dwordx2 v[4:5], v[9:10], off
	s_and_saveexec_b64 s[10:11], s[4:5]
	s_cbranch_execz .LBB11_62
; %bb.60:
	v_mov_b32_e32 v8, 0
	global_load_dwordx2 v[2:3], v8, s[6:7] offset:40
	global_load_dwordx2 v[9:10], v8, s[6:7] offset:24 glc
	global_load_dwordx2 v[6:7], v8, s[6:7]
	v_mov_b32_e32 v1, s9
	s_mov_b64 s[4:5], 0
	s_waitcnt vmcnt(2)
	v_add_co_u32_e32 v11, vcc, 1, v2
	v_addc_co_u32_e32 v12, vcc, 0, v3, vcc
	v_add_co_u32_e32 v0, vcc, s8, v11
	v_addc_co_u32_e32 v1, vcc, v12, v1, vcc
	v_cmp_eq_u64_e32 vcc, 0, v[0:1]
	v_cndmask_b32_e32 v1, v1, v12, vcc
	v_cndmask_b32_e32 v0, v0, v11, vcc
	v_and_b32_e32 v3, v1, v3
	v_and_b32_e32 v2, v0, v2
	v_mul_lo_u32 v3, v3, 24
	v_mul_hi_u32 v11, v2, 24
	v_mul_lo_u32 v12, v2, 24
	s_waitcnt vmcnt(1)
	v_mov_b32_e32 v2, v9
	v_add_u32_e32 v3, v11, v3
	s_waitcnt vmcnt(0)
	v_add_co_u32_e32 v6, vcc, v6, v12
	v_addc_co_u32_e32 v7, vcc, v7, v3, vcc
	global_store_dwordx2 v[6:7], v[9:10], off
	v_mov_b32_e32 v3, v10
	s_waitcnt vmcnt(0)
	global_atomic_cmpswap_x2 v[2:3], v8, v[0:3], s[6:7] offset:24 glc
	s_waitcnt vmcnt(0)
	v_cmp_ne_u64_e32 vcc, v[2:3], v[9:10]
	s_and_b64 exec, exec, vcc
	s_cbranch_execz .LBB11_62
.LBB11_61:                              ; =>This Inner Loop Header: Depth=1
	s_sleep 1
	global_store_dwordx2 v[6:7], v[2:3], off
	s_waitcnt vmcnt(0)
	global_atomic_cmpswap_x2 v[9:10], v8, v[0:3], s[6:7] offset:24 glc
	s_waitcnt vmcnt(0)
	v_cmp_eq_u64_e32 vcc, v[9:10], v[2:3]
	v_mov_b32_e32 v2, v9
	s_or_b64 s[4:5], vcc, s[4:5]
	v_mov_b32_e32 v3, v10
	s_andn2_b64 exec, exec, s[4:5]
	s_cbranch_execnz .LBB11_61
.LBB11_62:
	s_or_b64 exec, exec, s[10:11]
	s_getpc_b64 s[10:11]
	s_add_u32 s10, s10, .str.5@rel32@lo+4
	s_addc_u32 s11, s11, .str.5@rel32@hi+12
	s_cmp_lg_u64 s[10:11], 0
	s_cselect_b64 s[8:9], -1, 0
	s_and_b64 vcc, exec, s[8:9]
	s_cbranch_vccz .LBB11_147
; %bb.63:
	s_waitcnt vmcnt(0)
	v_and_b32_e32 v29, 2, v4
	v_mov_b32_e32 v26, 0
	v_and_b32_e32 v0, -3, v4
	v_mov_b32_e32 v1, v5
	s_mov_b64 s[12:13], 3
	v_mov_b32_e32 v8, 2
	v_mov_b32_e32 v9, 1
	s_branch .LBB11_65
.LBB11_64:                              ;   in Loop: Header=BB11_65 Depth=1
	s_or_b64 exec, exec, s[18:19]
	s_sub_u32 s12, s12, s14
	s_subb_u32 s13, s13, s15
	s_add_u32 s10, s10, s14
	s_addc_u32 s11, s11, s15
	s_cmp_lg_u64 s[12:13], 0
	s_cbranch_scc0 .LBB11_146
.LBB11_65:                              ; =>This Loop Header: Depth=1
                                        ;     Child Loop BB11_68 Depth 2
                                        ;     Child Loop BB11_75 Depth 2
	;; [unrolled: 1-line block ×11, first 2 shown]
	v_cmp_lt_u64_e64 s[4:5], s[12:13], 56
	v_cmp_gt_u64_e64 s[16:17], s[12:13], 7
	s_and_b64 s[4:5], s[4:5], exec
	s_cselect_b32 s15, s13, 0
	s_cselect_b32 s14, s12, 56
	s_and_b64 vcc, exec, s[16:17]
	s_cbranch_vccnz .LBB11_70
; %bb.66:                               ;   in Loop: Header=BB11_65 Depth=1
	s_waitcnt vmcnt(0)
	v_mov_b32_e32 v2, 0
	s_cmp_eq_u64 s[12:13], 0
	v_mov_b32_e32 v3, 0
	s_mov_b64 s[4:5], 0
	s_cbranch_scc1 .LBB11_69
; %bb.67:                               ;   in Loop: Header=BB11_65 Depth=1
	v_mov_b32_e32 v2, 0
	s_lshl_b64 s[16:17], s[14:15], 3
	s_mov_b64 s[18:19], 0
	v_mov_b32_e32 v3, 0
	s_mov_b64 s[20:21], s[10:11]
.LBB11_68:                              ;   Parent Loop BB11_65 Depth=1
                                        ; =>  This Inner Loop Header: Depth=2
	global_load_ubyte v6, v26, s[20:21]
	s_waitcnt vmcnt(0)
	v_and_b32_e32 v25, 0xffff, v6
	v_lshlrev_b64 v[6:7], s18, v[25:26]
	s_add_u32 s18, s18, 8
	s_addc_u32 s19, s19, 0
	s_add_u32 s20, s20, 1
	s_addc_u32 s21, s21, 0
	v_or_b32_e32 v2, v6, v2
	s_cmp_lg_u32 s16, s18
	v_or_b32_e32 v3, v7, v3
	s_cbranch_scc1 .LBB11_68
.LBB11_69:                              ;   in Loop: Header=BB11_65 Depth=1
	s_mov_b32 s20, 0
	s_andn2_b64 vcc, exec, s[4:5]
	s_mov_b64 s[4:5], s[10:11]
	s_cbranch_vccz .LBB11_71
	s_branch .LBB11_72
.LBB11_70:                              ;   in Loop: Header=BB11_65 Depth=1
                                        ; implicit-def: $vgpr2_vgpr3
                                        ; implicit-def: $sgpr20
	s_mov_b64 s[4:5], s[10:11]
.LBB11_71:                              ;   in Loop: Header=BB11_65 Depth=1
	global_load_dwordx2 v[2:3], v26, s[10:11]
	s_add_i32 s20, s14, -8
	s_add_u32 s4, s10, 8
	s_addc_u32 s5, s11, 0
.LBB11_72:                              ;   in Loop: Header=BB11_65 Depth=1
	s_cmp_gt_u32 s20, 7
	s_cbranch_scc1 .LBB11_76
; %bb.73:                               ;   in Loop: Header=BB11_65 Depth=1
	s_cmp_eq_u32 s20, 0
	s_cbranch_scc1 .LBB11_77
; %bb.74:                               ;   in Loop: Header=BB11_65 Depth=1
	v_mov_b32_e32 v10, 0
	s_mov_b64 s[16:17], 0
	v_mov_b32_e32 v11, 0
	s_mov_b64 s[18:19], 0
.LBB11_75:                              ;   Parent Loop BB11_65 Depth=1
                                        ; =>  This Inner Loop Header: Depth=2
	s_add_u32 s22, s4, s18
	s_addc_u32 s23, s5, s19
	global_load_ubyte v6, v26, s[22:23]
	s_add_u32 s18, s18, 1
	s_addc_u32 s19, s19, 0
	s_waitcnt vmcnt(0)
	v_and_b32_e32 v25, 0xffff, v6
	v_lshlrev_b64 v[6:7], s16, v[25:26]
	s_add_u32 s16, s16, 8
	s_addc_u32 s17, s17, 0
	v_or_b32_e32 v10, v6, v10
	s_cmp_lg_u32 s20, s18
	v_or_b32_e32 v11, v7, v11
	s_cbranch_scc1 .LBB11_75
	s_branch .LBB11_78
.LBB11_76:                              ;   in Loop: Header=BB11_65 Depth=1
                                        ; implicit-def: $vgpr10_vgpr11
                                        ; implicit-def: $sgpr21
	s_branch .LBB11_79
.LBB11_77:                              ;   in Loop: Header=BB11_65 Depth=1
	v_mov_b32_e32 v10, 0
	v_mov_b32_e32 v11, 0
.LBB11_78:                              ;   in Loop: Header=BB11_65 Depth=1
	s_mov_b32 s21, 0
	s_cbranch_execnz .LBB11_80
.LBB11_79:                              ;   in Loop: Header=BB11_65 Depth=1
	global_load_dwordx2 v[10:11], v26, s[4:5]
	s_add_i32 s21, s20, -8
	s_add_u32 s4, s4, 8
	s_addc_u32 s5, s5, 0
.LBB11_80:                              ;   in Loop: Header=BB11_65 Depth=1
	s_cmp_gt_u32 s21, 7
	s_cbranch_scc1 .LBB11_84
; %bb.81:                               ;   in Loop: Header=BB11_65 Depth=1
	s_cmp_eq_u32 s21, 0
	s_cbranch_scc1 .LBB11_85
; %bb.82:                               ;   in Loop: Header=BB11_65 Depth=1
	v_mov_b32_e32 v12, 0
	s_mov_b64 s[16:17], 0
	v_mov_b32_e32 v13, 0
	s_mov_b64 s[18:19], 0
.LBB11_83:                              ;   Parent Loop BB11_65 Depth=1
                                        ; =>  This Inner Loop Header: Depth=2
	s_add_u32 s22, s4, s18
	s_addc_u32 s23, s5, s19
	global_load_ubyte v6, v26, s[22:23]
	s_add_u32 s18, s18, 1
	s_addc_u32 s19, s19, 0
	s_waitcnt vmcnt(0)
	v_and_b32_e32 v25, 0xffff, v6
	v_lshlrev_b64 v[6:7], s16, v[25:26]
	s_add_u32 s16, s16, 8
	s_addc_u32 s17, s17, 0
	v_or_b32_e32 v12, v6, v12
	s_cmp_lg_u32 s21, s18
	v_or_b32_e32 v13, v7, v13
	s_cbranch_scc1 .LBB11_83
	s_branch .LBB11_86
.LBB11_84:                              ;   in Loop: Header=BB11_65 Depth=1
                                        ; implicit-def: $sgpr20
	s_branch .LBB11_87
.LBB11_85:                              ;   in Loop: Header=BB11_65 Depth=1
	v_mov_b32_e32 v12, 0
	v_mov_b32_e32 v13, 0
.LBB11_86:                              ;   in Loop: Header=BB11_65 Depth=1
	s_mov_b32 s20, 0
	s_cbranch_execnz .LBB11_88
.LBB11_87:                              ;   in Loop: Header=BB11_65 Depth=1
	global_load_dwordx2 v[12:13], v26, s[4:5]
	s_add_i32 s20, s21, -8
	s_add_u32 s4, s4, 8
	s_addc_u32 s5, s5, 0
.LBB11_88:                              ;   in Loop: Header=BB11_65 Depth=1
	s_cmp_gt_u32 s20, 7
	s_cbranch_scc1 .LBB11_92
; %bb.89:                               ;   in Loop: Header=BB11_65 Depth=1
	s_cmp_eq_u32 s20, 0
	s_cbranch_scc1 .LBB11_93
; %bb.90:                               ;   in Loop: Header=BB11_65 Depth=1
	v_mov_b32_e32 v14, 0
	s_mov_b64 s[16:17], 0
	v_mov_b32_e32 v15, 0
	s_mov_b64 s[18:19], 0
.LBB11_91:                              ;   Parent Loop BB11_65 Depth=1
                                        ; =>  This Inner Loop Header: Depth=2
	s_add_u32 s22, s4, s18
	s_addc_u32 s23, s5, s19
	global_load_ubyte v6, v26, s[22:23]
	s_add_u32 s18, s18, 1
	s_addc_u32 s19, s19, 0
	s_waitcnt vmcnt(0)
	v_and_b32_e32 v25, 0xffff, v6
	v_lshlrev_b64 v[6:7], s16, v[25:26]
	s_add_u32 s16, s16, 8
	s_addc_u32 s17, s17, 0
	v_or_b32_e32 v14, v6, v14
	s_cmp_lg_u32 s20, s18
	v_or_b32_e32 v15, v7, v15
	s_cbranch_scc1 .LBB11_91
	s_branch .LBB11_94
.LBB11_92:                              ;   in Loop: Header=BB11_65 Depth=1
                                        ; implicit-def: $vgpr14_vgpr15
                                        ; implicit-def: $sgpr21
	s_branch .LBB11_95
.LBB11_93:                              ;   in Loop: Header=BB11_65 Depth=1
	v_mov_b32_e32 v14, 0
	v_mov_b32_e32 v15, 0
.LBB11_94:                              ;   in Loop: Header=BB11_65 Depth=1
	s_mov_b32 s21, 0
	s_cbranch_execnz .LBB11_96
.LBB11_95:                              ;   in Loop: Header=BB11_65 Depth=1
	global_load_dwordx2 v[14:15], v26, s[4:5]
	s_add_i32 s21, s20, -8
	s_add_u32 s4, s4, 8
	s_addc_u32 s5, s5, 0
.LBB11_96:                              ;   in Loop: Header=BB11_65 Depth=1
	s_cmp_gt_u32 s21, 7
	s_cbranch_scc1 .LBB11_100
; %bb.97:                               ;   in Loop: Header=BB11_65 Depth=1
	s_cmp_eq_u32 s21, 0
	s_cbranch_scc1 .LBB11_101
; %bb.98:                               ;   in Loop: Header=BB11_65 Depth=1
	v_mov_b32_e32 v16, 0
	s_mov_b64 s[16:17], 0
	v_mov_b32_e32 v17, 0
	s_mov_b64 s[18:19], 0
.LBB11_99:                              ;   Parent Loop BB11_65 Depth=1
                                        ; =>  This Inner Loop Header: Depth=2
	s_add_u32 s22, s4, s18
	s_addc_u32 s23, s5, s19
	global_load_ubyte v6, v26, s[22:23]
	s_add_u32 s18, s18, 1
	s_addc_u32 s19, s19, 0
	s_waitcnt vmcnt(0)
	v_and_b32_e32 v25, 0xffff, v6
	v_lshlrev_b64 v[6:7], s16, v[25:26]
	s_add_u32 s16, s16, 8
	s_addc_u32 s17, s17, 0
	v_or_b32_e32 v16, v6, v16
	s_cmp_lg_u32 s21, s18
	v_or_b32_e32 v17, v7, v17
	s_cbranch_scc1 .LBB11_99
	s_branch .LBB11_102
.LBB11_100:                             ;   in Loop: Header=BB11_65 Depth=1
                                        ; implicit-def: $sgpr20
	s_branch .LBB11_103
.LBB11_101:                             ;   in Loop: Header=BB11_65 Depth=1
	v_mov_b32_e32 v16, 0
	v_mov_b32_e32 v17, 0
.LBB11_102:                             ;   in Loop: Header=BB11_65 Depth=1
	s_mov_b32 s20, 0
	s_cbranch_execnz .LBB11_104
.LBB11_103:                             ;   in Loop: Header=BB11_65 Depth=1
	global_load_dwordx2 v[16:17], v26, s[4:5]
	s_add_i32 s20, s21, -8
	s_add_u32 s4, s4, 8
	s_addc_u32 s5, s5, 0
.LBB11_104:                             ;   in Loop: Header=BB11_65 Depth=1
	s_cmp_gt_u32 s20, 7
	s_cbranch_scc1 .LBB11_108
; %bb.105:                              ;   in Loop: Header=BB11_65 Depth=1
	s_cmp_eq_u32 s20, 0
	s_cbranch_scc1 .LBB11_109
; %bb.106:                              ;   in Loop: Header=BB11_65 Depth=1
	v_mov_b32_e32 v18, 0
	s_mov_b64 s[16:17], 0
	v_mov_b32_e32 v19, 0
	s_mov_b64 s[18:19], 0
.LBB11_107:                             ;   Parent Loop BB11_65 Depth=1
                                        ; =>  This Inner Loop Header: Depth=2
	s_add_u32 s22, s4, s18
	s_addc_u32 s23, s5, s19
	global_load_ubyte v6, v26, s[22:23]
	s_add_u32 s18, s18, 1
	s_addc_u32 s19, s19, 0
	s_waitcnt vmcnt(0)
	v_and_b32_e32 v25, 0xffff, v6
	v_lshlrev_b64 v[6:7], s16, v[25:26]
	s_add_u32 s16, s16, 8
	s_addc_u32 s17, s17, 0
	v_or_b32_e32 v18, v6, v18
	s_cmp_lg_u32 s20, s18
	v_or_b32_e32 v19, v7, v19
	s_cbranch_scc1 .LBB11_107
	s_branch .LBB11_110
.LBB11_108:                             ;   in Loop: Header=BB11_65 Depth=1
                                        ; implicit-def: $vgpr18_vgpr19
                                        ; implicit-def: $sgpr21
	s_branch .LBB11_111
.LBB11_109:                             ;   in Loop: Header=BB11_65 Depth=1
	v_mov_b32_e32 v18, 0
	v_mov_b32_e32 v19, 0
.LBB11_110:                             ;   in Loop: Header=BB11_65 Depth=1
	s_mov_b32 s21, 0
	s_cbranch_execnz .LBB11_112
.LBB11_111:                             ;   in Loop: Header=BB11_65 Depth=1
	global_load_dwordx2 v[18:19], v26, s[4:5]
	s_add_i32 s21, s20, -8
	s_add_u32 s4, s4, 8
	s_addc_u32 s5, s5, 0
.LBB11_112:                             ;   in Loop: Header=BB11_65 Depth=1
	s_cmp_gt_u32 s21, 7
	s_cbranch_scc1 .LBB11_116
; %bb.113:                              ;   in Loop: Header=BB11_65 Depth=1
	s_cmp_eq_u32 s21, 0
	s_cbranch_scc1 .LBB11_117
; %bb.114:                              ;   in Loop: Header=BB11_65 Depth=1
	v_mov_b32_e32 v20, 0
	s_mov_b64 s[16:17], 0
	v_mov_b32_e32 v21, 0
	s_mov_b64 s[18:19], s[4:5]
.LBB11_115:                             ;   Parent Loop BB11_65 Depth=1
                                        ; =>  This Inner Loop Header: Depth=2
	global_load_ubyte v6, v26, s[18:19]
	s_add_i32 s21, s21, -1
	s_waitcnt vmcnt(0)
	v_and_b32_e32 v25, 0xffff, v6
	v_lshlrev_b64 v[6:7], s16, v[25:26]
	s_add_u32 s16, s16, 8
	s_addc_u32 s17, s17, 0
	s_add_u32 s18, s18, 1
	s_addc_u32 s19, s19, 0
	v_or_b32_e32 v20, v6, v20
	s_cmp_lg_u32 s21, 0
	v_or_b32_e32 v21, v7, v21
	s_cbranch_scc1 .LBB11_115
	s_branch .LBB11_118
.LBB11_116:                             ;   in Loop: Header=BB11_65 Depth=1
	s_branch .LBB11_119
.LBB11_117:                             ;   in Loop: Header=BB11_65 Depth=1
	v_mov_b32_e32 v20, 0
	v_mov_b32_e32 v21, 0
.LBB11_118:                             ;   in Loop: Header=BB11_65 Depth=1
	s_cbranch_execnz .LBB11_120
.LBB11_119:                             ;   in Loop: Header=BB11_65 Depth=1
	global_load_dwordx2 v[20:21], v26, s[4:5]
.LBB11_120:                             ;   in Loop: Header=BB11_65 Depth=1
	v_readfirstlane_b32 s4, v32
	v_mov_b32_e32 v6, 0
	v_mov_b32_e32 v7, 0
	v_cmp_eq_u32_e64 s[4:5], s4, v32
	s_and_saveexec_b64 s[16:17], s[4:5]
	s_cbranch_execz .LBB11_126
; %bb.121:                              ;   in Loop: Header=BB11_65 Depth=1
	global_load_dwordx2 v[24:25], v26, s[6:7] offset:24 glc
	s_waitcnt vmcnt(0)
	buffer_wbinvl1_vol
	global_load_dwordx2 v[6:7], v26, s[6:7] offset:40
	global_load_dwordx2 v[22:23], v26, s[6:7]
	s_waitcnt vmcnt(1)
	v_and_b32_e32 v6, v6, v24
	v_and_b32_e32 v7, v7, v25
	v_mul_lo_u32 v7, v7, 24
	v_mul_hi_u32 v27, v6, 24
	v_mul_lo_u32 v6, v6, 24
	v_add_u32_e32 v7, v27, v7
	s_waitcnt vmcnt(0)
	v_add_co_u32_e32 v6, vcc, v22, v6
	v_addc_co_u32_e32 v7, vcc, v23, v7, vcc
	global_load_dwordx2 v[22:23], v[6:7], off glc
	s_waitcnt vmcnt(0)
	global_atomic_cmpswap_x2 v[6:7], v26, v[22:25], s[6:7] offset:24 glc
	s_waitcnt vmcnt(0)
	buffer_wbinvl1_vol
	v_cmp_ne_u64_e32 vcc, v[6:7], v[24:25]
	s_and_saveexec_b64 s[18:19], vcc
	s_cbranch_execz .LBB11_125
; %bb.122:                              ;   in Loop: Header=BB11_65 Depth=1
	s_mov_b64 s[20:21], 0
.LBB11_123:                             ;   Parent Loop BB11_65 Depth=1
                                        ; =>  This Inner Loop Header: Depth=2
	s_sleep 1
	global_load_dwordx2 v[22:23], v26, s[6:7] offset:40
	global_load_dwordx2 v[27:28], v26, s[6:7]
	v_mov_b32_e32 v25, v7
	v_mov_b32_e32 v24, v6
	s_waitcnt vmcnt(1)
	v_and_b32_e32 v6, v22, v24
	s_waitcnt vmcnt(0)
	v_mad_u64_u32 v[6:7], s[22:23], v6, 24, v[27:28]
	v_and_b32_e32 v22, v23, v25
	v_mad_u64_u32 v[22:23], s[22:23], v22, 24, v[7:8]
	v_mov_b32_e32 v7, v22
	global_load_dwordx2 v[22:23], v[6:7], off glc
	s_waitcnt vmcnt(0)
	global_atomic_cmpswap_x2 v[6:7], v26, v[22:25], s[6:7] offset:24 glc
	s_waitcnt vmcnt(0)
	buffer_wbinvl1_vol
	v_cmp_eq_u64_e32 vcc, v[6:7], v[24:25]
	s_or_b64 s[20:21], vcc, s[20:21]
	s_andn2_b64 exec, exec, s[20:21]
	s_cbranch_execnz .LBB11_123
; %bb.124:                              ;   in Loop: Header=BB11_65 Depth=1
	s_or_b64 exec, exec, s[20:21]
.LBB11_125:                             ;   in Loop: Header=BB11_65 Depth=1
	s_or_b64 exec, exec, s[18:19]
.LBB11_126:                             ;   in Loop: Header=BB11_65 Depth=1
	s_or_b64 exec, exec, s[16:17]
	global_load_dwordx2 v[27:28], v26, s[6:7] offset:40
	global_load_dwordx4 v[22:25], v26, s[6:7]
	v_readfirstlane_b32 s16, v6
	v_readfirstlane_b32 s17, v7
	s_mov_b64 s[18:19], exec
	s_waitcnt vmcnt(1)
	v_readfirstlane_b32 s20, v27
	v_readfirstlane_b32 s21, v28
	s_and_b64 s[20:21], s[16:17], s[20:21]
	s_mul_i32 s22, s21, 24
	s_mul_hi_u32 s23, s20, 24
	s_mul_i32 s24, s20, 24
	s_add_i32 s22, s23, s22
	v_mov_b32_e32 v6, s22
	s_waitcnt vmcnt(0)
	v_add_co_u32_e32 v27, vcc, s24, v22
	v_addc_co_u32_e32 v28, vcc, v23, v6, vcc
	s_and_saveexec_b64 s[22:23], s[4:5]
	s_cbranch_execz .LBB11_128
; %bb.127:                              ;   in Loop: Header=BB11_65 Depth=1
	v_mov_b32_e32 v6, s18
	v_mov_b32_e32 v7, s19
	global_store_dwordx4 v[27:28], v[6:9], off offset:8
.LBB11_128:                             ;   in Loop: Header=BB11_65 Depth=1
	s_or_b64 exec, exec, s[22:23]
	s_lshl_b64 s[18:19], s[20:21], 12
	v_mov_b32_e32 v6, s19
	v_add_co_u32_e32 v24, vcc, s18, v24
	v_addc_co_u32_e32 v30, vcc, v25, v6, vcc
	v_cmp_gt_u64_e64 vcc, s[12:13], 56
	v_or_b32_e32 v7, v0, v29
	s_lshl_b32 s18, s14, 2
	v_cndmask_b32_e32 v0, v7, v0, vcc
	s_add_i32 s18, s18, 28
	v_or_b32_e32 v6, 0, v1
	s_and_b32 s18, s18, 0x1e0
	v_and_b32_e32 v0, 0xffffff1f, v0
	v_cndmask_b32_e32 v1, v6, v1, vcc
	v_or_b32_e32 v0, s18, v0
	v_readfirstlane_b32 s18, v24
	v_readfirstlane_b32 s19, v30
	s_nop 4
	global_store_dwordx4 v31, v[0:3], s[18:19]
	global_store_dwordx4 v31, v[10:13], s[18:19] offset:16
	global_store_dwordx4 v31, v[14:17], s[18:19] offset:32
	global_store_dwordx4 v31, v[18:21], s[18:19] offset:48
	s_and_saveexec_b64 s[18:19], s[4:5]
	s_cbranch_execz .LBB11_136
; %bb.129:                              ;   in Loop: Header=BB11_65 Depth=1
	global_load_dwordx2 v[12:13], v26, s[6:7] offset:32 glc
	global_load_dwordx2 v[0:1], v26, s[6:7] offset:40
	v_mov_b32_e32 v10, s16
	v_mov_b32_e32 v11, s17
	s_waitcnt vmcnt(0)
	v_readfirstlane_b32 s20, v0
	v_readfirstlane_b32 s21, v1
	s_and_b64 s[20:21], s[20:21], s[16:17]
	s_mul_i32 s21, s21, 24
	s_mul_hi_u32 s22, s20, 24
	s_mul_i32 s20, s20, 24
	s_add_i32 s21, s22, s21
	v_mov_b32_e32 v0, s21
	v_add_co_u32_e32 v6, vcc, s20, v22
	v_addc_co_u32_e32 v7, vcc, v23, v0, vcc
	global_store_dwordx2 v[6:7], v[12:13], off
	s_waitcnt vmcnt(0)
	global_atomic_cmpswap_x2 v[2:3], v26, v[10:13], s[6:7] offset:32 glc
	s_waitcnt vmcnt(0)
	v_cmp_ne_u64_e32 vcc, v[2:3], v[12:13]
	s_and_saveexec_b64 s[20:21], vcc
	s_cbranch_execz .LBB11_132
; %bb.130:                              ;   in Loop: Header=BB11_65 Depth=1
	s_mov_b64 s[22:23], 0
.LBB11_131:                             ;   Parent Loop BB11_65 Depth=1
                                        ; =>  This Inner Loop Header: Depth=2
	s_sleep 1
	global_store_dwordx2 v[6:7], v[2:3], off
	v_mov_b32_e32 v0, s16
	v_mov_b32_e32 v1, s17
	s_waitcnt vmcnt(0)
	global_atomic_cmpswap_x2 v[0:1], v26, v[0:3], s[6:7] offset:32 glc
	s_waitcnt vmcnt(0)
	v_cmp_eq_u64_e32 vcc, v[0:1], v[2:3]
	v_mov_b32_e32 v3, v1
	s_or_b64 s[22:23], vcc, s[22:23]
	v_mov_b32_e32 v2, v0
	s_andn2_b64 exec, exec, s[22:23]
	s_cbranch_execnz .LBB11_131
.LBB11_132:                             ;   in Loop: Header=BB11_65 Depth=1
	s_or_b64 exec, exec, s[20:21]
	global_load_dwordx2 v[0:1], v26, s[6:7] offset:16
	s_mov_b64 s[22:23], exec
	v_mbcnt_lo_u32_b32 v2, s22, 0
	v_mbcnt_hi_u32_b32 v2, s23, v2
	v_cmp_eq_u32_e32 vcc, 0, v2
	s_and_saveexec_b64 s[20:21], vcc
	s_cbranch_execz .LBB11_134
; %bb.133:                              ;   in Loop: Header=BB11_65 Depth=1
	s_bcnt1_i32_b64 s22, s[22:23]
	v_mov_b32_e32 v25, s22
	s_waitcnt vmcnt(0)
	global_atomic_add_x2 v[0:1], v[25:26], off offset:8
.LBB11_134:                             ;   in Loop: Header=BB11_65 Depth=1
	s_or_b64 exec, exec, s[20:21]
	s_waitcnt vmcnt(0)
	global_load_dwordx2 v[2:3], v[0:1], off offset:16
	s_waitcnt vmcnt(0)
	v_cmp_eq_u64_e32 vcc, 0, v[2:3]
	s_cbranch_vccnz .LBB11_136
; %bb.135:                              ;   in Loop: Header=BB11_65 Depth=1
	global_load_dword v25, v[0:1], off offset:24
	s_waitcnt vmcnt(0)
	v_and_b32_e32 v0, 0xffffff, v25
	v_readfirstlane_b32 m0, v0
	global_store_dwordx2 v[2:3], v[25:26], off
	s_sendmsg sendmsg(MSG_INTERRUPT)
.LBB11_136:                             ;   in Loop: Header=BB11_65 Depth=1
	s_or_b64 exec, exec, s[18:19]
	v_add_co_u32_e32 v0, vcc, v24, v31
	v_addc_co_u32_e32 v1, vcc, 0, v30, vcc
	s_branch .LBB11_140
.LBB11_137:                             ;   in Loop: Header=BB11_140 Depth=2
	s_or_b64 exec, exec, s[18:19]
	v_readfirstlane_b32 s18, v2
	s_cmp_eq_u32 s18, 0
	s_cbranch_scc1 .LBB11_139
; %bb.138:                              ;   in Loop: Header=BB11_140 Depth=2
	s_sleep 1
	s_cbranch_execnz .LBB11_140
	s_branch .LBB11_142
.LBB11_139:                             ;   in Loop: Header=BB11_65 Depth=1
	s_branch .LBB11_142
.LBB11_140:                             ;   Parent Loop BB11_65 Depth=1
                                        ; =>  This Inner Loop Header: Depth=2
	v_mov_b32_e32 v2, 1
	s_and_saveexec_b64 s[18:19], s[4:5]
	s_cbranch_execz .LBB11_137
; %bb.141:                              ;   in Loop: Header=BB11_140 Depth=2
	global_load_dword v2, v[27:28], off offset:20 glc
	s_waitcnt vmcnt(0)
	buffer_wbinvl1_vol
	v_and_b32_e32 v2, 1, v2
	s_branch .LBB11_137
.LBB11_142:                             ;   in Loop: Header=BB11_65 Depth=1
	global_load_dwordx4 v[0:3], v[0:1], off
	s_and_saveexec_b64 s[18:19], s[4:5]
	s_cbranch_execz .LBB11_64
; %bb.143:                              ;   in Loop: Header=BB11_65 Depth=1
	global_load_dwordx2 v[2:3], v26, s[6:7] offset:40
	global_load_dwordx2 v[6:7], v26, s[6:7] offset:24 glc
	global_load_dwordx2 v[13:14], v26, s[6:7]
	v_mov_b32_e32 v11, s17
	s_waitcnt vmcnt(2)
	v_add_co_u32_e32 v12, vcc, 1, v2
	v_addc_co_u32_e32 v15, vcc, 0, v3, vcc
	v_add_co_u32_e32 v10, vcc, s16, v12
	v_addc_co_u32_e32 v11, vcc, v15, v11, vcc
	v_cmp_eq_u64_e32 vcc, 0, v[10:11]
	v_cndmask_b32_e32 v11, v11, v15, vcc
	v_cndmask_b32_e32 v10, v10, v12, vcc
	v_and_b32_e32 v3, v11, v3
	v_and_b32_e32 v2, v10, v2
	v_mul_lo_u32 v3, v3, 24
	v_mul_hi_u32 v15, v2, 24
	v_mul_lo_u32 v2, v2, 24
	s_waitcnt vmcnt(1)
	v_mov_b32_e32 v12, v6
	v_add_u32_e32 v3, v15, v3
	s_waitcnt vmcnt(0)
	v_add_co_u32_e32 v2, vcc, v13, v2
	v_addc_co_u32_e32 v3, vcc, v14, v3, vcc
	global_store_dwordx2 v[2:3], v[6:7], off
	v_mov_b32_e32 v13, v7
	s_waitcnt vmcnt(0)
	global_atomic_cmpswap_x2 v[12:13], v26, v[10:13], s[6:7] offset:24 glc
	s_waitcnt vmcnt(0)
	v_cmp_ne_u64_e32 vcc, v[12:13], v[6:7]
	s_and_b64 exec, exec, vcc
	s_cbranch_execz .LBB11_64
; %bb.144:                              ;   in Loop: Header=BB11_65 Depth=1
	s_mov_b64 s[4:5], 0
.LBB11_145:                             ;   Parent Loop BB11_65 Depth=1
                                        ; =>  This Inner Loop Header: Depth=2
	s_sleep 1
	global_store_dwordx2 v[2:3], v[12:13], off
	s_waitcnt vmcnt(0)
	global_atomic_cmpswap_x2 v[6:7], v26, v[10:13], s[6:7] offset:24 glc
	s_waitcnt vmcnt(0)
	v_cmp_eq_u64_e32 vcc, v[6:7], v[12:13]
	v_mov_b32_e32 v13, v7
	s_or_b64 s[4:5], vcc, s[4:5]
	v_mov_b32_e32 v12, v6
	s_andn2_b64 exec, exec, s[4:5]
	s_cbranch_execnz .LBB11_145
	s_branch .LBB11_64
.LBB11_146:
	s_mov_b64 s[4:5], 0
	s_branch .LBB11_148
.LBB11_147:
	s_mov_b64 s[4:5], -1
                                        ; implicit-def: $vgpr0_vgpr1
.LBB11_148:
	s_and_b64 vcc, exec, s[4:5]
	s_cbranch_vccz .LBB11_175
; %bb.149:
	v_readfirstlane_b32 s4, v32
	v_mov_b32_e32 v7, 0
	v_mov_b32_e32 v8, 0
	v_cmp_eq_u32_e64 s[4:5], s4, v32
	s_and_saveexec_b64 s[10:11], s[4:5]
	s_cbranch_execz .LBB11_155
; %bb.150:
	s_waitcnt vmcnt(0)
	v_mov_b32_e32 v0, 0
	global_load_dwordx2 v[9:10], v0, s[6:7] offset:24 glc
	s_waitcnt vmcnt(0)
	buffer_wbinvl1_vol
	global_load_dwordx2 v[1:2], v0, s[6:7] offset:40
	global_load_dwordx2 v[6:7], v0, s[6:7]
	s_waitcnt vmcnt(1)
	v_and_b32_e32 v1, v1, v9
	v_and_b32_e32 v2, v2, v10
	v_mul_lo_u32 v2, v2, 24
	v_mul_hi_u32 v3, v1, 24
	v_mul_lo_u32 v1, v1, 24
	v_add_u32_e32 v2, v3, v2
	s_waitcnt vmcnt(0)
	v_add_co_u32_e32 v1, vcc, v6, v1
	v_addc_co_u32_e32 v2, vcc, v7, v2, vcc
	global_load_dwordx2 v[7:8], v[1:2], off glc
	s_waitcnt vmcnt(0)
	global_atomic_cmpswap_x2 v[7:8], v0, v[7:10], s[6:7] offset:24 glc
	s_waitcnt vmcnt(0)
	buffer_wbinvl1_vol
	v_cmp_ne_u64_e32 vcc, v[7:8], v[9:10]
	s_and_saveexec_b64 s[12:13], vcc
	s_cbranch_execz .LBB11_154
; %bb.151:
	s_mov_b64 s[14:15], 0
.LBB11_152:                             ; =>This Inner Loop Header: Depth=1
	s_sleep 1
	global_load_dwordx2 v[1:2], v0, s[6:7] offset:40
	global_load_dwordx2 v[11:12], v0, s[6:7]
	v_mov_b32_e32 v10, v8
	v_mov_b32_e32 v9, v7
	s_waitcnt vmcnt(1)
	v_and_b32_e32 v1, v1, v9
	s_waitcnt vmcnt(0)
	v_mad_u64_u32 v[6:7], s[16:17], v1, 24, v[11:12]
	v_and_b32_e32 v2, v2, v10
	v_mov_b32_e32 v1, v7
	v_mad_u64_u32 v[1:2], s[16:17], v2, 24, v[1:2]
	v_mov_b32_e32 v7, v1
	global_load_dwordx2 v[7:8], v[6:7], off glc
	s_waitcnt vmcnt(0)
	global_atomic_cmpswap_x2 v[7:8], v0, v[7:10], s[6:7] offset:24 glc
	s_waitcnt vmcnt(0)
	buffer_wbinvl1_vol
	v_cmp_eq_u64_e32 vcc, v[7:8], v[9:10]
	s_or_b64 s[14:15], vcc, s[14:15]
	s_andn2_b64 exec, exec, s[14:15]
	s_cbranch_execnz .LBB11_152
; %bb.153:
	s_or_b64 exec, exec, s[14:15]
.LBB11_154:
	s_or_b64 exec, exec, s[12:13]
.LBB11_155:
	s_or_b64 exec, exec, s[10:11]
	v_mov_b32_e32 v6, 0
	global_load_dwordx2 v[9:10], v6, s[6:7] offset:40
	global_load_dwordx4 v[0:3], v6, s[6:7]
	v_readfirstlane_b32 s10, v7
	v_readfirstlane_b32 s11, v8
	s_mov_b64 s[12:13], exec
	s_waitcnt vmcnt(1)
	v_readfirstlane_b32 s14, v9
	v_readfirstlane_b32 s15, v10
	s_and_b64 s[14:15], s[10:11], s[14:15]
	s_mul_i32 s16, s15, 24
	s_mul_hi_u32 s17, s14, 24
	s_mul_i32 s18, s14, 24
	s_add_i32 s16, s17, s16
	v_mov_b32_e32 v7, s16
	s_waitcnt vmcnt(0)
	v_add_co_u32_e32 v8, vcc, s18, v0
	v_addc_co_u32_e32 v9, vcc, v1, v7, vcc
	s_and_saveexec_b64 s[16:17], s[4:5]
	s_cbranch_execz .LBB11_157
; %bb.156:
	v_mov_b32_e32 v10, s12
	v_mov_b32_e32 v11, s13
	;; [unrolled: 1-line block ×4, first 2 shown]
	global_store_dwordx4 v[8:9], v[10:13], off offset:8
.LBB11_157:
	s_or_b64 exec, exec, s[16:17]
	s_lshl_b64 s[12:13], s[14:15], 12
	v_mov_b32_e32 v7, s13
	v_add_co_u32_e32 v2, vcc, s12, v2
	v_addc_co_u32_e32 v3, vcc, v3, v7, vcc
	s_movk_i32 s12, 0xff1f
	v_and_or_b32 v4, v4, s12, 32
	v_add_co_u32_e32 v10, vcc, v2, v31
	s_mov_b32 s12, 0
	v_mov_b32_e32 v7, v6
	v_readfirstlane_b32 s16, v2
	v_readfirstlane_b32 s17, v3
	v_addc_co_u32_e32 v11, vcc, 0, v3, vcc
	s_mov_b32 s13, s12
	s_mov_b32 s14, s12
	;; [unrolled: 1-line block ×3, first 2 shown]
	s_nop 0
	global_store_dwordx4 v31, v[4:7], s[16:17]
	v_mov_b32_e32 v2, s12
	v_mov_b32_e32 v3, s13
	;; [unrolled: 1-line block ×4, first 2 shown]
	global_store_dwordx4 v31, v[2:5], s[16:17] offset:16
	global_store_dwordx4 v31, v[2:5], s[16:17] offset:32
	;; [unrolled: 1-line block ×3, first 2 shown]
	s_and_saveexec_b64 s[12:13], s[4:5]
	s_cbranch_execz .LBB11_165
; %bb.158:
	v_mov_b32_e32 v6, 0
	global_load_dwordx2 v[14:15], v6, s[6:7] offset:32 glc
	global_load_dwordx2 v[2:3], v6, s[6:7] offset:40
	v_mov_b32_e32 v12, s10
	v_mov_b32_e32 v13, s11
	s_waitcnt vmcnt(0)
	v_readfirstlane_b32 s14, v2
	v_readfirstlane_b32 s15, v3
	s_and_b64 s[14:15], s[14:15], s[10:11]
	s_mul_i32 s15, s15, 24
	s_mul_hi_u32 s16, s14, 24
	s_mul_i32 s14, s14, 24
	s_add_i32 s15, s16, s15
	v_mov_b32_e32 v2, s15
	v_add_co_u32_e32 v4, vcc, s14, v0
	v_addc_co_u32_e32 v5, vcc, v1, v2, vcc
	global_store_dwordx2 v[4:5], v[14:15], off
	s_waitcnt vmcnt(0)
	global_atomic_cmpswap_x2 v[2:3], v6, v[12:15], s[6:7] offset:32 glc
	s_waitcnt vmcnt(0)
	v_cmp_ne_u64_e32 vcc, v[2:3], v[14:15]
	s_and_saveexec_b64 s[14:15], vcc
	s_cbranch_execz .LBB11_161
; %bb.159:
	s_mov_b64 s[16:17], 0
.LBB11_160:                             ; =>This Inner Loop Header: Depth=1
	s_sleep 1
	global_store_dwordx2 v[4:5], v[2:3], off
	v_mov_b32_e32 v0, s10
	v_mov_b32_e32 v1, s11
	s_waitcnt vmcnt(0)
	global_atomic_cmpswap_x2 v[0:1], v6, v[0:3], s[6:7] offset:32 glc
	s_waitcnt vmcnt(0)
	v_cmp_eq_u64_e32 vcc, v[0:1], v[2:3]
	v_mov_b32_e32 v3, v1
	s_or_b64 s[16:17], vcc, s[16:17]
	v_mov_b32_e32 v2, v0
	s_andn2_b64 exec, exec, s[16:17]
	s_cbranch_execnz .LBB11_160
.LBB11_161:
	s_or_b64 exec, exec, s[14:15]
	v_mov_b32_e32 v3, 0
	global_load_dwordx2 v[0:1], v3, s[6:7] offset:16
	s_mov_b64 s[14:15], exec
	v_mbcnt_lo_u32_b32 v2, s14, 0
	v_mbcnt_hi_u32_b32 v2, s15, v2
	v_cmp_eq_u32_e32 vcc, 0, v2
	s_and_saveexec_b64 s[16:17], vcc
	s_cbranch_execz .LBB11_163
; %bb.162:
	s_bcnt1_i32_b64 s14, s[14:15]
	v_mov_b32_e32 v2, s14
	s_waitcnt vmcnt(0)
	global_atomic_add_x2 v[0:1], v[2:3], off offset:8
.LBB11_163:
	s_or_b64 exec, exec, s[16:17]
	s_waitcnt vmcnt(0)
	global_load_dwordx2 v[2:3], v[0:1], off offset:16
	s_waitcnt vmcnt(0)
	v_cmp_eq_u64_e32 vcc, 0, v[2:3]
	s_cbranch_vccnz .LBB11_165
; %bb.164:
	global_load_dword v0, v[0:1], off offset:24
	v_mov_b32_e32 v1, 0
	s_waitcnt vmcnt(0)
	global_store_dwordx2 v[2:3], v[0:1], off
	v_and_b32_e32 v0, 0xffffff, v0
	v_readfirstlane_b32 m0, v0
	s_sendmsg sendmsg(MSG_INTERRUPT)
.LBB11_165:
	s_or_b64 exec, exec, s[12:13]
	s_branch .LBB11_169
.LBB11_166:                             ;   in Loop: Header=BB11_169 Depth=1
	s_or_b64 exec, exec, s[12:13]
	v_readfirstlane_b32 s12, v0
	s_cmp_eq_u32 s12, 0
	s_cbranch_scc1 .LBB11_168
; %bb.167:                              ;   in Loop: Header=BB11_169 Depth=1
	s_sleep 1
	s_cbranch_execnz .LBB11_169
	s_branch .LBB11_171
.LBB11_168:
	s_branch .LBB11_171
.LBB11_169:                             ; =>This Inner Loop Header: Depth=1
	v_mov_b32_e32 v0, 1
	s_and_saveexec_b64 s[12:13], s[4:5]
	s_cbranch_execz .LBB11_166
; %bb.170:                              ;   in Loop: Header=BB11_169 Depth=1
	global_load_dword v0, v[8:9], off offset:20 glc
	s_waitcnt vmcnt(0)
	buffer_wbinvl1_vol
	v_and_b32_e32 v0, 1, v0
	s_branch .LBB11_166
.LBB11_171:
	global_load_dwordx2 v[0:1], v[10:11], off
	s_and_saveexec_b64 s[12:13], s[4:5]
	s_cbranch_execz .LBB11_174
; %bb.172:
	v_mov_b32_e32 v8, 0
	global_load_dwordx2 v[4:5], v8, s[6:7] offset:40
	global_load_dwordx2 v[9:10], v8, s[6:7] offset:24 glc
	global_load_dwordx2 v[6:7], v8, s[6:7]
	v_mov_b32_e32 v3, s11
	s_mov_b64 s[4:5], 0
	s_waitcnt vmcnt(2)
	v_add_co_u32_e32 v11, vcc, 1, v4
	v_addc_co_u32_e32 v12, vcc, 0, v5, vcc
	v_add_co_u32_e32 v2, vcc, s10, v11
	v_addc_co_u32_e32 v3, vcc, v12, v3, vcc
	v_cmp_eq_u64_e32 vcc, 0, v[2:3]
	v_cndmask_b32_e32 v3, v3, v12, vcc
	v_cndmask_b32_e32 v2, v2, v11, vcc
	v_and_b32_e32 v5, v3, v5
	v_and_b32_e32 v4, v2, v4
	v_mul_lo_u32 v5, v5, 24
	v_mul_hi_u32 v11, v4, 24
	v_mul_lo_u32 v12, v4, 24
	s_waitcnt vmcnt(1)
	v_mov_b32_e32 v4, v9
	v_add_u32_e32 v5, v11, v5
	s_waitcnt vmcnt(0)
	v_add_co_u32_e32 v6, vcc, v6, v12
	v_addc_co_u32_e32 v7, vcc, v7, v5, vcc
	global_store_dwordx2 v[6:7], v[9:10], off
	v_mov_b32_e32 v5, v10
	s_waitcnt vmcnt(0)
	global_atomic_cmpswap_x2 v[4:5], v8, v[2:5], s[6:7] offset:24 glc
	s_waitcnt vmcnt(0)
	v_cmp_ne_u64_e32 vcc, v[4:5], v[9:10]
	s_and_b64 exec, exec, vcc
	s_cbranch_execz .LBB11_174
.LBB11_173:                             ; =>This Inner Loop Header: Depth=1
	s_sleep 1
	global_store_dwordx2 v[6:7], v[4:5], off
	s_waitcnt vmcnt(0)
	global_atomic_cmpswap_x2 v[9:10], v8, v[2:5], s[6:7] offset:24 glc
	s_waitcnt vmcnt(0)
	v_cmp_eq_u64_e32 vcc, v[9:10], v[4:5]
	v_mov_b32_e32 v4, v9
	s_or_b64 s[4:5], vcc, s[4:5]
	v_mov_b32_e32 v5, v10
	s_andn2_b64 exec, exec, s[4:5]
	s_cbranch_execnz .LBB11_173
.LBB11_174:
	s_or_b64 exec, exec, s[12:13]
.LBB11_175:
	s_getpc_b64 s[10:11]
	s_add_u32 s10, s10, __PRETTY_FUNCTION__._ZL24merge_one_single_elementRN8migraphx4test12test_managerE@rel32@lo+4
	s_addc_u32 s11, s11, __PRETTY_FUNCTION__._ZL24merge_one_single_elementRN8migraphx4test12test_managerE@rel32@hi+12
	s_cmp_lg_u64 s[10:11], 0
	s_cbranch_scc0 .LBB11_260
; %bb.176:
	s_waitcnt vmcnt(0)
	v_and_b32_e32 v6, -3, v0
	v_mov_b32_e32 v7, v1
	s_mov_b64 s[12:13], 62
	v_mov_b32_e32 v26, 0
	v_mov_b32_e32 v4, 2
	;; [unrolled: 1-line block ×3, first 2 shown]
	s_branch .LBB11_178
.LBB11_177:                             ;   in Loop: Header=BB11_178 Depth=1
	s_or_b64 exec, exec, s[18:19]
	s_sub_u32 s12, s12, s14
	s_subb_u32 s13, s13, s15
	s_add_u32 s10, s10, s14
	s_addc_u32 s11, s11, s15
	s_cmp_lg_u64 s[12:13], 0
	s_cbranch_scc0 .LBB11_259
.LBB11_178:                             ; =>This Loop Header: Depth=1
                                        ;     Child Loop BB11_181 Depth 2
                                        ;     Child Loop BB11_188 Depth 2
	;; [unrolled: 1-line block ×11, first 2 shown]
	v_cmp_lt_u64_e64 s[4:5], s[12:13], 56
	v_cmp_gt_u64_e64 s[16:17], s[12:13], 7
	s_and_b64 s[4:5], s[4:5], exec
	s_cselect_b32 s15, s13, 0
	s_cselect_b32 s14, s12, 56
	s_and_b64 vcc, exec, s[16:17]
	s_cbranch_vccnz .LBB11_183
; %bb.179:                              ;   in Loop: Header=BB11_178 Depth=1
	s_waitcnt vmcnt(0)
	v_mov_b32_e32 v8, 0
	s_cmp_eq_u64 s[12:13], 0
	v_mov_b32_e32 v9, 0
	s_mov_b64 s[4:5], 0
	s_cbranch_scc1 .LBB11_182
; %bb.180:                              ;   in Loop: Header=BB11_178 Depth=1
	v_mov_b32_e32 v8, 0
	s_lshl_b64 s[16:17], s[14:15], 3
	s_mov_b64 s[18:19], 0
	v_mov_b32_e32 v9, 0
	s_mov_b64 s[20:21], s[10:11]
.LBB11_181:                             ;   Parent Loop BB11_178 Depth=1
                                        ; =>  This Inner Loop Header: Depth=2
	global_load_ubyte v2, v26, s[20:21]
	s_waitcnt vmcnt(0)
	v_and_b32_e32 v25, 0xffff, v2
	v_lshlrev_b64 v[2:3], s18, v[25:26]
	s_add_u32 s18, s18, 8
	s_addc_u32 s19, s19, 0
	s_add_u32 s20, s20, 1
	s_addc_u32 s21, s21, 0
	v_or_b32_e32 v8, v2, v8
	s_cmp_lg_u32 s16, s18
	v_or_b32_e32 v9, v3, v9
	s_cbranch_scc1 .LBB11_181
.LBB11_182:                             ;   in Loop: Header=BB11_178 Depth=1
	s_mov_b32 s20, 0
	s_andn2_b64 vcc, exec, s[4:5]
	s_mov_b64 s[4:5], s[10:11]
	s_cbranch_vccz .LBB11_184
	s_branch .LBB11_185
.LBB11_183:                             ;   in Loop: Header=BB11_178 Depth=1
                                        ; implicit-def: $sgpr20
	s_mov_b64 s[4:5], s[10:11]
.LBB11_184:                             ;   in Loop: Header=BB11_178 Depth=1
	global_load_dwordx2 v[8:9], v26, s[10:11]
	s_add_i32 s20, s14, -8
	s_add_u32 s4, s10, 8
	s_addc_u32 s5, s11, 0
.LBB11_185:                             ;   in Loop: Header=BB11_178 Depth=1
	s_cmp_gt_u32 s20, 7
	s_cbranch_scc1 .LBB11_189
; %bb.186:                              ;   in Loop: Header=BB11_178 Depth=1
	s_cmp_eq_u32 s20, 0
	s_cbranch_scc1 .LBB11_190
; %bb.187:                              ;   in Loop: Header=BB11_178 Depth=1
	v_mov_b32_e32 v10, 0
	s_mov_b64 s[16:17], 0
	v_mov_b32_e32 v11, 0
	s_mov_b64 s[18:19], 0
.LBB11_188:                             ;   Parent Loop BB11_178 Depth=1
                                        ; =>  This Inner Loop Header: Depth=2
	s_add_u32 s22, s4, s18
	s_addc_u32 s23, s5, s19
	global_load_ubyte v2, v26, s[22:23]
	s_add_u32 s18, s18, 1
	s_addc_u32 s19, s19, 0
	s_waitcnt vmcnt(0)
	v_and_b32_e32 v25, 0xffff, v2
	v_lshlrev_b64 v[2:3], s16, v[25:26]
	s_add_u32 s16, s16, 8
	s_addc_u32 s17, s17, 0
	v_or_b32_e32 v10, v2, v10
	s_cmp_lg_u32 s20, s18
	v_or_b32_e32 v11, v3, v11
	s_cbranch_scc1 .LBB11_188
	s_branch .LBB11_191
.LBB11_189:                             ;   in Loop: Header=BB11_178 Depth=1
                                        ; implicit-def: $vgpr10_vgpr11
                                        ; implicit-def: $sgpr21
	s_branch .LBB11_192
.LBB11_190:                             ;   in Loop: Header=BB11_178 Depth=1
	v_mov_b32_e32 v10, 0
	v_mov_b32_e32 v11, 0
.LBB11_191:                             ;   in Loop: Header=BB11_178 Depth=1
	s_mov_b32 s21, 0
	s_cbranch_execnz .LBB11_193
.LBB11_192:                             ;   in Loop: Header=BB11_178 Depth=1
	global_load_dwordx2 v[10:11], v26, s[4:5]
	s_add_i32 s21, s20, -8
	s_add_u32 s4, s4, 8
	s_addc_u32 s5, s5, 0
.LBB11_193:                             ;   in Loop: Header=BB11_178 Depth=1
	s_cmp_gt_u32 s21, 7
	s_cbranch_scc1 .LBB11_197
; %bb.194:                              ;   in Loop: Header=BB11_178 Depth=1
	s_cmp_eq_u32 s21, 0
	s_cbranch_scc1 .LBB11_198
; %bb.195:                              ;   in Loop: Header=BB11_178 Depth=1
	v_mov_b32_e32 v12, 0
	s_mov_b64 s[16:17], 0
	v_mov_b32_e32 v13, 0
	s_mov_b64 s[18:19], 0
.LBB11_196:                             ;   Parent Loop BB11_178 Depth=1
                                        ; =>  This Inner Loop Header: Depth=2
	s_add_u32 s22, s4, s18
	s_addc_u32 s23, s5, s19
	global_load_ubyte v2, v26, s[22:23]
	s_add_u32 s18, s18, 1
	s_addc_u32 s19, s19, 0
	s_waitcnt vmcnt(0)
	v_and_b32_e32 v25, 0xffff, v2
	v_lshlrev_b64 v[2:3], s16, v[25:26]
	s_add_u32 s16, s16, 8
	s_addc_u32 s17, s17, 0
	v_or_b32_e32 v12, v2, v12
	s_cmp_lg_u32 s21, s18
	v_or_b32_e32 v13, v3, v13
	s_cbranch_scc1 .LBB11_196
	s_branch .LBB11_199
.LBB11_197:                             ;   in Loop: Header=BB11_178 Depth=1
                                        ; implicit-def: $sgpr20
	s_branch .LBB11_200
.LBB11_198:                             ;   in Loop: Header=BB11_178 Depth=1
	v_mov_b32_e32 v12, 0
	v_mov_b32_e32 v13, 0
.LBB11_199:                             ;   in Loop: Header=BB11_178 Depth=1
	s_mov_b32 s20, 0
	s_cbranch_execnz .LBB11_201
.LBB11_200:                             ;   in Loop: Header=BB11_178 Depth=1
	global_load_dwordx2 v[12:13], v26, s[4:5]
	s_add_i32 s20, s21, -8
	s_add_u32 s4, s4, 8
	s_addc_u32 s5, s5, 0
.LBB11_201:                             ;   in Loop: Header=BB11_178 Depth=1
	s_cmp_gt_u32 s20, 7
	s_cbranch_scc1 .LBB11_205
; %bb.202:                              ;   in Loop: Header=BB11_178 Depth=1
	s_cmp_eq_u32 s20, 0
	s_cbranch_scc1 .LBB11_206
; %bb.203:                              ;   in Loop: Header=BB11_178 Depth=1
	v_mov_b32_e32 v14, 0
	s_mov_b64 s[16:17], 0
	v_mov_b32_e32 v15, 0
	s_mov_b64 s[18:19], 0
.LBB11_204:                             ;   Parent Loop BB11_178 Depth=1
                                        ; =>  This Inner Loop Header: Depth=2
	s_add_u32 s22, s4, s18
	s_addc_u32 s23, s5, s19
	global_load_ubyte v2, v26, s[22:23]
	s_add_u32 s18, s18, 1
	s_addc_u32 s19, s19, 0
	s_waitcnt vmcnt(0)
	v_and_b32_e32 v25, 0xffff, v2
	v_lshlrev_b64 v[2:3], s16, v[25:26]
	s_add_u32 s16, s16, 8
	s_addc_u32 s17, s17, 0
	v_or_b32_e32 v14, v2, v14
	s_cmp_lg_u32 s20, s18
	v_or_b32_e32 v15, v3, v15
	s_cbranch_scc1 .LBB11_204
	s_branch .LBB11_207
.LBB11_205:                             ;   in Loop: Header=BB11_178 Depth=1
                                        ; implicit-def: $vgpr14_vgpr15
                                        ; implicit-def: $sgpr21
	s_branch .LBB11_208
.LBB11_206:                             ;   in Loop: Header=BB11_178 Depth=1
	v_mov_b32_e32 v14, 0
	v_mov_b32_e32 v15, 0
.LBB11_207:                             ;   in Loop: Header=BB11_178 Depth=1
	s_mov_b32 s21, 0
	s_cbranch_execnz .LBB11_209
.LBB11_208:                             ;   in Loop: Header=BB11_178 Depth=1
	global_load_dwordx2 v[14:15], v26, s[4:5]
	s_add_i32 s21, s20, -8
	s_add_u32 s4, s4, 8
	s_addc_u32 s5, s5, 0
.LBB11_209:                             ;   in Loop: Header=BB11_178 Depth=1
	s_cmp_gt_u32 s21, 7
	s_cbranch_scc1 .LBB11_213
; %bb.210:                              ;   in Loop: Header=BB11_178 Depth=1
	s_cmp_eq_u32 s21, 0
	s_cbranch_scc1 .LBB11_214
; %bb.211:                              ;   in Loop: Header=BB11_178 Depth=1
	v_mov_b32_e32 v16, 0
	s_mov_b64 s[16:17], 0
	v_mov_b32_e32 v17, 0
	s_mov_b64 s[18:19], 0
.LBB11_212:                             ;   Parent Loop BB11_178 Depth=1
                                        ; =>  This Inner Loop Header: Depth=2
	s_add_u32 s22, s4, s18
	s_addc_u32 s23, s5, s19
	global_load_ubyte v2, v26, s[22:23]
	s_add_u32 s18, s18, 1
	s_addc_u32 s19, s19, 0
	s_waitcnt vmcnt(0)
	v_and_b32_e32 v25, 0xffff, v2
	v_lshlrev_b64 v[2:3], s16, v[25:26]
	s_add_u32 s16, s16, 8
	s_addc_u32 s17, s17, 0
	v_or_b32_e32 v16, v2, v16
	s_cmp_lg_u32 s21, s18
	v_or_b32_e32 v17, v3, v17
	s_cbranch_scc1 .LBB11_212
	s_branch .LBB11_215
.LBB11_213:                             ;   in Loop: Header=BB11_178 Depth=1
                                        ; implicit-def: $sgpr20
	s_branch .LBB11_216
.LBB11_214:                             ;   in Loop: Header=BB11_178 Depth=1
	v_mov_b32_e32 v16, 0
	v_mov_b32_e32 v17, 0
.LBB11_215:                             ;   in Loop: Header=BB11_178 Depth=1
	s_mov_b32 s20, 0
	s_cbranch_execnz .LBB11_217
.LBB11_216:                             ;   in Loop: Header=BB11_178 Depth=1
	global_load_dwordx2 v[16:17], v26, s[4:5]
	s_add_i32 s20, s21, -8
	s_add_u32 s4, s4, 8
	s_addc_u32 s5, s5, 0
.LBB11_217:                             ;   in Loop: Header=BB11_178 Depth=1
	s_cmp_gt_u32 s20, 7
	s_cbranch_scc1 .LBB11_221
; %bb.218:                              ;   in Loop: Header=BB11_178 Depth=1
	s_cmp_eq_u32 s20, 0
	s_cbranch_scc1 .LBB11_222
; %bb.219:                              ;   in Loop: Header=BB11_178 Depth=1
	v_mov_b32_e32 v18, 0
	s_mov_b64 s[16:17], 0
	v_mov_b32_e32 v19, 0
	s_mov_b64 s[18:19], 0
.LBB11_220:                             ;   Parent Loop BB11_178 Depth=1
                                        ; =>  This Inner Loop Header: Depth=2
	s_add_u32 s22, s4, s18
	s_addc_u32 s23, s5, s19
	global_load_ubyte v2, v26, s[22:23]
	s_add_u32 s18, s18, 1
	s_addc_u32 s19, s19, 0
	s_waitcnt vmcnt(0)
	v_and_b32_e32 v25, 0xffff, v2
	v_lshlrev_b64 v[2:3], s16, v[25:26]
	s_add_u32 s16, s16, 8
	s_addc_u32 s17, s17, 0
	v_or_b32_e32 v18, v2, v18
	s_cmp_lg_u32 s20, s18
	v_or_b32_e32 v19, v3, v19
	s_cbranch_scc1 .LBB11_220
	s_branch .LBB11_223
.LBB11_221:                             ;   in Loop: Header=BB11_178 Depth=1
                                        ; implicit-def: $vgpr18_vgpr19
                                        ; implicit-def: $sgpr21
	s_branch .LBB11_224
.LBB11_222:                             ;   in Loop: Header=BB11_178 Depth=1
	v_mov_b32_e32 v18, 0
	v_mov_b32_e32 v19, 0
.LBB11_223:                             ;   in Loop: Header=BB11_178 Depth=1
	s_mov_b32 s21, 0
	s_cbranch_execnz .LBB11_225
.LBB11_224:                             ;   in Loop: Header=BB11_178 Depth=1
	global_load_dwordx2 v[18:19], v26, s[4:5]
	s_add_i32 s21, s20, -8
	s_add_u32 s4, s4, 8
	s_addc_u32 s5, s5, 0
.LBB11_225:                             ;   in Loop: Header=BB11_178 Depth=1
	s_cmp_gt_u32 s21, 7
	s_cbranch_scc1 .LBB11_229
; %bb.226:                              ;   in Loop: Header=BB11_178 Depth=1
	s_cmp_eq_u32 s21, 0
	s_cbranch_scc1 .LBB11_230
; %bb.227:                              ;   in Loop: Header=BB11_178 Depth=1
	v_mov_b32_e32 v20, 0
	s_mov_b64 s[16:17], 0
	v_mov_b32_e32 v21, 0
	s_mov_b64 s[18:19], s[4:5]
.LBB11_228:                             ;   Parent Loop BB11_178 Depth=1
                                        ; =>  This Inner Loop Header: Depth=2
	global_load_ubyte v2, v26, s[18:19]
	s_add_i32 s21, s21, -1
	s_waitcnt vmcnt(0)
	v_and_b32_e32 v25, 0xffff, v2
	v_lshlrev_b64 v[2:3], s16, v[25:26]
	s_add_u32 s16, s16, 8
	s_addc_u32 s17, s17, 0
	s_add_u32 s18, s18, 1
	s_addc_u32 s19, s19, 0
	v_or_b32_e32 v20, v2, v20
	s_cmp_lg_u32 s21, 0
	v_or_b32_e32 v21, v3, v21
	s_cbranch_scc1 .LBB11_228
	s_branch .LBB11_231
.LBB11_229:                             ;   in Loop: Header=BB11_178 Depth=1
	s_branch .LBB11_232
.LBB11_230:                             ;   in Loop: Header=BB11_178 Depth=1
	v_mov_b32_e32 v20, 0
	v_mov_b32_e32 v21, 0
.LBB11_231:                             ;   in Loop: Header=BB11_178 Depth=1
	s_cbranch_execnz .LBB11_233
.LBB11_232:                             ;   in Loop: Header=BB11_178 Depth=1
	global_load_dwordx2 v[20:21], v26, s[4:5]
.LBB11_233:                             ;   in Loop: Header=BB11_178 Depth=1
	v_readfirstlane_b32 s4, v32
	v_mov_b32_e32 v2, 0
	v_mov_b32_e32 v3, 0
	v_cmp_eq_u32_e64 s[4:5], s4, v32
	s_and_saveexec_b64 s[16:17], s[4:5]
	s_cbranch_execz .LBB11_239
; %bb.234:                              ;   in Loop: Header=BB11_178 Depth=1
	global_load_dwordx2 v[24:25], v26, s[6:7] offset:24 glc
	s_waitcnt vmcnt(0)
	buffer_wbinvl1_vol
	global_load_dwordx2 v[2:3], v26, s[6:7] offset:40
	global_load_dwordx2 v[22:23], v26, s[6:7]
	s_waitcnt vmcnt(1)
	v_and_b32_e32 v2, v2, v24
	v_and_b32_e32 v3, v3, v25
	v_mul_lo_u32 v3, v3, 24
	v_mul_hi_u32 v27, v2, 24
	v_mul_lo_u32 v2, v2, 24
	v_add_u32_e32 v3, v27, v3
	s_waitcnt vmcnt(0)
	v_add_co_u32_e32 v2, vcc, v22, v2
	v_addc_co_u32_e32 v3, vcc, v23, v3, vcc
	global_load_dwordx2 v[22:23], v[2:3], off glc
	s_waitcnt vmcnt(0)
	global_atomic_cmpswap_x2 v[2:3], v26, v[22:25], s[6:7] offset:24 glc
	s_waitcnt vmcnt(0)
	buffer_wbinvl1_vol
	v_cmp_ne_u64_e32 vcc, v[2:3], v[24:25]
	s_and_saveexec_b64 s[18:19], vcc
	s_cbranch_execz .LBB11_238
; %bb.235:                              ;   in Loop: Header=BB11_178 Depth=1
	s_mov_b64 s[20:21], 0
.LBB11_236:                             ;   Parent Loop BB11_178 Depth=1
                                        ; =>  This Inner Loop Header: Depth=2
	s_sleep 1
	global_load_dwordx2 v[22:23], v26, s[6:7] offset:40
	global_load_dwordx2 v[27:28], v26, s[6:7]
	v_mov_b32_e32 v25, v3
	v_mov_b32_e32 v24, v2
	s_waitcnt vmcnt(1)
	v_and_b32_e32 v2, v22, v24
	s_waitcnt vmcnt(0)
	v_mad_u64_u32 v[2:3], s[22:23], v2, 24, v[27:28]
	v_and_b32_e32 v22, v23, v25
	v_mad_u64_u32 v[22:23], s[22:23], v22, 24, v[3:4]
	v_mov_b32_e32 v3, v22
	global_load_dwordx2 v[22:23], v[2:3], off glc
	s_waitcnt vmcnt(0)
	global_atomic_cmpswap_x2 v[2:3], v26, v[22:25], s[6:7] offset:24 glc
	s_waitcnt vmcnt(0)
	buffer_wbinvl1_vol
	v_cmp_eq_u64_e32 vcc, v[2:3], v[24:25]
	s_or_b64 s[20:21], vcc, s[20:21]
	s_andn2_b64 exec, exec, s[20:21]
	s_cbranch_execnz .LBB11_236
; %bb.237:                              ;   in Loop: Header=BB11_178 Depth=1
	s_or_b64 exec, exec, s[20:21]
.LBB11_238:                             ;   in Loop: Header=BB11_178 Depth=1
	s_or_b64 exec, exec, s[18:19]
.LBB11_239:                             ;   in Loop: Header=BB11_178 Depth=1
	s_or_b64 exec, exec, s[16:17]
	global_load_dwordx2 v[27:28], v26, s[6:7] offset:40
	global_load_dwordx4 v[22:25], v26, s[6:7]
	v_readfirstlane_b32 s16, v2
	v_readfirstlane_b32 s17, v3
	s_mov_b64 s[18:19], exec
	s_waitcnt vmcnt(1)
	v_readfirstlane_b32 s20, v27
	v_readfirstlane_b32 s21, v28
	s_and_b64 s[20:21], s[16:17], s[20:21]
	s_mul_i32 s22, s21, 24
	s_mul_hi_u32 s23, s20, 24
	s_mul_i32 s24, s20, 24
	s_add_i32 s22, s23, s22
	v_mov_b32_e32 v2, s22
	s_waitcnt vmcnt(0)
	v_add_co_u32_e32 v27, vcc, s24, v22
	v_addc_co_u32_e32 v28, vcc, v23, v2, vcc
	s_and_saveexec_b64 s[22:23], s[4:5]
	s_cbranch_execz .LBB11_241
; %bb.240:                              ;   in Loop: Header=BB11_178 Depth=1
	v_mov_b32_e32 v2, s18
	v_mov_b32_e32 v3, s19
	global_store_dwordx4 v[27:28], v[2:5], off offset:8
.LBB11_241:                             ;   in Loop: Header=BB11_178 Depth=1
	s_or_b64 exec, exec, s[22:23]
	s_lshl_b64 s[18:19], s[20:21], 12
	v_mov_b32_e32 v2, s19
	v_add_co_u32_e32 v24, vcc, s18, v24
	v_addc_co_u32_e32 v29, vcc, v25, v2, vcc
	v_cmp_gt_u64_e64 vcc, s[12:13], 56
	v_or_b32_e32 v2, 2, v6
	s_lshl_b32 s18, s14, 2
	v_cndmask_b32_e32 v2, v2, v6, vcc
	s_add_i32 s18, s18, 28
	s_and_b32 s18, s18, 0x1e0
	v_and_b32_e32 v2, 0xffffff1f, v2
	v_or_b32_e32 v6, s18, v2
	v_readfirstlane_b32 s18, v24
	v_readfirstlane_b32 s19, v29
	s_nop 4
	global_store_dwordx4 v31, v[6:9], s[18:19]
	global_store_dwordx4 v31, v[10:13], s[18:19] offset:16
	global_store_dwordx4 v31, v[14:17], s[18:19] offset:32
	;; [unrolled: 1-line block ×3, first 2 shown]
	s_and_saveexec_b64 s[18:19], s[4:5]
	s_cbranch_execz .LBB11_249
; %bb.242:                              ;   in Loop: Header=BB11_178 Depth=1
	global_load_dwordx2 v[10:11], v26, s[6:7] offset:32 glc
	global_load_dwordx2 v[2:3], v26, s[6:7] offset:40
	v_mov_b32_e32 v8, s16
	v_mov_b32_e32 v9, s17
	s_waitcnt vmcnt(0)
	v_readfirstlane_b32 s20, v2
	v_readfirstlane_b32 s21, v3
	s_and_b64 s[20:21], s[20:21], s[16:17]
	s_mul_i32 s21, s21, 24
	s_mul_hi_u32 s22, s20, 24
	s_mul_i32 s20, s20, 24
	s_add_i32 s21, s22, s21
	v_mov_b32_e32 v3, s21
	v_add_co_u32_e32 v2, vcc, s20, v22
	v_addc_co_u32_e32 v3, vcc, v23, v3, vcc
	global_store_dwordx2 v[2:3], v[10:11], off
	s_waitcnt vmcnt(0)
	global_atomic_cmpswap_x2 v[8:9], v26, v[8:11], s[6:7] offset:32 glc
	s_waitcnt vmcnt(0)
	v_cmp_ne_u64_e32 vcc, v[8:9], v[10:11]
	s_and_saveexec_b64 s[20:21], vcc
	s_cbranch_execz .LBB11_245
; %bb.243:                              ;   in Loop: Header=BB11_178 Depth=1
	s_mov_b64 s[22:23], 0
.LBB11_244:                             ;   Parent Loop BB11_178 Depth=1
                                        ; =>  This Inner Loop Header: Depth=2
	s_sleep 1
	global_store_dwordx2 v[2:3], v[8:9], off
	v_mov_b32_e32 v6, s16
	v_mov_b32_e32 v7, s17
	s_waitcnt vmcnt(0)
	global_atomic_cmpswap_x2 v[6:7], v26, v[6:9], s[6:7] offset:32 glc
	s_waitcnt vmcnt(0)
	v_cmp_eq_u64_e32 vcc, v[6:7], v[8:9]
	v_mov_b32_e32 v9, v7
	s_or_b64 s[22:23], vcc, s[22:23]
	v_mov_b32_e32 v8, v6
	s_andn2_b64 exec, exec, s[22:23]
	s_cbranch_execnz .LBB11_244
.LBB11_245:                             ;   in Loop: Header=BB11_178 Depth=1
	s_or_b64 exec, exec, s[20:21]
	global_load_dwordx2 v[2:3], v26, s[6:7] offset:16
	s_mov_b64 s[22:23], exec
	v_mbcnt_lo_u32_b32 v6, s22, 0
	v_mbcnt_hi_u32_b32 v6, s23, v6
	v_cmp_eq_u32_e32 vcc, 0, v6
	s_and_saveexec_b64 s[20:21], vcc
	s_cbranch_execz .LBB11_247
; %bb.246:                              ;   in Loop: Header=BB11_178 Depth=1
	s_bcnt1_i32_b64 s22, s[22:23]
	v_mov_b32_e32 v25, s22
	s_waitcnt vmcnt(0)
	global_atomic_add_x2 v[2:3], v[25:26], off offset:8
.LBB11_247:                             ;   in Loop: Header=BB11_178 Depth=1
	s_or_b64 exec, exec, s[20:21]
	s_waitcnt vmcnt(0)
	global_load_dwordx2 v[6:7], v[2:3], off offset:16
	s_waitcnt vmcnt(0)
	v_cmp_eq_u64_e32 vcc, 0, v[6:7]
	s_cbranch_vccnz .LBB11_249
; %bb.248:                              ;   in Loop: Header=BB11_178 Depth=1
	global_load_dword v25, v[2:3], off offset:24
	s_waitcnt vmcnt(0)
	v_and_b32_e32 v2, 0xffffff, v25
	v_readfirstlane_b32 m0, v2
	global_store_dwordx2 v[6:7], v[25:26], off
	s_sendmsg sendmsg(MSG_INTERRUPT)
.LBB11_249:                             ;   in Loop: Header=BB11_178 Depth=1
	s_or_b64 exec, exec, s[18:19]
	v_add_co_u32_e32 v2, vcc, v24, v31
	v_addc_co_u32_e32 v3, vcc, 0, v29, vcc
	s_branch .LBB11_253
.LBB11_250:                             ;   in Loop: Header=BB11_253 Depth=2
	s_or_b64 exec, exec, s[18:19]
	v_readfirstlane_b32 s18, v6
	s_cmp_eq_u32 s18, 0
	s_cbranch_scc1 .LBB11_252
; %bb.251:                              ;   in Loop: Header=BB11_253 Depth=2
	s_sleep 1
	s_cbranch_execnz .LBB11_253
	s_branch .LBB11_255
.LBB11_252:                             ;   in Loop: Header=BB11_178 Depth=1
	s_branch .LBB11_255
.LBB11_253:                             ;   Parent Loop BB11_178 Depth=1
                                        ; =>  This Inner Loop Header: Depth=2
	v_mov_b32_e32 v6, 1
	s_and_saveexec_b64 s[18:19], s[4:5]
	s_cbranch_execz .LBB11_250
; %bb.254:                              ;   in Loop: Header=BB11_253 Depth=2
	global_load_dword v6, v[27:28], off offset:20 glc
	s_waitcnt vmcnt(0)
	buffer_wbinvl1_vol
	v_and_b32_e32 v6, 1, v6
	s_branch .LBB11_250
.LBB11_255:                             ;   in Loop: Header=BB11_178 Depth=1
	global_load_dwordx4 v[6:9], v[2:3], off
	s_and_saveexec_b64 s[18:19], s[4:5]
	s_cbranch_execz .LBB11_177
; %bb.256:                              ;   in Loop: Header=BB11_178 Depth=1
	global_load_dwordx2 v[2:3], v26, s[6:7] offset:40
	global_load_dwordx2 v[12:13], v26, s[6:7] offset:24 glc
	global_load_dwordx2 v[14:15], v26, s[6:7]
	s_waitcnt vmcnt(3)
	v_mov_b32_e32 v9, s17
	s_waitcnt vmcnt(2)
	v_add_co_u32_e32 v10, vcc, 1, v2
	v_addc_co_u32_e32 v11, vcc, 0, v3, vcc
	v_add_co_u32_e32 v8, vcc, s16, v10
	v_addc_co_u32_e32 v9, vcc, v11, v9, vcc
	v_cmp_eq_u64_e32 vcc, 0, v[8:9]
	v_cndmask_b32_e32 v9, v9, v11, vcc
	v_cndmask_b32_e32 v8, v8, v10, vcc
	v_and_b32_e32 v3, v9, v3
	v_and_b32_e32 v2, v8, v2
	v_mul_lo_u32 v3, v3, 24
	v_mul_hi_u32 v11, v2, 24
	v_mul_lo_u32 v2, v2, 24
	s_waitcnt vmcnt(1)
	v_mov_b32_e32 v10, v12
	v_add_u32_e32 v3, v11, v3
	s_waitcnt vmcnt(0)
	v_add_co_u32_e32 v2, vcc, v14, v2
	v_addc_co_u32_e32 v3, vcc, v15, v3, vcc
	global_store_dwordx2 v[2:3], v[12:13], off
	v_mov_b32_e32 v11, v13
	s_waitcnt vmcnt(0)
	global_atomic_cmpswap_x2 v[10:11], v26, v[8:11], s[6:7] offset:24 glc
	s_waitcnt vmcnt(0)
	v_cmp_ne_u64_e32 vcc, v[10:11], v[12:13]
	s_and_b64 exec, exec, vcc
	s_cbranch_execz .LBB11_177
; %bb.257:                              ;   in Loop: Header=BB11_178 Depth=1
	s_mov_b64 s[4:5], 0
.LBB11_258:                             ;   Parent Loop BB11_178 Depth=1
                                        ; =>  This Inner Loop Header: Depth=2
	s_sleep 1
	global_store_dwordx2 v[2:3], v[10:11], off
	s_waitcnt vmcnt(0)
	global_atomic_cmpswap_x2 v[12:13], v26, v[8:11], s[6:7] offset:24 glc
	s_waitcnt vmcnt(0)
	v_cmp_eq_u64_e32 vcc, v[12:13], v[10:11]
	v_mov_b32_e32 v10, v12
	s_or_b64 s[4:5], vcc, s[4:5]
	v_mov_b32_e32 v11, v13
	s_andn2_b64 exec, exec, s[4:5]
	s_cbranch_execnz .LBB11_258
	s_branch .LBB11_177
.LBB11_259:
	s_mov_b64 s[4:5], 0
	s_branch .LBB11_261
.LBB11_260:
	s_mov_b64 s[4:5], -1
.LBB11_261:
	s_and_b64 vcc, exec, s[4:5]
	s_cbranch_vccz .LBB11_288
; %bb.262:
	v_readfirstlane_b32 s4, v32
	s_waitcnt vmcnt(0)
	v_mov_b32_e32 v8, 0
	v_mov_b32_e32 v9, 0
	v_cmp_eq_u32_e64 s[4:5], s4, v32
	s_and_saveexec_b64 s[10:11], s[4:5]
	s_cbranch_execz .LBB11_268
; %bb.263:
	v_mov_b32_e32 v2, 0
	global_load_dwordx2 v[5:6], v2, s[6:7] offset:24 glc
	s_waitcnt vmcnt(0)
	buffer_wbinvl1_vol
	global_load_dwordx2 v[3:4], v2, s[6:7] offset:40
	global_load_dwordx2 v[7:8], v2, s[6:7]
	s_waitcnt vmcnt(1)
	v_and_b32_e32 v3, v3, v5
	v_and_b32_e32 v4, v4, v6
	v_mul_lo_u32 v4, v4, 24
	v_mul_hi_u32 v9, v3, 24
	v_mul_lo_u32 v3, v3, 24
	v_add_u32_e32 v4, v9, v4
	s_waitcnt vmcnt(0)
	v_add_co_u32_e32 v3, vcc, v7, v3
	v_addc_co_u32_e32 v4, vcc, v8, v4, vcc
	global_load_dwordx2 v[3:4], v[3:4], off glc
	s_waitcnt vmcnt(0)
	global_atomic_cmpswap_x2 v[8:9], v2, v[3:6], s[6:7] offset:24 glc
	s_waitcnt vmcnt(0)
	buffer_wbinvl1_vol
	v_cmp_ne_u64_e32 vcc, v[8:9], v[5:6]
	s_and_saveexec_b64 s[12:13], vcc
	s_cbranch_execz .LBB11_267
; %bb.264:
	s_mov_b64 s[14:15], 0
.LBB11_265:                             ; =>This Inner Loop Header: Depth=1
	s_sleep 1
	global_load_dwordx2 v[3:4], v2, s[6:7] offset:40
	global_load_dwordx2 v[10:11], v2, s[6:7]
	v_mov_b32_e32 v5, v8
	v_mov_b32_e32 v6, v9
	s_waitcnt vmcnt(1)
	v_and_b32_e32 v3, v3, v5
	s_waitcnt vmcnt(0)
	v_mad_u64_u32 v[7:8], s[16:17], v3, 24, v[10:11]
	v_and_b32_e32 v4, v4, v6
	v_mov_b32_e32 v3, v8
	v_mad_u64_u32 v[3:4], s[16:17], v4, 24, v[3:4]
	v_mov_b32_e32 v8, v3
	global_load_dwordx2 v[3:4], v[7:8], off glc
	s_waitcnt vmcnt(0)
	global_atomic_cmpswap_x2 v[8:9], v2, v[3:6], s[6:7] offset:24 glc
	s_waitcnt vmcnt(0)
	buffer_wbinvl1_vol
	v_cmp_eq_u64_e32 vcc, v[8:9], v[5:6]
	s_or_b64 s[14:15], vcc, s[14:15]
	s_andn2_b64 exec, exec, s[14:15]
	s_cbranch_execnz .LBB11_265
; %bb.266:
	s_or_b64 exec, exec, s[14:15]
.LBB11_267:
	s_or_b64 exec, exec, s[12:13]
.LBB11_268:
	s_or_b64 exec, exec, s[10:11]
	v_mov_b32_e32 v2, 0
	global_load_dwordx2 v[10:11], v2, s[6:7] offset:40
	global_load_dwordx4 v[4:7], v2, s[6:7]
	v_readfirstlane_b32 s10, v8
	v_readfirstlane_b32 s11, v9
	s_mov_b64 s[12:13], exec
	s_waitcnt vmcnt(1)
	v_readfirstlane_b32 s14, v10
	v_readfirstlane_b32 s15, v11
	s_and_b64 s[14:15], s[10:11], s[14:15]
	s_mul_i32 s16, s15, 24
	s_mul_hi_u32 s17, s14, 24
	s_mul_i32 s18, s14, 24
	s_add_i32 s16, s17, s16
	v_mov_b32_e32 v3, s16
	s_waitcnt vmcnt(0)
	v_add_co_u32_e32 v8, vcc, s18, v4
	v_addc_co_u32_e32 v9, vcc, v5, v3, vcc
	s_and_saveexec_b64 s[16:17], s[4:5]
	s_cbranch_execz .LBB11_270
; %bb.269:
	v_mov_b32_e32 v10, s12
	v_mov_b32_e32 v11, s13
	v_mov_b32_e32 v12, 2
	v_mov_b32_e32 v13, 1
	global_store_dwordx4 v[8:9], v[10:13], off offset:8
.LBB11_270:
	s_or_b64 exec, exec, s[16:17]
	s_lshl_b64 s[12:13], s[14:15], 12
	v_mov_b32_e32 v3, s13
	v_add_co_u32_e32 v6, vcc, s12, v6
	v_addc_co_u32_e32 v7, vcc, v7, v3, vcc
	s_movk_i32 s12, 0xff1d
	v_and_or_b32 v0, v0, s12, 34
	s_mov_b32 s12, 0
	v_mov_b32_e32 v3, v2
	v_readfirstlane_b32 s16, v6
	v_readfirstlane_b32 s17, v7
	s_mov_b32 s13, s12
	s_mov_b32 s14, s12
	;; [unrolled: 1-line block ×3, first 2 shown]
	s_nop 1
	global_store_dwordx4 v31, v[0:3], s[16:17]
	s_nop 0
	v_mov_b32_e32 v0, s12
	v_mov_b32_e32 v1, s13
	;; [unrolled: 1-line block ×4, first 2 shown]
	global_store_dwordx4 v31, v[0:3], s[16:17] offset:16
	global_store_dwordx4 v31, v[0:3], s[16:17] offset:32
	;; [unrolled: 1-line block ×3, first 2 shown]
	s_and_saveexec_b64 s[12:13], s[4:5]
	s_cbranch_execz .LBB11_278
; %bb.271:
	v_mov_b32_e32 v6, 0
	global_load_dwordx2 v[12:13], v6, s[6:7] offset:32 glc
	global_load_dwordx2 v[0:1], v6, s[6:7] offset:40
	v_mov_b32_e32 v10, s10
	v_mov_b32_e32 v11, s11
	s_waitcnt vmcnt(0)
	v_readfirstlane_b32 s14, v0
	v_readfirstlane_b32 s15, v1
	s_and_b64 s[14:15], s[14:15], s[10:11]
	s_mul_i32 s15, s15, 24
	s_mul_hi_u32 s16, s14, 24
	s_mul_i32 s14, s14, 24
	s_add_i32 s15, s16, s15
	v_mov_b32_e32 v0, s15
	v_add_co_u32_e32 v4, vcc, s14, v4
	v_addc_co_u32_e32 v5, vcc, v5, v0, vcc
	global_store_dwordx2 v[4:5], v[12:13], off
	s_waitcnt vmcnt(0)
	global_atomic_cmpswap_x2 v[2:3], v6, v[10:13], s[6:7] offset:32 glc
	s_waitcnt vmcnt(0)
	v_cmp_ne_u64_e32 vcc, v[2:3], v[12:13]
	s_and_saveexec_b64 s[14:15], vcc
	s_cbranch_execz .LBB11_274
; %bb.272:
	s_mov_b64 s[16:17], 0
.LBB11_273:                             ; =>This Inner Loop Header: Depth=1
	s_sleep 1
	global_store_dwordx2 v[4:5], v[2:3], off
	v_mov_b32_e32 v0, s10
	v_mov_b32_e32 v1, s11
	s_waitcnt vmcnt(0)
	global_atomic_cmpswap_x2 v[0:1], v6, v[0:3], s[6:7] offset:32 glc
	s_waitcnt vmcnt(0)
	v_cmp_eq_u64_e32 vcc, v[0:1], v[2:3]
	v_mov_b32_e32 v3, v1
	s_or_b64 s[16:17], vcc, s[16:17]
	v_mov_b32_e32 v2, v0
	s_andn2_b64 exec, exec, s[16:17]
	s_cbranch_execnz .LBB11_273
.LBB11_274:
	s_or_b64 exec, exec, s[14:15]
	v_mov_b32_e32 v3, 0
	global_load_dwordx2 v[0:1], v3, s[6:7] offset:16
	s_mov_b64 s[14:15], exec
	v_mbcnt_lo_u32_b32 v2, s14, 0
	v_mbcnt_hi_u32_b32 v2, s15, v2
	v_cmp_eq_u32_e32 vcc, 0, v2
	s_and_saveexec_b64 s[16:17], vcc
	s_cbranch_execz .LBB11_276
; %bb.275:
	s_bcnt1_i32_b64 s14, s[14:15]
	v_mov_b32_e32 v2, s14
	s_waitcnt vmcnt(0)
	global_atomic_add_x2 v[0:1], v[2:3], off offset:8
.LBB11_276:
	s_or_b64 exec, exec, s[16:17]
	s_waitcnt vmcnt(0)
	global_load_dwordx2 v[2:3], v[0:1], off offset:16
	s_waitcnt vmcnt(0)
	v_cmp_eq_u64_e32 vcc, 0, v[2:3]
	s_cbranch_vccnz .LBB11_278
; %bb.277:
	global_load_dword v0, v[0:1], off offset:24
	v_mov_b32_e32 v1, 0
	s_waitcnt vmcnt(0)
	global_store_dwordx2 v[2:3], v[0:1], off
	v_and_b32_e32 v0, 0xffffff, v0
	v_readfirstlane_b32 m0, v0
	s_sendmsg sendmsg(MSG_INTERRUPT)
.LBB11_278:
	s_or_b64 exec, exec, s[12:13]
	s_branch .LBB11_282
.LBB11_279:                             ;   in Loop: Header=BB11_282 Depth=1
	s_or_b64 exec, exec, s[12:13]
	v_readfirstlane_b32 s12, v0
	s_cmp_eq_u32 s12, 0
	s_cbranch_scc1 .LBB11_281
; %bb.280:                              ;   in Loop: Header=BB11_282 Depth=1
	s_sleep 1
	s_cbranch_execnz .LBB11_282
	s_branch .LBB11_284
.LBB11_281:
	s_branch .LBB11_284
.LBB11_282:                             ; =>This Inner Loop Header: Depth=1
	v_mov_b32_e32 v0, 1
	s_and_saveexec_b64 s[12:13], s[4:5]
	s_cbranch_execz .LBB11_279
; %bb.283:                              ;   in Loop: Header=BB11_282 Depth=1
	global_load_dword v0, v[8:9], off offset:20 glc
	s_waitcnt vmcnt(0)
	buffer_wbinvl1_vol
	v_and_b32_e32 v0, 1, v0
	s_branch .LBB11_279
.LBB11_284:
	s_and_saveexec_b64 s[12:13], s[4:5]
	s_cbranch_execz .LBB11_287
; %bb.285:
	v_mov_b32_e32 v6, 0
	global_load_dwordx2 v[2:3], v6, s[6:7] offset:40
	global_load_dwordx2 v[7:8], v6, s[6:7] offset:24 glc
	global_load_dwordx2 v[4:5], v6, s[6:7]
	v_mov_b32_e32 v1, s11
	s_mov_b64 s[4:5], 0
	s_waitcnt vmcnt(2)
	v_add_co_u32_e32 v9, vcc, 1, v2
	v_addc_co_u32_e32 v10, vcc, 0, v3, vcc
	v_add_co_u32_e32 v0, vcc, s10, v9
	v_addc_co_u32_e32 v1, vcc, v10, v1, vcc
	v_cmp_eq_u64_e32 vcc, 0, v[0:1]
	v_cndmask_b32_e32 v1, v1, v10, vcc
	v_cndmask_b32_e32 v0, v0, v9, vcc
	v_and_b32_e32 v3, v1, v3
	v_and_b32_e32 v2, v0, v2
	v_mul_lo_u32 v3, v3, 24
	v_mul_hi_u32 v9, v2, 24
	v_mul_lo_u32 v10, v2, 24
	s_waitcnt vmcnt(1)
	v_mov_b32_e32 v2, v7
	v_add_u32_e32 v3, v9, v3
	s_waitcnt vmcnt(0)
	v_add_co_u32_e32 v4, vcc, v4, v10
	v_addc_co_u32_e32 v5, vcc, v5, v3, vcc
	global_store_dwordx2 v[4:5], v[7:8], off
	v_mov_b32_e32 v3, v8
	s_waitcnt vmcnt(0)
	global_atomic_cmpswap_x2 v[2:3], v6, v[0:3], s[6:7] offset:24 glc
	s_waitcnt vmcnt(0)
	v_cmp_ne_u64_e32 vcc, v[2:3], v[7:8]
	s_and_b64 exec, exec, vcc
	s_cbranch_execz .LBB11_287
.LBB11_286:                             ; =>This Inner Loop Header: Depth=1
	s_sleep 1
	global_store_dwordx2 v[4:5], v[2:3], off
	s_waitcnt vmcnt(0)
	global_atomic_cmpswap_x2 v[7:8], v6, v[0:3], s[6:7] offset:24 glc
	s_waitcnt vmcnt(0)
	v_cmp_eq_u64_e32 vcc, v[7:8], v[2:3]
	v_mov_b32_e32 v2, v7
	s_or_b64 s[4:5], vcc, s[4:5]
	v_mov_b32_e32 v3, v8
	s_andn2_b64 exec, exec, s[4:5]
	s_cbranch_execnz .LBB11_286
.LBB11_287:
	s_or_b64 exec, exec, s[12:13]
.LBB11_288:
	v_readfirstlane_b32 s4, v32
	s_waitcnt vmcnt(0)
	v_mov_b32_e32 v5, 0
	v_mov_b32_e32 v6, 0
	v_cmp_eq_u32_e64 s[4:5], s4, v32
	s_and_saveexec_b64 s[10:11], s[4:5]
	s_cbranch_execz .LBB11_294
; %bb.289:
	v_mov_b32_e32 v0, 0
	global_load_dwordx2 v[3:4], v0, s[6:7] offset:24 glc
	s_waitcnt vmcnt(0)
	buffer_wbinvl1_vol
	global_load_dwordx2 v[1:2], v0, s[6:7] offset:40
	global_load_dwordx2 v[5:6], v0, s[6:7]
	s_waitcnt vmcnt(1)
	v_and_b32_e32 v1, v1, v3
	v_and_b32_e32 v2, v2, v4
	v_mul_lo_u32 v2, v2, 24
	v_mul_hi_u32 v7, v1, 24
	v_mul_lo_u32 v1, v1, 24
	v_add_u32_e32 v2, v7, v2
	s_waitcnt vmcnt(0)
	v_add_co_u32_e32 v1, vcc, v5, v1
	v_addc_co_u32_e32 v2, vcc, v6, v2, vcc
	global_load_dwordx2 v[1:2], v[1:2], off glc
	s_waitcnt vmcnt(0)
	global_atomic_cmpswap_x2 v[5:6], v0, v[1:4], s[6:7] offset:24 glc
	s_waitcnt vmcnt(0)
	buffer_wbinvl1_vol
	v_cmp_ne_u64_e32 vcc, v[5:6], v[3:4]
	s_and_saveexec_b64 s[12:13], vcc
	s_cbranch_execz .LBB11_293
; %bb.290:
	s_mov_b64 s[14:15], 0
.LBB11_291:                             ; =>This Inner Loop Header: Depth=1
	s_sleep 1
	global_load_dwordx2 v[1:2], v0, s[6:7] offset:40
	global_load_dwordx2 v[7:8], v0, s[6:7]
	v_mov_b32_e32 v3, v5
	v_mov_b32_e32 v4, v6
	s_waitcnt vmcnt(1)
	v_and_b32_e32 v1, v1, v3
	s_waitcnt vmcnt(0)
	v_mad_u64_u32 v[5:6], s[16:17], v1, 24, v[7:8]
	v_and_b32_e32 v2, v2, v4
	v_mov_b32_e32 v1, v6
	v_mad_u64_u32 v[1:2], s[16:17], v2, 24, v[1:2]
	v_mov_b32_e32 v6, v1
	global_load_dwordx2 v[1:2], v[5:6], off glc
	s_waitcnt vmcnt(0)
	global_atomic_cmpswap_x2 v[5:6], v0, v[1:4], s[6:7] offset:24 glc
	s_waitcnt vmcnt(0)
	buffer_wbinvl1_vol
	v_cmp_eq_u64_e32 vcc, v[5:6], v[3:4]
	s_or_b64 s[14:15], vcc, s[14:15]
	s_andn2_b64 exec, exec, s[14:15]
	s_cbranch_execnz .LBB11_291
; %bb.292:
	s_or_b64 exec, exec, s[14:15]
.LBB11_293:
	s_or_b64 exec, exec, s[12:13]
.LBB11_294:
	s_or_b64 exec, exec, s[10:11]
	v_mov_b32_e32 v4, 0
	global_load_dwordx2 v[7:8], v4, s[6:7] offset:40
	global_load_dwordx4 v[0:3], v4, s[6:7]
	v_readfirstlane_b32 s10, v5
	v_readfirstlane_b32 s11, v6
	s_mov_b64 s[12:13], exec
	s_waitcnt vmcnt(1)
	v_readfirstlane_b32 s14, v7
	v_readfirstlane_b32 s15, v8
	s_and_b64 s[14:15], s[10:11], s[14:15]
	s_mul_i32 s16, s15, 24
	s_mul_hi_u32 s17, s14, 24
	s_mul_i32 s18, s14, 24
	s_add_i32 s16, s17, s16
	v_mov_b32_e32 v5, s16
	s_waitcnt vmcnt(0)
	v_add_co_u32_e32 v7, vcc, s18, v0
	v_addc_co_u32_e32 v8, vcc, v1, v5, vcc
	s_and_saveexec_b64 s[16:17], s[4:5]
	s_cbranch_execz .LBB11_296
; %bb.295:
	v_mov_b32_e32 v9, s12
	v_mov_b32_e32 v10, s13
	;; [unrolled: 1-line block ×4, first 2 shown]
	global_store_dwordx4 v[7:8], v[9:12], off offset:8
.LBB11_296:
	s_or_b64 exec, exec, s[16:17]
	s_lshl_b64 s[12:13], s[14:15], 12
	v_mov_b32_e32 v5, s13
	v_add_co_u32_e32 v2, vcc, s12, v2
	v_addc_co_u32_e32 v11, vcc, v3, v5, vcc
	s_mov_b32 s12, 0
	v_mov_b32_e32 v3, 33
	v_mov_b32_e32 v5, v4
	;; [unrolled: 1-line block ×3, first 2 shown]
	v_readfirstlane_b32 s16, v2
	v_readfirstlane_b32 s17, v11
	v_add_co_u32_e32 v9, vcc, v2, v31
	s_mov_b32 s13, s12
	s_mov_b32 s14, s12
	;; [unrolled: 1-line block ×3, first 2 shown]
	s_nop 0
	global_store_dwordx4 v31, v[3:6], s[16:17]
	v_mov_b32_e32 v2, s12
	v_addc_co_u32_e32 v10, vcc, 0, v11, vcc
	v_mov_b32_e32 v3, s13
	v_mov_b32_e32 v4, s14
	;; [unrolled: 1-line block ×3, first 2 shown]
	global_store_dwordx4 v31, v[2:5], s[16:17] offset:16
	global_store_dwordx4 v31, v[2:5], s[16:17] offset:32
	;; [unrolled: 1-line block ×3, first 2 shown]
	s_and_saveexec_b64 s[12:13], s[4:5]
	s_cbranch_execz .LBB11_304
; %bb.297:
	v_mov_b32_e32 v6, 0
	global_load_dwordx2 v[13:14], v6, s[6:7] offset:32 glc
	global_load_dwordx2 v[2:3], v6, s[6:7] offset:40
	v_mov_b32_e32 v11, s10
	v_mov_b32_e32 v12, s11
	s_waitcnt vmcnt(0)
	v_readfirstlane_b32 s14, v2
	v_readfirstlane_b32 s15, v3
	s_and_b64 s[14:15], s[14:15], s[10:11]
	s_mul_i32 s15, s15, 24
	s_mul_hi_u32 s16, s14, 24
	s_mul_i32 s14, s14, 24
	s_add_i32 s15, s16, s15
	v_mov_b32_e32 v2, s15
	v_add_co_u32_e32 v4, vcc, s14, v0
	v_addc_co_u32_e32 v5, vcc, v1, v2, vcc
	global_store_dwordx2 v[4:5], v[13:14], off
	s_waitcnt vmcnt(0)
	global_atomic_cmpswap_x2 v[2:3], v6, v[11:14], s[6:7] offset:32 glc
	s_waitcnt vmcnt(0)
	v_cmp_ne_u64_e32 vcc, v[2:3], v[13:14]
	s_and_saveexec_b64 s[14:15], vcc
	s_cbranch_execz .LBB11_300
; %bb.298:
	s_mov_b64 s[16:17], 0
.LBB11_299:                             ; =>This Inner Loop Header: Depth=1
	s_sleep 1
	global_store_dwordx2 v[4:5], v[2:3], off
	v_mov_b32_e32 v0, s10
	v_mov_b32_e32 v1, s11
	s_waitcnt vmcnt(0)
	global_atomic_cmpswap_x2 v[0:1], v6, v[0:3], s[6:7] offset:32 glc
	s_waitcnt vmcnt(0)
	v_cmp_eq_u64_e32 vcc, v[0:1], v[2:3]
	v_mov_b32_e32 v3, v1
	s_or_b64 s[16:17], vcc, s[16:17]
	v_mov_b32_e32 v2, v0
	s_andn2_b64 exec, exec, s[16:17]
	s_cbranch_execnz .LBB11_299
.LBB11_300:
	s_or_b64 exec, exec, s[14:15]
	v_mov_b32_e32 v3, 0
	global_load_dwordx2 v[0:1], v3, s[6:7] offset:16
	s_mov_b64 s[14:15], exec
	v_mbcnt_lo_u32_b32 v2, s14, 0
	v_mbcnt_hi_u32_b32 v2, s15, v2
	v_cmp_eq_u32_e32 vcc, 0, v2
	s_and_saveexec_b64 s[16:17], vcc
	s_cbranch_execz .LBB11_302
; %bb.301:
	s_bcnt1_i32_b64 s14, s[14:15]
	v_mov_b32_e32 v2, s14
	s_waitcnt vmcnt(0)
	global_atomic_add_x2 v[0:1], v[2:3], off offset:8
.LBB11_302:
	s_or_b64 exec, exec, s[16:17]
	s_waitcnt vmcnt(0)
	global_load_dwordx2 v[2:3], v[0:1], off offset:16
	s_waitcnt vmcnt(0)
	v_cmp_eq_u64_e32 vcc, 0, v[2:3]
	s_cbranch_vccnz .LBB11_304
; %bb.303:
	global_load_dword v0, v[0:1], off offset:24
	v_mov_b32_e32 v1, 0
	s_waitcnt vmcnt(0)
	global_store_dwordx2 v[2:3], v[0:1], off
	v_and_b32_e32 v0, 0xffffff, v0
	v_readfirstlane_b32 m0, v0
	s_sendmsg sendmsg(MSG_INTERRUPT)
.LBB11_304:
	s_or_b64 exec, exec, s[12:13]
	s_branch .LBB11_308
.LBB11_305:                             ;   in Loop: Header=BB11_308 Depth=1
	s_or_b64 exec, exec, s[12:13]
	v_readfirstlane_b32 s12, v0
	s_cmp_eq_u32 s12, 0
	s_cbranch_scc1 .LBB11_307
; %bb.306:                              ;   in Loop: Header=BB11_308 Depth=1
	s_sleep 1
	s_cbranch_execnz .LBB11_308
	s_branch .LBB11_310
.LBB11_307:
	s_branch .LBB11_310
.LBB11_308:                             ; =>This Inner Loop Header: Depth=1
	v_mov_b32_e32 v0, 1
	s_and_saveexec_b64 s[12:13], s[4:5]
	s_cbranch_execz .LBB11_305
; %bb.309:                              ;   in Loop: Header=BB11_308 Depth=1
	global_load_dword v0, v[7:8], off offset:20 glc
	s_waitcnt vmcnt(0)
	buffer_wbinvl1_vol
	v_and_b32_e32 v0, 1, v0
	s_branch .LBB11_305
.LBB11_310:
	global_load_dwordx2 v[0:1], v[9:10], off
	s_and_saveexec_b64 s[12:13], s[4:5]
	s_cbranch_execz .LBB11_313
; %bb.311:
	v_mov_b32_e32 v8, 0
	global_load_dwordx2 v[4:5], v8, s[6:7] offset:40
	global_load_dwordx2 v[9:10], v8, s[6:7] offset:24 glc
	global_load_dwordx2 v[6:7], v8, s[6:7]
	v_mov_b32_e32 v3, s11
	s_mov_b64 s[4:5], 0
	s_waitcnt vmcnt(2)
	v_add_co_u32_e32 v11, vcc, 1, v4
	v_addc_co_u32_e32 v12, vcc, 0, v5, vcc
	v_add_co_u32_e32 v2, vcc, s10, v11
	v_addc_co_u32_e32 v3, vcc, v12, v3, vcc
	v_cmp_eq_u64_e32 vcc, 0, v[2:3]
	v_cndmask_b32_e32 v3, v3, v12, vcc
	v_cndmask_b32_e32 v2, v2, v11, vcc
	v_and_b32_e32 v5, v3, v5
	v_and_b32_e32 v4, v2, v4
	v_mul_lo_u32 v5, v5, 24
	v_mul_hi_u32 v11, v4, 24
	v_mul_lo_u32 v12, v4, 24
	s_waitcnt vmcnt(1)
	v_mov_b32_e32 v4, v9
	v_add_u32_e32 v5, v11, v5
	s_waitcnt vmcnt(0)
	v_add_co_u32_e32 v6, vcc, v6, v12
	v_addc_co_u32_e32 v7, vcc, v7, v5, vcc
	global_store_dwordx2 v[6:7], v[9:10], off
	v_mov_b32_e32 v5, v10
	s_waitcnt vmcnt(0)
	global_atomic_cmpswap_x2 v[4:5], v8, v[2:5], s[6:7] offset:24 glc
	s_waitcnt vmcnt(0)
	v_cmp_ne_u64_e32 vcc, v[4:5], v[9:10]
	s_and_b64 exec, exec, vcc
	s_cbranch_execz .LBB11_313
.LBB11_312:                             ; =>This Inner Loop Header: Depth=1
	s_sleep 1
	global_store_dwordx2 v[6:7], v[4:5], off
	s_waitcnt vmcnt(0)
	global_atomic_cmpswap_x2 v[9:10], v8, v[2:5], s[6:7] offset:24 glc
	s_waitcnt vmcnt(0)
	v_cmp_eq_u64_e32 vcc, v[9:10], v[4:5]
	v_mov_b32_e32 v4, v9
	s_or_b64 s[4:5], vcc, s[4:5]
	v_mov_b32_e32 v5, v10
	s_andn2_b64 exec, exec, s[4:5]
	s_cbranch_execnz .LBB11_312
.LBB11_313:
	s_or_b64 exec, exec, s[12:13]
	s_getpc_b64 s[12:13]
	s_add_u32 s12, s12, .str.6@rel32@lo+4
	s_addc_u32 s13, s13, .str.6@rel32@hi+12
	s_cmp_lg_u64 s[12:13], 0
	s_cselect_b64 s[10:11], -1, 0
	s_and_b64 vcc, exec, s[10:11]
	s_cbranch_vccz .LBB11_398
; %bb.314:
	s_waitcnt vmcnt(0)
	v_and_b32_e32 v33, 2, v0
	v_mov_b32_e32 v28, 0
	v_and_b32_e32 v2, -3, v0
	v_mov_b32_e32 v3, v1
	s_mov_b64 s[14:15], 3
	v_mov_b32_e32 v6, 2
	v_mov_b32_e32 v7, 1
	s_branch .LBB11_316
.LBB11_315:                             ;   in Loop: Header=BB11_316 Depth=1
	s_or_b64 exec, exec, s[20:21]
	s_sub_u32 s14, s14, s16
	s_subb_u32 s15, s15, s17
	s_add_u32 s12, s12, s16
	s_addc_u32 s13, s13, s17
	s_cmp_lg_u64 s[14:15], 0
	s_cbranch_scc0 .LBB11_397
.LBB11_316:                             ; =>This Loop Header: Depth=1
                                        ;     Child Loop BB11_319 Depth 2
                                        ;     Child Loop BB11_326 Depth 2
	;; [unrolled: 1-line block ×11, first 2 shown]
	v_cmp_lt_u64_e64 s[4:5], s[14:15], 56
	v_cmp_gt_u64_e64 s[18:19], s[14:15], 7
	s_and_b64 s[4:5], s[4:5], exec
	s_cselect_b32 s17, s15, 0
	s_cselect_b32 s16, s14, 56
	s_and_b64 vcc, exec, s[18:19]
	s_cbranch_vccnz .LBB11_321
; %bb.317:                              ;   in Loop: Header=BB11_316 Depth=1
	v_mov_b32_e32 v10, 0
	s_cmp_eq_u64 s[14:15], 0
	v_mov_b32_e32 v11, 0
	s_mov_b64 s[4:5], 0
	s_cbranch_scc1 .LBB11_320
; %bb.318:                              ;   in Loop: Header=BB11_316 Depth=1
	v_mov_b32_e32 v10, 0
	s_lshl_b64 s[18:19], s[16:17], 3
	s_mov_b64 s[20:21], 0
	v_mov_b32_e32 v11, 0
	s_mov_b64 s[22:23], s[12:13]
.LBB11_319:                             ;   Parent Loop BB11_316 Depth=1
                                        ; =>  This Inner Loop Header: Depth=2
	global_load_ubyte v4, v28, s[22:23]
	s_waitcnt vmcnt(0)
	v_and_b32_e32 v27, 0xffff, v4
	v_lshlrev_b64 v[4:5], s20, v[27:28]
	s_add_u32 s20, s20, 8
	s_addc_u32 s21, s21, 0
	s_add_u32 s22, s22, 1
	s_addc_u32 s23, s23, 0
	v_or_b32_e32 v10, v4, v10
	s_cmp_lg_u32 s18, s20
	v_or_b32_e32 v11, v5, v11
	s_cbranch_scc1 .LBB11_319
.LBB11_320:                             ;   in Loop: Header=BB11_316 Depth=1
	s_mov_b32 s22, 0
	s_andn2_b64 vcc, exec, s[4:5]
	s_mov_b64 s[4:5], s[12:13]
	s_cbranch_vccz .LBB11_322
	s_branch .LBB11_323
.LBB11_321:                             ;   in Loop: Header=BB11_316 Depth=1
                                        ; implicit-def: $vgpr10_vgpr11
                                        ; implicit-def: $sgpr22
	s_mov_b64 s[4:5], s[12:13]
.LBB11_322:                             ;   in Loop: Header=BB11_316 Depth=1
	global_load_dwordx2 v[10:11], v28, s[12:13]
	s_add_i32 s22, s16, -8
	s_add_u32 s4, s12, 8
	s_addc_u32 s5, s13, 0
.LBB11_323:                             ;   in Loop: Header=BB11_316 Depth=1
	s_cmp_gt_u32 s22, 7
	s_cbranch_scc1 .LBB11_327
; %bb.324:                              ;   in Loop: Header=BB11_316 Depth=1
	s_cmp_eq_u32 s22, 0
	s_cbranch_scc1 .LBB11_328
; %bb.325:                              ;   in Loop: Header=BB11_316 Depth=1
	v_mov_b32_e32 v12, 0
	s_mov_b64 s[18:19], 0
	v_mov_b32_e32 v13, 0
	s_mov_b64 s[20:21], 0
.LBB11_326:                             ;   Parent Loop BB11_316 Depth=1
                                        ; =>  This Inner Loop Header: Depth=2
	s_add_u32 s24, s4, s20
	s_addc_u32 s25, s5, s21
	global_load_ubyte v4, v28, s[24:25]
	s_add_u32 s20, s20, 1
	s_addc_u32 s21, s21, 0
	s_waitcnt vmcnt(0)
	v_and_b32_e32 v27, 0xffff, v4
	v_lshlrev_b64 v[4:5], s18, v[27:28]
	s_add_u32 s18, s18, 8
	s_addc_u32 s19, s19, 0
	v_or_b32_e32 v12, v4, v12
	s_cmp_lg_u32 s22, s20
	v_or_b32_e32 v13, v5, v13
	s_cbranch_scc1 .LBB11_326
	s_branch .LBB11_329
.LBB11_327:                             ;   in Loop: Header=BB11_316 Depth=1
                                        ; implicit-def: $vgpr12_vgpr13
                                        ; implicit-def: $sgpr23
	s_branch .LBB11_330
.LBB11_328:                             ;   in Loop: Header=BB11_316 Depth=1
	v_mov_b32_e32 v12, 0
	v_mov_b32_e32 v13, 0
.LBB11_329:                             ;   in Loop: Header=BB11_316 Depth=1
	s_mov_b32 s23, 0
	s_cbranch_execnz .LBB11_331
.LBB11_330:                             ;   in Loop: Header=BB11_316 Depth=1
	global_load_dwordx2 v[12:13], v28, s[4:5]
	s_add_i32 s23, s22, -8
	s_add_u32 s4, s4, 8
	s_addc_u32 s5, s5, 0
.LBB11_331:                             ;   in Loop: Header=BB11_316 Depth=1
	s_cmp_gt_u32 s23, 7
	s_cbranch_scc1 .LBB11_335
; %bb.332:                              ;   in Loop: Header=BB11_316 Depth=1
	s_cmp_eq_u32 s23, 0
	s_cbranch_scc1 .LBB11_336
; %bb.333:                              ;   in Loop: Header=BB11_316 Depth=1
	v_mov_b32_e32 v14, 0
	s_mov_b64 s[18:19], 0
	v_mov_b32_e32 v15, 0
	s_mov_b64 s[20:21], 0
.LBB11_334:                             ;   Parent Loop BB11_316 Depth=1
                                        ; =>  This Inner Loop Header: Depth=2
	s_add_u32 s24, s4, s20
	s_addc_u32 s25, s5, s21
	global_load_ubyte v4, v28, s[24:25]
	s_add_u32 s20, s20, 1
	s_addc_u32 s21, s21, 0
	s_waitcnt vmcnt(0)
	v_and_b32_e32 v27, 0xffff, v4
	v_lshlrev_b64 v[4:5], s18, v[27:28]
	s_add_u32 s18, s18, 8
	s_addc_u32 s19, s19, 0
	v_or_b32_e32 v14, v4, v14
	s_cmp_lg_u32 s23, s20
	v_or_b32_e32 v15, v5, v15
	s_cbranch_scc1 .LBB11_334
	s_branch .LBB11_337
.LBB11_335:                             ;   in Loop: Header=BB11_316 Depth=1
                                        ; implicit-def: $sgpr22
	s_branch .LBB11_338
.LBB11_336:                             ;   in Loop: Header=BB11_316 Depth=1
	v_mov_b32_e32 v14, 0
	v_mov_b32_e32 v15, 0
.LBB11_337:                             ;   in Loop: Header=BB11_316 Depth=1
	s_mov_b32 s22, 0
	s_cbranch_execnz .LBB11_339
.LBB11_338:                             ;   in Loop: Header=BB11_316 Depth=1
	global_load_dwordx2 v[14:15], v28, s[4:5]
	s_add_i32 s22, s23, -8
	s_add_u32 s4, s4, 8
	s_addc_u32 s5, s5, 0
.LBB11_339:                             ;   in Loop: Header=BB11_316 Depth=1
	s_cmp_gt_u32 s22, 7
	s_cbranch_scc1 .LBB11_343
; %bb.340:                              ;   in Loop: Header=BB11_316 Depth=1
	s_cmp_eq_u32 s22, 0
	s_cbranch_scc1 .LBB11_344
; %bb.341:                              ;   in Loop: Header=BB11_316 Depth=1
	v_mov_b32_e32 v16, 0
	s_mov_b64 s[18:19], 0
	v_mov_b32_e32 v17, 0
	s_mov_b64 s[20:21], 0
.LBB11_342:                             ;   Parent Loop BB11_316 Depth=1
                                        ; =>  This Inner Loop Header: Depth=2
	s_add_u32 s24, s4, s20
	s_addc_u32 s25, s5, s21
	global_load_ubyte v4, v28, s[24:25]
	s_add_u32 s20, s20, 1
	s_addc_u32 s21, s21, 0
	s_waitcnt vmcnt(0)
	v_and_b32_e32 v27, 0xffff, v4
	v_lshlrev_b64 v[4:5], s18, v[27:28]
	s_add_u32 s18, s18, 8
	s_addc_u32 s19, s19, 0
	v_or_b32_e32 v16, v4, v16
	s_cmp_lg_u32 s22, s20
	v_or_b32_e32 v17, v5, v17
	s_cbranch_scc1 .LBB11_342
	s_branch .LBB11_345
.LBB11_343:                             ;   in Loop: Header=BB11_316 Depth=1
                                        ; implicit-def: $vgpr16_vgpr17
                                        ; implicit-def: $sgpr23
	s_branch .LBB11_346
.LBB11_344:                             ;   in Loop: Header=BB11_316 Depth=1
	v_mov_b32_e32 v16, 0
	v_mov_b32_e32 v17, 0
.LBB11_345:                             ;   in Loop: Header=BB11_316 Depth=1
	s_mov_b32 s23, 0
	s_cbranch_execnz .LBB11_347
.LBB11_346:                             ;   in Loop: Header=BB11_316 Depth=1
	global_load_dwordx2 v[16:17], v28, s[4:5]
	s_add_i32 s23, s22, -8
	s_add_u32 s4, s4, 8
	s_addc_u32 s5, s5, 0
.LBB11_347:                             ;   in Loop: Header=BB11_316 Depth=1
	s_cmp_gt_u32 s23, 7
	s_cbranch_scc1 .LBB11_351
; %bb.348:                              ;   in Loop: Header=BB11_316 Depth=1
	s_cmp_eq_u32 s23, 0
	s_cbranch_scc1 .LBB11_352
; %bb.349:                              ;   in Loop: Header=BB11_316 Depth=1
	v_mov_b32_e32 v18, 0
	s_mov_b64 s[18:19], 0
	v_mov_b32_e32 v19, 0
	s_mov_b64 s[20:21], 0
.LBB11_350:                             ;   Parent Loop BB11_316 Depth=1
                                        ; =>  This Inner Loop Header: Depth=2
	s_add_u32 s24, s4, s20
	s_addc_u32 s25, s5, s21
	global_load_ubyte v4, v28, s[24:25]
	s_add_u32 s20, s20, 1
	s_addc_u32 s21, s21, 0
	s_waitcnt vmcnt(0)
	v_and_b32_e32 v27, 0xffff, v4
	v_lshlrev_b64 v[4:5], s18, v[27:28]
	s_add_u32 s18, s18, 8
	s_addc_u32 s19, s19, 0
	v_or_b32_e32 v18, v4, v18
	s_cmp_lg_u32 s23, s20
	v_or_b32_e32 v19, v5, v19
	s_cbranch_scc1 .LBB11_350
	s_branch .LBB11_353
.LBB11_351:                             ;   in Loop: Header=BB11_316 Depth=1
                                        ; implicit-def: $sgpr22
	s_branch .LBB11_354
.LBB11_352:                             ;   in Loop: Header=BB11_316 Depth=1
	v_mov_b32_e32 v18, 0
	v_mov_b32_e32 v19, 0
.LBB11_353:                             ;   in Loop: Header=BB11_316 Depth=1
	s_mov_b32 s22, 0
	s_cbranch_execnz .LBB11_355
.LBB11_354:                             ;   in Loop: Header=BB11_316 Depth=1
	global_load_dwordx2 v[18:19], v28, s[4:5]
	s_add_i32 s22, s23, -8
	s_add_u32 s4, s4, 8
	s_addc_u32 s5, s5, 0
.LBB11_355:                             ;   in Loop: Header=BB11_316 Depth=1
	s_cmp_gt_u32 s22, 7
	s_cbranch_scc1 .LBB11_359
; %bb.356:                              ;   in Loop: Header=BB11_316 Depth=1
	s_cmp_eq_u32 s22, 0
	s_cbranch_scc1 .LBB11_360
; %bb.357:                              ;   in Loop: Header=BB11_316 Depth=1
	v_mov_b32_e32 v20, 0
	s_mov_b64 s[18:19], 0
	v_mov_b32_e32 v21, 0
	s_mov_b64 s[20:21], 0
.LBB11_358:                             ;   Parent Loop BB11_316 Depth=1
                                        ; =>  This Inner Loop Header: Depth=2
	s_add_u32 s24, s4, s20
	s_addc_u32 s25, s5, s21
	global_load_ubyte v4, v28, s[24:25]
	s_add_u32 s20, s20, 1
	s_addc_u32 s21, s21, 0
	s_waitcnt vmcnt(0)
	v_and_b32_e32 v27, 0xffff, v4
	v_lshlrev_b64 v[4:5], s18, v[27:28]
	s_add_u32 s18, s18, 8
	s_addc_u32 s19, s19, 0
	v_or_b32_e32 v20, v4, v20
	s_cmp_lg_u32 s22, s20
	v_or_b32_e32 v21, v5, v21
	s_cbranch_scc1 .LBB11_358
	s_branch .LBB11_361
.LBB11_359:                             ;   in Loop: Header=BB11_316 Depth=1
                                        ; implicit-def: $vgpr20_vgpr21
                                        ; implicit-def: $sgpr23
	s_branch .LBB11_362
.LBB11_360:                             ;   in Loop: Header=BB11_316 Depth=1
	v_mov_b32_e32 v20, 0
	v_mov_b32_e32 v21, 0
.LBB11_361:                             ;   in Loop: Header=BB11_316 Depth=1
	s_mov_b32 s23, 0
	s_cbranch_execnz .LBB11_363
.LBB11_362:                             ;   in Loop: Header=BB11_316 Depth=1
	global_load_dwordx2 v[20:21], v28, s[4:5]
	s_add_i32 s23, s22, -8
	s_add_u32 s4, s4, 8
	s_addc_u32 s5, s5, 0
.LBB11_363:                             ;   in Loop: Header=BB11_316 Depth=1
	s_cmp_gt_u32 s23, 7
	s_cbranch_scc1 .LBB11_367
; %bb.364:                              ;   in Loop: Header=BB11_316 Depth=1
	s_cmp_eq_u32 s23, 0
	s_cbranch_scc1 .LBB11_368
; %bb.365:                              ;   in Loop: Header=BB11_316 Depth=1
	v_mov_b32_e32 v22, 0
	s_mov_b64 s[18:19], 0
	v_mov_b32_e32 v23, 0
	s_mov_b64 s[20:21], s[4:5]
.LBB11_366:                             ;   Parent Loop BB11_316 Depth=1
                                        ; =>  This Inner Loop Header: Depth=2
	global_load_ubyte v4, v28, s[20:21]
	s_add_i32 s23, s23, -1
	s_waitcnt vmcnt(0)
	v_and_b32_e32 v27, 0xffff, v4
	v_lshlrev_b64 v[4:5], s18, v[27:28]
	s_add_u32 s18, s18, 8
	s_addc_u32 s19, s19, 0
	s_add_u32 s20, s20, 1
	s_addc_u32 s21, s21, 0
	v_or_b32_e32 v22, v4, v22
	s_cmp_lg_u32 s23, 0
	v_or_b32_e32 v23, v5, v23
	s_cbranch_scc1 .LBB11_366
	s_branch .LBB11_369
.LBB11_367:                             ;   in Loop: Header=BB11_316 Depth=1
	s_branch .LBB11_370
.LBB11_368:                             ;   in Loop: Header=BB11_316 Depth=1
	v_mov_b32_e32 v22, 0
	v_mov_b32_e32 v23, 0
.LBB11_369:                             ;   in Loop: Header=BB11_316 Depth=1
	s_cbranch_execnz .LBB11_371
.LBB11_370:                             ;   in Loop: Header=BB11_316 Depth=1
	global_load_dwordx2 v[22:23], v28, s[4:5]
.LBB11_371:                             ;   in Loop: Header=BB11_316 Depth=1
	v_readfirstlane_b32 s4, v32
	s_waitcnt vmcnt(0)
	v_mov_b32_e32 v4, 0
	v_mov_b32_e32 v5, 0
	v_cmp_eq_u32_e64 s[4:5], s4, v32
	s_and_saveexec_b64 s[18:19], s[4:5]
	s_cbranch_execz .LBB11_377
; %bb.372:                              ;   in Loop: Header=BB11_316 Depth=1
	global_load_dwordx2 v[26:27], v28, s[6:7] offset:24 glc
	s_waitcnt vmcnt(0)
	buffer_wbinvl1_vol
	global_load_dwordx2 v[4:5], v28, s[6:7] offset:40
	global_load_dwordx2 v[8:9], v28, s[6:7]
	s_waitcnt vmcnt(1)
	v_and_b32_e32 v4, v4, v26
	v_and_b32_e32 v5, v5, v27
	v_mul_lo_u32 v5, v5, 24
	v_mul_hi_u32 v24, v4, 24
	v_mul_lo_u32 v4, v4, 24
	v_add_u32_e32 v5, v24, v5
	s_waitcnt vmcnt(0)
	v_add_co_u32_e32 v4, vcc, v8, v4
	v_addc_co_u32_e32 v5, vcc, v9, v5, vcc
	global_load_dwordx2 v[24:25], v[4:5], off glc
	s_waitcnt vmcnt(0)
	global_atomic_cmpswap_x2 v[4:5], v28, v[24:27], s[6:7] offset:24 glc
	s_waitcnt vmcnt(0)
	buffer_wbinvl1_vol
	v_cmp_ne_u64_e32 vcc, v[4:5], v[26:27]
	s_and_saveexec_b64 s[20:21], vcc
	s_cbranch_execz .LBB11_376
; %bb.373:                              ;   in Loop: Header=BB11_316 Depth=1
	s_mov_b64 s[22:23], 0
.LBB11_374:                             ;   Parent Loop BB11_316 Depth=1
                                        ; =>  This Inner Loop Header: Depth=2
	s_sleep 1
	global_load_dwordx2 v[8:9], v28, s[6:7] offset:40
	global_load_dwordx2 v[24:25], v28, s[6:7]
	v_mov_b32_e32 v27, v5
	v_mov_b32_e32 v26, v4
	s_waitcnt vmcnt(1)
	v_and_b32_e32 v4, v8, v26
	s_waitcnt vmcnt(0)
	v_mad_u64_u32 v[4:5], s[24:25], v4, 24, v[24:25]
	v_and_b32_e32 v8, v9, v27
	v_mad_u64_u32 v[8:9], s[24:25], v8, 24, v[5:6]
	v_mov_b32_e32 v5, v8
	global_load_dwordx2 v[24:25], v[4:5], off glc
	s_waitcnt vmcnt(0)
	global_atomic_cmpswap_x2 v[4:5], v28, v[24:27], s[6:7] offset:24 glc
	s_waitcnt vmcnt(0)
	buffer_wbinvl1_vol
	v_cmp_eq_u64_e32 vcc, v[4:5], v[26:27]
	s_or_b64 s[22:23], vcc, s[22:23]
	s_andn2_b64 exec, exec, s[22:23]
	s_cbranch_execnz .LBB11_374
; %bb.375:                              ;   in Loop: Header=BB11_316 Depth=1
	s_or_b64 exec, exec, s[22:23]
.LBB11_376:                             ;   in Loop: Header=BB11_316 Depth=1
	s_or_b64 exec, exec, s[20:21]
.LBB11_377:                             ;   in Loop: Header=BB11_316 Depth=1
	s_or_b64 exec, exec, s[18:19]
	global_load_dwordx2 v[8:9], v28, s[6:7] offset:40
	global_load_dwordx4 v[24:27], v28, s[6:7]
	v_readfirstlane_b32 s18, v4
	v_readfirstlane_b32 s19, v5
	s_mov_b64 s[20:21], exec
	s_waitcnt vmcnt(1)
	v_readfirstlane_b32 s22, v8
	v_readfirstlane_b32 s23, v9
	s_and_b64 s[22:23], s[18:19], s[22:23]
	s_mul_i32 s24, s23, 24
	s_mul_hi_u32 s25, s22, 24
	s_mul_i32 s26, s22, 24
	s_add_i32 s24, s25, s24
	v_mov_b32_e32 v4, s24
	s_waitcnt vmcnt(0)
	v_add_co_u32_e32 v29, vcc, s26, v24
	v_addc_co_u32_e32 v30, vcc, v25, v4, vcc
	s_and_saveexec_b64 s[24:25], s[4:5]
	s_cbranch_execz .LBB11_379
; %bb.378:                              ;   in Loop: Header=BB11_316 Depth=1
	v_mov_b32_e32 v4, s20
	v_mov_b32_e32 v5, s21
	global_store_dwordx4 v[29:30], v[4:7], off offset:8
.LBB11_379:                             ;   in Loop: Header=BB11_316 Depth=1
	s_or_b64 exec, exec, s[24:25]
	s_lshl_b64 s[20:21], s[22:23], 12
	v_mov_b32_e32 v4, s21
	v_add_co_u32_e32 v26, vcc, s20, v26
	v_addc_co_u32_e32 v34, vcc, v27, v4, vcc
	v_cmp_gt_u64_e64 vcc, s[14:15], 56
	v_or_b32_e32 v5, v2, v33
	s_lshl_b32 s20, s16, 2
	v_cndmask_b32_e32 v2, v5, v2, vcc
	s_add_i32 s20, s20, 28
	v_or_b32_e32 v4, 0, v3
	s_and_b32 s20, s20, 0x1e0
	v_and_b32_e32 v2, 0xffffff1f, v2
	v_cndmask_b32_e32 v9, v4, v3, vcc
	v_or_b32_e32 v8, s20, v2
	v_readfirstlane_b32 s20, v26
	v_readfirstlane_b32 s21, v34
	s_nop 4
	global_store_dwordx4 v31, v[8:11], s[20:21]
	global_store_dwordx4 v31, v[12:15], s[20:21] offset:16
	global_store_dwordx4 v31, v[16:19], s[20:21] offset:32
	;; [unrolled: 1-line block ×3, first 2 shown]
	s_and_saveexec_b64 s[20:21], s[4:5]
	s_cbranch_execz .LBB11_387
; %bb.380:                              ;   in Loop: Header=BB11_316 Depth=1
	global_load_dwordx2 v[12:13], v28, s[6:7] offset:32 glc
	global_load_dwordx2 v[2:3], v28, s[6:7] offset:40
	v_mov_b32_e32 v10, s18
	v_mov_b32_e32 v11, s19
	s_waitcnt vmcnt(0)
	v_readfirstlane_b32 s22, v2
	v_readfirstlane_b32 s23, v3
	s_and_b64 s[22:23], s[22:23], s[18:19]
	s_mul_i32 s23, s23, 24
	s_mul_hi_u32 s24, s22, 24
	s_mul_i32 s22, s22, 24
	s_add_i32 s23, s24, s23
	v_mov_b32_e32 v2, s23
	v_add_co_u32_e32 v8, vcc, s22, v24
	v_addc_co_u32_e32 v9, vcc, v25, v2, vcc
	global_store_dwordx2 v[8:9], v[12:13], off
	s_waitcnt vmcnt(0)
	global_atomic_cmpswap_x2 v[4:5], v28, v[10:13], s[6:7] offset:32 glc
	s_waitcnt vmcnt(0)
	v_cmp_ne_u64_e32 vcc, v[4:5], v[12:13]
	s_and_saveexec_b64 s[22:23], vcc
	s_cbranch_execz .LBB11_383
; %bb.381:                              ;   in Loop: Header=BB11_316 Depth=1
	s_mov_b64 s[24:25], 0
.LBB11_382:                             ;   Parent Loop BB11_316 Depth=1
                                        ; =>  This Inner Loop Header: Depth=2
	s_sleep 1
	global_store_dwordx2 v[8:9], v[4:5], off
	v_mov_b32_e32 v2, s18
	v_mov_b32_e32 v3, s19
	s_waitcnt vmcnt(0)
	global_atomic_cmpswap_x2 v[2:3], v28, v[2:5], s[6:7] offset:32 glc
	s_waitcnt vmcnt(0)
	v_cmp_eq_u64_e32 vcc, v[2:3], v[4:5]
	v_mov_b32_e32 v5, v3
	s_or_b64 s[24:25], vcc, s[24:25]
	v_mov_b32_e32 v4, v2
	s_andn2_b64 exec, exec, s[24:25]
	s_cbranch_execnz .LBB11_382
.LBB11_383:                             ;   in Loop: Header=BB11_316 Depth=1
	s_or_b64 exec, exec, s[22:23]
	global_load_dwordx2 v[2:3], v28, s[6:7] offset:16
	s_mov_b64 s[24:25], exec
	v_mbcnt_lo_u32_b32 v4, s24, 0
	v_mbcnt_hi_u32_b32 v4, s25, v4
	v_cmp_eq_u32_e32 vcc, 0, v4
	s_and_saveexec_b64 s[22:23], vcc
	s_cbranch_execz .LBB11_385
; %bb.384:                              ;   in Loop: Header=BB11_316 Depth=1
	s_bcnt1_i32_b64 s24, s[24:25]
	v_mov_b32_e32 v27, s24
	s_waitcnt vmcnt(0)
	global_atomic_add_x2 v[2:3], v[27:28], off offset:8
.LBB11_385:                             ;   in Loop: Header=BB11_316 Depth=1
	s_or_b64 exec, exec, s[22:23]
	s_waitcnt vmcnt(0)
	global_load_dwordx2 v[4:5], v[2:3], off offset:16
	s_waitcnt vmcnt(0)
	v_cmp_eq_u64_e32 vcc, 0, v[4:5]
	s_cbranch_vccnz .LBB11_387
; %bb.386:                              ;   in Loop: Header=BB11_316 Depth=1
	global_load_dword v27, v[2:3], off offset:24
	s_waitcnt vmcnt(0)
	v_and_b32_e32 v2, 0xffffff, v27
	v_readfirstlane_b32 m0, v2
	global_store_dwordx2 v[4:5], v[27:28], off
	s_sendmsg sendmsg(MSG_INTERRUPT)
.LBB11_387:                             ;   in Loop: Header=BB11_316 Depth=1
	s_or_b64 exec, exec, s[20:21]
	v_add_co_u32_e32 v2, vcc, v26, v31
	v_addc_co_u32_e32 v3, vcc, 0, v34, vcc
	s_branch .LBB11_391
.LBB11_388:                             ;   in Loop: Header=BB11_391 Depth=2
	s_or_b64 exec, exec, s[20:21]
	v_readfirstlane_b32 s20, v4
	s_cmp_eq_u32 s20, 0
	s_cbranch_scc1 .LBB11_390
; %bb.389:                              ;   in Loop: Header=BB11_391 Depth=2
	s_sleep 1
	s_cbranch_execnz .LBB11_391
	s_branch .LBB11_393
.LBB11_390:                             ;   in Loop: Header=BB11_316 Depth=1
	s_branch .LBB11_393
.LBB11_391:                             ;   Parent Loop BB11_316 Depth=1
                                        ; =>  This Inner Loop Header: Depth=2
	v_mov_b32_e32 v4, 1
	s_and_saveexec_b64 s[20:21], s[4:5]
	s_cbranch_execz .LBB11_388
; %bb.392:                              ;   in Loop: Header=BB11_391 Depth=2
	global_load_dword v4, v[29:30], off offset:20 glc
	s_waitcnt vmcnt(0)
	buffer_wbinvl1_vol
	v_and_b32_e32 v4, 1, v4
	s_branch .LBB11_388
.LBB11_393:                             ;   in Loop: Header=BB11_316 Depth=1
	global_load_dwordx4 v[2:5], v[2:3], off
	s_and_saveexec_b64 s[20:21], s[4:5]
	s_cbranch_execz .LBB11_315
; %bb.394:                              ;   in Loop: Header=BB11_316 Depth=1
	global_load_dwordx2 v[4:5], v28, s[6:7] offset:40
	global_load_dwordx2 v[12:13], v28, s[6:7] offset:24 glc
	global_load_dwordx2 v[14:15], v28, s[6:7]
	v_mov_b32_e32 v9, s19
	s_waitcnt vmcnt(2)
	v_add_co_u32_e32 v10, vcc, 1, v4
	v_addc_co_u32_e32 v11, vcc, 0, v5, vcc
	v_add_co_u32_e32 v8, vcc, s18, v10
	v_addc_co_u32_e32 v9, vcc, v11, v9, vcc
	v_cmp_eq_u64_e32 vcc, 0, v[8:9]
	v_cndmask_b32_e32 v9, v9, v11, vcc
	v_cndmask_b32_e32 v8, v8, v10, vcc
	v_and_b32_e32 v5, v9, v5
	v_and_b32_e32 v4, v8, v4
	v_mul_lo_u32 v5, v5, 24
	v_mul_hi_u32 v11, v4, 24
	v_mul_lo_u32 v4, v4, 24
	s_waitcnt vmcnt(1)
	v_mov_b32_e32 v10, v12
	v_add_u32_e32 v5, v11, v5
	s_waitcnt vmcnt(0)
	v_add_co_u32_e32 v4, vcc, v14, v4
	v_addc_co_u32_e32 v5, vcc, v15, v5, vcc
	global_store_dwordx2 v[4:5], v[12:13], off
	v_mov_b32_e32 v11, v13
	s_waitcnt vmcnt(0)
	global_atomic_cmpswap_x2 v[10:11], v28, v[8:11], s[6:7] offset:24 glc
	s_waitcnt vmcnt(0)
	v_cmp_ne_u64_e32 vcc, v[10:11], v[12:13]
	s_and_b64 exec, exec, vcc
	s_cbranch_execz .LBB11_315
; %bb.395:                              ;   in Loop: Header=BB11_316 Depth=1
	s_mov_b64 s[4:5], 0
.LBB11_396:                             ;   Parent Loop BB11_316 Depth=1
                                        ; =>  This Inner Loop Header: Depth=2
	s_sleep 1
	global_store_dwordx2 v[4:5], v[10:11], off
	s_waitcnt vmcnt(0)
	global_atomic_cmpswap_x2 v[12:13], v28, v[8:11], s[6:7] offset:24 glc
	s_waitcnt vmcnt(0)
	v_cmp_eq_u64_e32 vcc, v[12:13], v[10:11]
	v_mov_b32_e32 v10, v12
	s_or_b64 s[4:5], vcc, s[4:5]
	v_mov_b32_e32 v11, v13
	s_andn2_b64 exec, exec, s[4:5]
	s_cbranch_execnz .LBB11_396
	s_branch .LBB11_315
.LBB11_397:
	s_mov_b64 s[4:5], 0
	s_branch .LBB11_399
.LBB11_398:
	s_mov_b64 s[4:5], -1
                                        ; implicit-def: $vgpr2_vgpr3
.LBB11_399:
	s_and_b64 vcc, exec, s[4:5]
	s_cbranch_vccz .LBB11_426
; %bb.400:
	v_readfirstlane_b32 s4, v32
	v_mov_b32_e32 v8, 0
	v_mov_b32_e32 v9, 0
	v_cmp_eq_u32_e64 s[4:5], s4, v32
	s_and_saveexec_b64 s[12:13], s[4:5]
	s_cbranch_execz .LBB11_406
; %bb.401:
	s_waitcnt vmcnt(0)
	v_mov_b32_e32 v2, 0
	global_load_dwordx2 v[5:6], v2, s[6:7] offset:24 glc
	s_waitcnt vmcnt(0)
	buffer_wbinvl1_vol
	global_load_dwordx2 v[3:4], v2, s[6:7] offset:40
	global_load_dwordx2 v[7:8], v2, s[6:7]
	s_waitcnt vmcnt(1)
	v_and_b32_e32 v3, v3, v5
	v_and_b32_e32 v4, v4, v6
	v_mul_lo_u32 v4, v4, 24
	v_mul_hi_u32 v9, v3, 24
	v_mul_lo_u32 v3, v3, 24
	v_add_u32_e32 v4, v9, v4
	s_waitcnt vmcnt(0)
	v_add_co_u32_e32 v3, vcc, v7, v3
	v_addc_co_u32_e32 v4, vcc, v8, v4, vcc
	global_load_dwordx2 v[3:4], v[3:4], off glc
	s_waitcnt vmcnt(0)
	global_atomic_cmpswap_x2 v[8:9], v2, v[3:6], s[6:7] offset:24 glc
	s_waitcnt vmcnt(0)
	buffer_wbinvl1_vol
	v_cmp_ne_u64_e32 vcc, v[8:9], v[5:6]
	s_and_saveexec_b64 s[14:15], vcc
	s_cbranch_execz .LBB11_405
; %bb.402:
	s_mov_b64 s[16:17], 0
.LBB11_403:                             ; =>This Inner Loop Header: Depth=1
	s_sleep 1
	global_load_dwordx2 v[3:4], v2, s[6:7] offset:40
	global_load_dwordx2 v[10:11], v2, s[6:7]
	v_mov_b32_e32 v5, v8
	v_mov_b32_e32 v6, v9
	s_waitcnt vmcnt(1)
	v_and_b32_e32 v3, v3, v5
	s_waitcnt vmcnt(0)
	v_mad_u64_u32 v[7:8], s[18:19], v3, 24, v[10:11]
	v_and_b32_e32 v4, v4, v6
	v_mov_b32_e32 v3, v8
	v_mad_u64_u32 v[3:4], s[18:19], v4, 24, v[3:4]
	v_mov_b32_e32 v8, v3
	global_load_dwordx2 v[3:4], v[7:8], off glc
	s_waitcnt vmcnt(0)
	global_atomic_cmpswap_x2 v[8:9], v2, v[3:6], s[6:7] offset:24 glc
	s_waitcnt vmcnt(0)
	buffer_wbinvl1_vol
	v_cmp_eq_u64_e32 vcc, v[8:9], v[5:6]
	s_or_b64 s[16:17], vcc, s[16:17]
	s_andn2_b64 exec, exec, s[16:17]
	s_cbranch_execnz .LBB11_403
; %bb.404:
	s_or_b64 exec, exec, s[16:17]
.LBB11_405:
	s_or_b64 exec, exec, s[14:15]
.LBB11_406:
	s_or_b64 exec, exec, s[12:13]
	s_waitcnt vmcnt(0)
	v_mov_b32_e32 v2, 0
	global_load_dwordx2 v[10:11], v2, s[6:7] offset:40
	global_load_dwordx4 v[4:7], v2, s[6:7]
	v_readfirstlane_b32 s12, v8
	v_readfirstlane_b32 s13, v9
	s_mov_b64 s[14:15], exec
	s_waitcnt vmcnt(1)
	v_readfirstlane_b32 s16, v10
	v_readfirstlane_b32 s17, v11
	s_and_b64 s[16:17], s[12:13], s[16:17]
	s_mul_i32 s18, s17, 24
	s_mul_hi_u32 s19, s16, 24
	s_mul_i32 s20, s16, 24
	s_add_i32 s18, s19, s18
	v_mov_b32_e32 v3, s18
	s_waitcnt vmcnt(0)
	v_add_co_u32_e32 v8, vcc, s20, v4
	v_addc_co_u32_e32 v9, vcc, v5, v3, vcc
	s_and_saveexec_b64 s[18:19], s[4:5]
	s_cbranch_execz .LBB11_408
; %bb.407:
	v_mov_b32_e32 v10, s14
	v_mov_b32_e32 v11, s15
	;; [unrolled: 1-line block ×4, first 2 shown]
	global_store_dwordx4 v[8:9], v[10:13], off offset:8
.LBB11_408:
	s_or_b64 exec, exec, s[18:19]
	s_lshl_b64 s[14:15], s[16:17], 12
	v_mov_b32_e32 v3, s15
	v_add_co_u32_e32 v10, vcc, s14, v6
	v_addc_co_u32_e32 v11, vcc, v7, v3, vcc
	s_movk_i32 s14, 0xff1f
	v_and_or_b32 v0, v0, s14, 32
	s_mov_b32 s16, 0
	v_mov_b32_e32 v3, v2
	v_readfirstlane_b32 s14, v10
	v_readfirstlane_b32 s15, v11
	v_add_co_u32_e32 v6, vcc, v10, v31
	s_mov_b32 s17, s16
	s_mov_b32 s18, s16
	s_mov_b32 s19, s16
	s_nop 0
	global_store_dwordx4 v31, v[0:3], s[14:15]
	v_addc_co_u32_e32 v7, vcc, 0, v11, vcc
	v_mov_b32_e32 v0, s16
	v_mov_b32_e32 v1, s17
	;; [unrolled: 1-line block ×4, first 2 shown]
	global_store_dwordx4 v31, v[0:3], s[14:15] offset:16
	global_store_dwordx4 v31, v[0:3], s[14:15] offset:32
	;; [unrolled: 1-line block ×3, first 2 shown]
	s_and_saveexec_b64 s[14:15], s[4:5]
	s_cbranch_execz .LBB11_416
; %bb.409:
	v_mov_b32_e32 v10, 0
	global_load_dwordx2 v[13:14], v10, s[6:7] offset:32 glc
	global_load_dwordx2 v[0:1], v10, s[6:7] offset:40
	v_mov_b32_e32 v11, s12
	v_mov_b32_e32 v12, s13
	s_waitcnt vmcnt(0)
	v_readfirstlane_b32 s16, v0
	v_readfirstlane_b32 s17, v1
	s_and_b64 s[16:17], s[16:17], s[12:13]
	s_mul_i32 s17, s17, 24
	s_mul_hi_u32 s18, s16, 24
	s_mul_i32 s16, s16, 24
	s_add_i32 s17, s18, s17
	v_mov_b32_e32 v0, s17
	v_add_co_u32_e32 v4, vcc, s16, v4
	v_addc_co_u32_e32 v5, vcc, v5, v0, vcc
	global_store_dwordx2 v[4:5], v[13:14], off
	s_waitcnt vmcnt(0)
	global_atomic_cmpswap_x2 v[2:3], v10, v[11:14], s[6:7] offset:32 glc
	s_waitcnt vmcnt(0)
	v_cmp_ne_u64_e32 vcc, v[2:3], v[13:14]
	s_and_saveexec_b64 s[16:17], vcc
	s_cbranch_execz .LBB11_412
; %bb.410:
	s_mov_b64 s[18:19], 0
.LBB11_411:                             ; =>This Inner Loop Header: Depth=1
	s_sleep 1
	global_store_dwordx2 v[4:5], v[2:3], off
	v_mov_b32_e32 v0, s12
	v_mov_b32_e32 v1, s13
	s_waitcnt vmcnt(0)
	global_atomic_cmpswap_x2 v[0:1], v10, v[0:3], s[6:7] offset:32 glc
	s_waitcnt vmcnt(0)
	v_cmp_eq_u64_e32 vcc, v[0:1], v[2:3]
	v_mov_b32_e32 v3, v1
	s_or_b64 s[18:19], vcc, s[18:19]
	v_mov_b32_e32 v2, v0
	s_andn2_b64 exec, exec, s[18:19]
	s_cbranch_execnz .LBB11_411
.LBB11_412:
	s_or_b64 exec, exec, s[16:17]
	v_mov_b32_e32 v3, 0
	global_load_dwordx2 v[0:1], v3, s[6:7] offset:16
	s_mov_b64 s[16:17], exec
	v_mbcnt_lo_u32_b32 v2, s16, 0
	v_mbcnt_hi_u32_b32 v2, s17, v2
	v_cmp_eq_u32_e32 vcc, 0, v2
	s_and_saveexec_b64 s[18:19], vcc
	s_cbranch_execz .LBB11_414
; %bb.413:
	s_bcnt1_i32_b64 s16, s[16:17]
	v_mov_b32_e32 v2, s16
	s_waitcnt vmcnt(0)
	global_atomic_add_x2 v[0:1], v[2:3], off offset:8
.LBB11_414:
	s_or_b64 exec, exec, s[18:19]
	s_waitcnt vmcnt(0)
	global_load_dwordx2 v[2:3], v[0:1], off offset:16
	s_waitcnt vmcnt(0)
	v_cmp_eq_u64_e32 vcc, 0, v[2:3]
	s_cbranch_vccnz .LBB11_416
; %bb.415:
	global_load_dword v0, v[0:1], off offset:24
	v_mov_b32_e32 v1, 0
	s_waitcnt vmcnt(0)
	global_store_dwordx2 v[2:3], v[0:1], off
	v_and_b32_e32 v0, 0xffffff, v0
	v_readfirstlane_b32 m0, v0
	s_sendmsg sendmsg(MSG_INTERRUPT)
.LBB11_416:
	s_or_b64 exec, exec, s[14:15]
	s_branch .LBB11_420
.LBB11_417:                             ;   in Loop: Header=BB11_420 Depth=1
	s_or_b64 exec, exec, s[14:15]
	v_readfirstlane_b32 s14, v0
	s_cmp_eq_u32 s14, 0
	s_cbranch_scc1 .LBB11_419
; %bb.418:                              ;   in Loop: Header=BB11_420 Depth=1
	s_sleep 1
	s_cbranch_execnz .LBB11_420
	s_branch .LBB11_422
.LBB11_419:
	s_branch .LBB11_422
.LBB11_420:                             ; =>This Inner Loop Header: Depth=1
	v_mov_b32_e32 v0, 1
	s_and_saveexec_b64 s[14:15], s[4:5]
	s_cbranch_execz .LBB11_417
; %bb.421:                              ;   in Loop: Header=BB11_420 Depth=1
	global_load_dword v0, v[8:9], off offset:20 glc
	s_waitcnt vmcnt(0)
	buffer_wbinvl1_vol
	v_and_b32_e32 v0, 1, v0
	s_branch .LBB11_417
.LBB11_422:
	global_load_dwordx2 v[2:3], v[6:7], off
	s_and_saveexec_b64 s[14:15], s[4:5]
	s_cbranch_execz .LBB11_425
; %bb.423:
	v_mov_b32_e32 v8, 0
	global_load_dwordx2 v[0:1], v8, s[6:7] offset:40
	global_load_dwordx2 v[9:10], v8, s[6:7] offset:24 glc
	global_load_dwordx2 v[11:12], v8, s[6:7]
	v_mov_b32_e32 v5, s13
	s_mov_b64 s[4:5], 0
	s_waitcnt vmcnt(2)
	v_add_co_u32_e32 v6, vcc, 1, v0
	v_addc_co_u32_e32 v7, vcc, 0, v1, vcc
	v_add_co_u32_e32 v4, vcc, s12, v6
	v_addc_co_u32_e32 v5, vcc, v7, v5, vcc
	v_cmp_eq_u64_e32 vcc, 0, v[4:5]
	v_cndmask_b32_e32 v5, v5, v7, vcc
	v_cndmask_b32_e32 v4, v4, v6, vcc
	v_and_b32_e32 v1, v5, v1
	v_and_b32_e32 v0, v4, v0
	v_mul_lo_u32 v1, v1, 24
	v_mul_hi_u32 v7, v0, 24
	v_mul_lo_u32 v0, v0, 24
	s_waitcnt vmcnt(1)
	v_mov_b32_e32 v6, v9
	v_add_u32_e32 v1, v7, v1
	s_waitcnt vmcnt(0)
	v_add_co_u32_e32 v0, vcc, v11, v0
	v_addc_co_u32_e32 v1, vcc, v12, v1, vcc
	global_store_dwordx2 v[0:1], v[9:10], off
	v_mov_b32_e32 v7, v10
	s_waitcnt vmcnt(0)
	global_atomic_cmpswap_x2 v[6:7], v8, v[4:7], s[6:7] offset:24 glc
	s_waitcnt vmcnt(0)
	v_cmp_ne_u64_e32 vcc, v[6:7], v[9:10]
	s_and_b64 exec, exec, vcc
	s_cbranch_execz .LBB11_425
.LBB11_424:                             ; =>This Inner Loop Header: Depth=1
	s_sleep 1
	global_store_dwordx2 v[0:1], v[6:7], off
	s_waitcnt vmcnt(0)
	global_atomic_cmpswap_x2 v[9:10], v8, v[4:7], s[6:7] offset:24 glc
	s_waitcnt vmcnt(0)
	v_cmp_eq_u64_e32 vcc, v[9:10], v[6:7]
	v_mov_b32_e32 v6, v9
	s_or_b64 s[4:5], vcc, s[4:5]
	v_mov_b32_e32 v7, v10
	s_andn2_b64 exec, exec, s[4:5]
	s_cbranch_execnz .LBB11_424
.LBB11_425:
	s_or_b64 exec, exec, s[14:15]
.LBB11_426:
	v_readfirstlane_b32 s4, v32
	s_waitcnt vmcnt(0)
	v_mov_b32_e32 v0, 0
	v_mov_b32_e32 v1, 0
	v_cmp_eq_u32_e64 s[4:5], s4, v32
	s_and_saveexec_b64 s[12:13], s[4:5]
	s_cbranch_execz .LBB11_432
; %bb.427:
	v_mov_b32_e32 v4, 0
	global_load_dwordx2 v[7:8], v4, s[6:7] offset:24 glc
	s_waitcnt vmcnt(0)
	buffer_wbinvl1_vol
	global_load_dwordx2 v[0:1], v4, s[6:7] offset:40
	global_load_dwordx2 v[5:6], v4, s[6:7]
	s_waitcnt vmcnt(1)
	v_and_b32_e32 v0, v0, v7
	v_and_b32_e32 v1, v1, v8
	v_mul_lo_u32 v1, v1, 24
	v_mul_hi_u32 v9, v0, 24
	v_mul_lo_u32 v0, v0, 24
	v_add_u32_e32 v1, v9, v1
	s_waitcnt vmcnt(0)
	v_add_co_u32_e32 v0, vcc, v5, v0
	v_addc_co_u32_e32 v1, vcc, v6, v1, vcc
	global_load_dwordx2 v[5:6], v[0:1], off glc
	s_waitcnt vmcnt(0)
	global_atomic_cmpswap_x2 v[0:1], v4, v[5:8], s[6:7] offset:24 glc
	s_waitcnt vmcnt(0)
	buffer_wbinvl1_vol
	v_cmp_ne_u64_e32 vcc, v[0:1], v[7:8]
	s_and_saveexec_b64 s[14:15], vcc
	s_cbranch_execz .LBB11_431
; %bb.428:
	s_mov_b64 s[16:17], 0
.LBB11_429:                             ; =>This Inner Loop Header: Depth=1
	s_sleep 1
	global_load_dwordx2 v[5:6], v4, s[6:7] offset:40
	global_load_dwordx2 v[9:10], v4, s[6:7]
	v_mov_b32_e32 v8, v1
	v_mov_b32_e32 v7, v0
	s_waitcnt vmcnt(1)
	v_and_b32_e32 v0, v5, v7
	s_waitcnt vmcnt(0)
	v_mad_u64_u32 v[0:1], s[18:19], v0, 24, v[9:10]
	v_and_b32_e32 v5, v6, v8
	v_mad_u64_u32 v[5:6], s[18:19], v5, 24, v[1:2]
	v_mov_b32_e32 v1, v5
	global_load_dwordx2 v[5:6], v[0:1], off glc
	s_waitcnt vmcnt(0)
	global_atomic_cmpswap_x2 v[0:1], v4, v[5:8], s[6:7] offset:24 glc
	s_waitcnt vmcnt(0)
	buffer_wbinvl1_vol
	v_cmp_eq_u64_e32 vcc, v[0:1], v[7:8]
	s_or_b64 s[16:17], vcc, s[16:17]
	s_andn2_b64 exec, exec, s[16:17]
	s_cbranch_execnz .LBB11_429
; %bb.430:
	s_or_b64 exec, exec, s[16:17]
.LBB11_431:
	s_or_b64 exec, exec, s[14:15]
.LBB11_432:
	s_or_b64 exec, exec, s[12:13]
	v_mov_b32_e32 v5, 0
	global_load_dwordx2 v[10:11], v5, s[6:7] offset:40
	global_load_dwordx4 v[6:9], v5, s[6:7]
	v_readfirstlane_b32 s12, v0
	v_readfirstlane_b32 s13, v1
	s_mov_b64 s[14:15], exec
	s_waitcnt vmcnt(1)
	v_readfirstlane_b32 s16, v10
	v_readfirstlane_b32 s17, v11
	s_and_b64 s[16:17], s[12:13], s[16:17]
	s_mul_i32 s18, s17, 24
	s_mul_hi_u32 s19, s16, 24
	s_mul_i32 s20, s16, 24
	s_add_i32 s18, s19, s18
	v_mov_b32_e32 v0, s18
	s_waitcnt vmcnt(0)
	v_add_co_u32_e32 v10, vcc, s20, v6
	v_addc_co_u32_e32 v11, vcc, v7, v0, vcc
	s_and_saveexec_b64 s[18:19], s[4:5]
	s_cbranch_execz .LBB11_434
; %bb.433:
	v_mov_b32_e32 v12, s14
	v_mov_b32_e32 v13, s15
	;; [unrolled: 1-line block ×4, first 2 shown]
	global_store_dwordx4 v[10:11], v[12:15], off offset:8
.LBB11_434:
	s_or_b64 exec, exec, s[18:19]
	s_lshl_b64 s[14:15], s[16:17], 12
	v_mov_b32_e32 v0, s15
	v_add_co_u32_e32 v1, vcc, s14, v8
	v_addc_co_u32_e32 v0, vcc, v9, v0, vcc
	s_movk_i32 s14, 0xff1d
	v_and_or_b32 v2, v2, s14, 34
	s_mov_b32 s16, 0
	v_mov_b32_e32 v4, 10
	v_readfirstlane_b32 s14, v1
	v_readfirstlane_b32 s15, v0
	s_mov_b32 s17, s16
	s_mov_b32 s18, s16
	;; [unrolled: 1-line block ×3, first 2 shown]
	s_nop 1
	global_store_dwordx4 v31, v[2:5], s[14:15]
	v_mov_b32_e32 v0, s16
	v_mov_b32_e32 v1, s17
	;; [unrolled: 1-line block ×4, first 2 shown]
	global_store_dwordx4 v31, v[0:3], s[14:15] offset:16
	global_store_dwordx4 v31, v[0:3], s[14:15] offset:32
	;; [unrolled: 1-line block ×3, first 2 shown]
	s_and_saveexec_b64 s[14:15], s[4:5]
	s_cbranch_execz .LBB11_442
; %bb.435:
	v_mov_b32_e32 v8, 0
	global_load_dwordx2 v[14:15], v8, s[6:7] offset:32 glc
	global_load_dwordx2 v[0:1], v8, s[6:7] offset:40
	v_mov_b32_e32 v12, s12
	v_mov_b32_e32 v13, s13
	s_waitcnt vmcnt(0)
	v_readfirstlane_b32 s16, v0
	v_readfirstlane_b32 s17, v1
	s_and_b64 s[16:17], s[16:17], s[12:13]
	s_mul_i32 s17, s17, 24
	s_mul_hi_u32 s18, s16, 24
	s_mul_i32 s16, s16, 24
	s_add_i32 s17, s18, s17
	v_mov_b32_e32 v0, s17
	v_add_co_u32_e32 v4, vcc, s16, v6
	v_addc_co_u32_e32 v5, vcc, v7, v0, vcc
	global_store_dwordx2 v[4:5], v[14:15], off
	s_waitcnt vmcnt(0)
	global_atomic_cmpswap_x2 v[2:3], v8, v[12:15], s[6:7] offset:32 glc
	s_waitcnt vmcnt(0)
	v_cmp_ne_u64_e32 vcc, v[2:3], v[14:15]
	s_and_saveexec_b64 s[16:17], vcc
	s_cbranch_execz .LBB11_438
; %bb.436:
	s_mov_b64 s[18:19], 0
.LBB11_437:                             ; =>This Inner Loop Header: Depth=1
	s_sleep 1
	global_store_dwordx2 v[4:5], v[2:3], off
	v_mov_b32_e32 v0, s12
	v_mov_b32_e32 v1, s13
	s_waitcnt vmcnt(0)
	global_atomic_cmpswap_x2 v[0:1], v8, v[0:3], s[6:7] offset:32 glc
	s_waitcnt vmcnt(0)
	v_cmp_eq_u64_e32 vcc, v[0:1], v[2:3]
	v_mov_b32_e32 v3, v1
	s_or_b64 s[18:19], vcc, s[18:19]
	v_mov_b32_e32 v2, v0
	s_andn2_b64 exec, exec, s[18:19]
	s_cbranch_execnz .LBB11_437
.LBB11_438:
	s_or_b64 exec, exec, s[16:17]
	v_mov_b32_e32 v3, 0
	global_load_dwordx2 v[0:1], v3, s[6:7] offset:16
	s_mov_b64 s[16:17], exec
	v_mbcnt_lo_u32_b32 v2, s16, 0
	v_mbcnt_hi_u32_b32 v2, s17, v2
	v_cmp_eq_u32_e32 vcc, 0, v2
	s_and_saveexec_b64 s[18:19], vcc
	s_cbranch_execz .LBB11_440
; %bb.439:
	s_bcnt1_i32_b64 s16, s[16:17]
	v_mov_b32_e32 v2, s16
	s_waitcnt vmcnt(0)
	global_atomic_add_x2 v[0:1], v[2:3], off offset:8
.LBB11_440:
	s_or_b64 exec, exec, s[18:19]
	s_waitcnt vmcnt(0)
	global_load_dwordx2 v[2:3], v[0:1], off offset:16
	s_waitcnt vmcnt(0)
	v_cmp_eq_u64_e32 vcc, 0, v[2:3]
	s_cbranch_vccnz .LBB11_442
; %bb.441:
	global_load_dword v0, v[0:1], off offset:24
	v_mov_b32_e32 v1, 0
	s_waitcnt vmcnt(0)
	global_store_dwordx2 v[2:3], v[0:1], off
	v_and_b32_e32 v0, 0xffffff, v0
	v_readfirstlane_b32 m0, v0
	s_sendmsg sendmsg(MSG_INTERRUPT)
.LBB11_442:
	s_or_b64 exec, exec, s[14:15]
	s_branch .LBB11_446
.LBB11_443:                             ;   in Loop: Header=BB11_446 Depth=1
	s_or_b64 exec, exec, s[14:15]
	v_readfirstlane_b32 s14, v0
	s_cmp_eq_u32 s14, 0
	s_cbranch_scc1 .LBB11_445
; %bb.444:                              ;   in Loop: Header=BB11_446 Depth=1
	s_sleep 1
	s_cbranch_execnz .LBB11_446
	s_branch .LBB11_448
.LBB11_445:
	s_branch .LBB11_448
.LBB11_446:                             ; =>This Inner Loop Header: Depth=1
	v_mov_b32_e32 v0, 1
	s_and_saveexec_b64 s[14:15], s[4:5]
	s_cbranch_execz .LBB11_443
; %bb.447:                              ;   in Loop: Header=BB11_446 Depth=1
	global_load_dword v0, v[10:11], off offset:20 glc
	s_waitcnt vmcnt(0)
	buffer_wbinvl1_vol
	v_and_b32_e32 v0, 1, v0
	s_branch .LBB11_443
.LBB11_448:
	s_and_saveexec_b64 s[14:15], s[4:5]
	s_cbranch_execz .LBB11_451
; %bb.449:
	v_mov_b32_e32 v6, 0
	global_load_dwordx2 v[2:3], v6, s[6:7] offset:40
	global_load_dwordx2 v[7:8], v6, s[6:7] offset:24 glc
	global_load_dwordx2 v[4:5], v6, s[6:7]
	v_mov_b32_e32 v1, s13
	s_mov_b64 s[4:5], 0
	s_waitcnt vmcnt(2)
	v_add_co_u32_e32 v9, vcc, 1, v2
	v_addc_co_u32_e32 v10, vcc, 0, v3, vcc
	v_add_co_u32_e32 v0, vcc, s12, v9
	v_addc_co_u32_e32 v1, vcc, v10, v1, vcc
	v_cmp_eq_u64_e32 vcc, 0, v[0:1]
	v_cndmask_b32_e32 v1, v1, v10, vcc
	v_cndmask_b32_e32 v0, v0, v9, vcc
	v_and_b32_e32 v3, v1, v3
	v_and_b32_e32 v2, v0, v2
	v_mul_lo_u32 v3, v3, 24
	v_mul_hi_u32 v9, v2, 24
	v_mul_lo_u32 v10, v2, 24
	s_waitcnt vmcnt(1)
	v_mov_b32_e32 v2, v7
	v_add_u32_e32 v3, v9, v3
	s_waitcnt vmcnt(0)
	v_add_co_u32_e32 v4, vcc, v4, v10
	v_addc_co_u32_e32 v5, vcc, v5, v3, vcc
	global_store_dwordx2 v[4:5], v[7:8], off
	v_mov_b32_e32 v3, v8
	s_waitcnt vmcnt(0)
	global_atomic_cmpswap_x2 v[2:3], v6, v[0:3], s[6:7] offset:24 glc
	s_waitcnt vmcnt(0)
	v_cmp_ne_u64_e32 vcc, v[2:3], v[7:8]
	s_and_b64 exec, exec, vcc
	s_cbranch_execz .LBB11_451
.LBB11_450:                             ; =>This Inner Loop Header: Depth=1
	s_sleep 1
	global_store_dwordx2 v[4:5], v[2:3], off
	s_waitcnt vmcnt(0)
	global_atomic_cmpswap_x2 v[7:8], v6, v[0:3], s[6:7] offset:24 glc
	s_waitcnt vmcnt(0)
	v_cmp_eq_u64_e32 vcc, v[7:8], v[2:3]
	v_mov_b32_e32 v2, v7
	s_or_b64 s[4:5], vcc, s[4:5]
	v_mov_b32_e32 v3, v8
	s_andn2_b64 exec, exec, s[4:5]
	s_cbranch_execnz .LBB11_450
.LBB11_451:
	s_or_b64 exec, exec, s[14:15]
	v_readfirstlane_b32 s4, v32
	v_mov_b32_e32 v5, 0
	v_mov_b32_e32 v6, 0
	v_cmp_eq_u32_e64 s[4:5], s4, v32
	s_and_saveexec_b64 s[12:13], s[4:5]
	s_cbranch_execz .LBB11_457
; %bb.452:
	v_mov_b32_e32 v0, 0
	global_load_dwordx2 v[3:4], v0, s[6:7] offset:24 glc
	s_waitcnt vmcnt(0)
	buffer_wbinvl1_vol
	global_load_dwordx2 v[1:2], v0, s[6:7] offset:40
	global_load_dwordx2 v[5:6], v0, s[6:7]
	s_waitcnt vmcnt(1)
	v_and_b32_e32 v1, v1, v3
	v_and_b32_e32 v2, v2, v4
	v_mul_lo_u32 v2, v2, 24
	v_mul_hi_u32 v7, v1, 24
	v_mul_lo_u32 v1, v1, 24
	v_add_u32_e32 v2, v7, v2
	s_waitcnt vmcnt(0)
	v_add_co_u32_e32 v1, vcc, v5, v1
	v_addc_co_u32_e32 v2, vcc, v6, v2, vcc
	global_load_dwordx2 v[1:2], v[1:2], off glc
	s_waitcnt vmcnt(0)
	global_atomic_cmpswap_x2 v[5:6], v0, v[1:4], s[6:7] offset:24 glc
	s_waitcnt vmcnt(0)
	buffer_wbinvl1_vol
	v_cmp_ne_u64_e32 vcc, v[5:6], v[3:4]
	s_and_saveexec_b64 s[14:15], vcc
	s_cbranch_execz .LBB11_456
; %bb.453:
	s_mov_b64 s[16:17], 0
.LBB11_454:                             ; =>This Inner Loop Header: Depth=1
	s_sleep 1
	global_load_dwordx2 v[1:2], v0, s[6:7] offset:40
	global_load_dwordx2 v[7:8], v0, s[6:7]
	v_mov_b32_e32 v3, v5
	v_mov_b32_e32 v4, v6
	s_waitcnt vmcnt(1)
	v_and_b32_e32 v1, v1, v3
	s_waitcnt vmcnt(0)
	v_mad_u64_u32 v[5:6], s[18:19], v1, 24, v[7:8]
	v_and_b32_e32 v2, v2, v4
	v_mov_b32_e32 v1, v6
	v_mad_u64_u32 v[1:2], s[18:19], v2, 24, v[1:2]
	v_mov_b32_e32 v6, v1
	global_load_dwordx2 v[1:2], v[5:6], off glc
	s_waitcnt vmcnt(0)
	global_atomic_cmpswap_x2 v[5:6], v0, v[1:4], s[6:7] offset:24 glc
	s_waitcnt vmcnt(0)
	buffer_wbinvl1_vol
	v_cmp_eq_u64_e32 vcc, v[5:6], v[3:4]
	s_or_b64 s[16:17], vcc, s[16:17]
	s_andn2_b64 exec, exec, s[16:17]
	s_cbranch_execnz .LBB11_454
; %bb.455:
	s_or_b64 exec, exec, s[16:17]
.LBB11_456:
	s_or_b64 exec, exec, s[14:15]
.LBB11_457:
	s_or_b64 exec, exec, s[12:13]
	v_mov_b32_e32 v4, 0
	global_load_dwordx2 v[7:8], v4, s[6:7] offset:40
	global_load_dwordx4 v[0:3], v4, s[6:7]
	v_readfirstlane_b32 s12, v5
	v_readfirstlane_b32 s13, v6
	s_mov_b64 s[14:15], exec
	s_waitcnt vmcnt(1)
	v_readfirstlane_b32 s16, v7
	v_readfirstlane_b32 s17, v8
	s_and_b64 s[16:17], s[12:13], s[16:17]
	s_mul_i32 s18, s17, 24
	s_mul_hi_u32 s19, s16, 24
	s_mul_i32 s20, s16, 24
	s_add_i32 s18, s19, s18
	v_mov_b32_e32 v5, s18
	s_waitcnt vmcnt(0)
	v_add_co_u32_e32 v7, vcc, s20, v0
	v_addc_co_u32_e32 v8, vcc, v1, v5, vcc
	s_and_saveexec_b64 s[18:19], s[4:5]
	s_cbranch_execz .LBB11_459
; %bb.458:
	v_mov_b32_e32 v9, s14
	v_mov_b32_e32 v10, s15
	;; [unrolled: 1-line block ×4, first 2 shown]
	global_store_dwordx4 v[7:8], v[9:12], off offset:8
.LBB11_459:
	s_or_b64 exec, exec, s[18:19]
	s_lshl_b64 s[14:15], s[16:17], 12
	v_mov_b32_e32 v5, s15
	v_add_co_u32_e32 v2, vcc, s14, v2
	v_addc_co_u32_e32 v11, vcc, v3, v5, vcc
	s_mov_b32 s16, 0
	v_mov_b32_e32 v3, 33
	v_mov_b32_e32 v5, v4
	v_mov_b32_e32 v6, v4
	v_readfirstlane_b32 s14, v2
	v_readfirstlane_b32 s15, v11
	v_add_co_u32_e32 v9, vcc, v2, v31
	s_mov_b32 s17, s16
	s_mov_b32 s18, s16
	;; [unrolled: 1-line block ×3, first 2 shown]
	s_nop 0
	global_store_dwordx4 v31, v[3:6], s[14:15]
	v_mov_b32_e32 v2, s16
	v_addc_co_u32_e32 v10, vcc, 0, v11, vcc
	v_mov_b32_e32 v3, s17
	v_mov_b32_e32 v4, s18
	;; [unrolled: 1-line block ×3, first 2 shown]
	global_store_dwordx4 v31, v[2:5], s[14:15] offset:16
	global_store_dwordx4 v31, v[2:5], s[14:15] offset:32
	;; [unrolled: 1-line block ×3, first 2 shown]
	s_and_saveexec_b64 s[14:15], s[4:5]
	s_cbranch_execz .LBB11_467
; %bb.460:
	v_mov_b32_e32 v6, 0
	global_load_dwordx2 v[13:14], v6, s[6:7] offset:32 glc
	global_load_dwordx2 v[2:3], v6, s[6:7] offset:40
	v_mov_b32_e32 v11, s12
	v_mov_b32_e32 v12, s13
	s_waitcnt vmcnt(0)
	v_readfirstlane_b32 s16, v2
	v_readfirstlane_b32 s17, v3
	s_and_b64 s[16:17], s[16:17], s[12:13]
	s_mul_i32 s17, s17, 24
	s_mul_hi_u32 s18, s16, 24
	s_mul_i32 s16, s16, 24
	s_add_i32 s17, s18, s17
	v_mov_b32_e32 v2, s17
	v_add_co_u32_e32 v4, vcc, s16, v0
	v_addc_co_u32_e32 v5, vcc, v1, v2, vcc
	global_store_dwordx2 v[4:5], v[13:14], off
	s_waitcnt vmcnt(0)
	global_atomic_cmpswap_x2 v[2:3], v6, v[11:14], s[6:7] offset:32 glc
	s_waitcnt vmcnt(0)
	v_cmp_ne_u64_e32 vcc, v[2:3], v[13:14]
	s_and_saveexec_b64 s[16:17], vcc
	s_cbranch_execz .LBB11_463
; %bb.461:
	s_mov_b64 s[18:19], 0
.LBB11_462:                             ; =>This Inner Loop Header: Depth=1
	s_sleep 1
	global_store_dwordx2 v[4:5], v[2:3], off
	v_mov_b32_e32 v0, s12
	v_mov_b32_e32 v1, s13
	s_waitcnt vmcnt(0)
	global_atomic_cmpswap_x2 v[0:1], v6, v[0:3], s[6:7] offset:32 glc
	s_waitcnt vmcnt(0)
	v_cmp_eq_u64_e32 vcc, v[0:1], v[2:3]
	v_mov_b32_e32 v3, v1
	s_or_b64 s[18:19], vcc, s[18:19]
	v_mov_b32_e32 v2, v0
	s_andn2_b64 exec, exec, s[18:19]
	s_cbranch_execnz .LBB11_462
.LBB11_463:
	s_or_b64 exec, exec, s[16:17]
	v_mov_b32_e32 v3, 0
	global_load_dwordx2 v[0:1], v3, s[6:7] offset:16
	s_mov_b64 s[16:17], exec
	v_mbcnt_lo_u32_b32 v2, s16, 0
	v_mbcnt_hi_u32_b32 v2, s17, v2
	v_cmp_eq_u32_e32 vcc, 0, v2
	s_and_saveexec_b64 s[18:19], vcc
	s_cbranch_execz .LBB11_465
; %bb.464:
	s_bcnt1_i32_b64 s16, s[16:17]
	v_mov_b32_e32 v2, s16
	s_waitcnt vmcnt(0)
	global_atomic_add_x2 v[0:1], v[2:3], off offset:8
.LBB11_465:
	s_or_b64 exec, exec, s[18:19]
	s_waitcnt vmcnt(0)
	global_load_dwordx2 v[2:3], v[0:1], off offset:16
	s_waitcnt vmcnt(0)
	v_cmp_eq_u64_e32 vcc, 0, v[2:3]
	s_cbranch_vccnz .LBB11_467
; %bb.466:
	global_load_dword v0, v[0:1], off offset:24
	v_mov_b32_e32 v1, 0
	s_waitcnt vmcnt(0)
	global_store_dwordx2 v[2:3], v[0:1], off
	v_and_b32_e32 v0, 0xffffff, v0
	v_readfirstlane_b32 m0, v0
	s_sendmsg sendmsg(MSG_INTERRUPT)
.LBB11_467:
	s_or_b64 exec, exec, s[14:15]
	s_branch .LBB11_471
.LBB11_468:                             ;   in Loop: Header=BB11_471 Depth=1
	s_or_b64 exec, exec, s[14:15]
	v_readfirstlane_b32 s14, v0
	s_cmp_eq_u32 s14, 0
	s_cbranch_scc1 .LBB11_470
; %bb.469:                              ;   in Loop: Header=BB11_471 Depth=1
	s_sleep 1
	s_cbranch_execnz .LBB11_471
	s_branch .LBB11_473
.LBB11_470:
	s_branch .LBB11_473
.LBB11_471:                             ; =>This Inner Loop Header: Depth=1
	v_mov_b32_e32 v0, 1
	s_and_saveexec_b64 s[14:15], s[4:5]
	s_cbranch_execz .LBB11_468
; %bb.472:                              ;   in Loop: Header=BB11_471 Depth=1
	global_load_dword v0, v[7:8], off offset:20 glc
	s_waitcnt vmcnt(0)
	buffer_wbinvl1_vol
	v_and_b32_e32 v0, 1, v0
	s_branch .LBB11_468
.LBB11_473:
	global_load_dwordx2 v[4:5], v[9:10], off
	s_and_saveexec_b64 s[14:15], s[4:5]
	s_cbranch_execz .LBB11_476
; %bb.474:
	v_mov_b32_e32 v8, 0
	global_load_dwordx2 v[2:3], v8, s[6:7] offset:40
	global_load_dwordx2 v[9:10], v8, s[6:7] offset:24 glc
	global_load_dwordx2 v[6:7], v8, s[6:7]
	v_mov_b32_e32 v1, s13
	s_mov_b64 s[4:5], 0
	s_waitcnt vmcnt(2)
	v_add_co_u32_e32 v11, vcc, 1, v2
	v_addc_co_u32_e32 v12, vcc, 0, v3, vcc
	v_add_co_u32_e32 v0, vcc, s12, v11
	v_addc_co_u32_e32 v1, vcc, v12, v1, vcc
	v_cmp_eq_u64_e32 vcc, 0, v[0:1]
	v_cndmask_b32_e32 v1, v1, v12, vcc
	v_cndmask_b32_e32 v0, v0, v11, vcc
	v_and_b32_e32 v3, v1, v3
	v_and_b32_e32 v2, v0, v2
	v_mul_lo_u32 v3, v3, 24
	v_mul_hi_u32 v11, v2, 24
	v_mul_lo_u32 v12, v2, 24
	s_waitcnt vmcnt(1)
	v_mov_b32_e32 v2, v9
	v_add_u32_e32 v3, v11, v3
	s_waitcnt vmcnt(0)
	v_add_co_u32_e32 v6, vcc, v6, v12
	v_addc_co_u32_e32 v7, vcc, v7, v3, vcc
	global_store_dwordx2 v[6:7], v[9:10], off
	v_mov_b32_e32 v3, v10
	s_waitcnt vmcnt(0)
	global_atomic_cmpswap_x2 v[2:3], v8, v[0:3], s[6:7] offset:24 glc
	s_waitcnt vmcnt(0)
	v_cmp_ne_u64_e32 vcc, v[2:3], v[9:10]
	s_and_b64 exec, exec, vcc
	s_cbranch_execz .LBB11_476
.LBB11_475:                             ; =>This Inner Loop Header: Depth=1
	s_sleep 1
	global_store_dwordx2 v[6:7], v[2:3], off
	s_waitcnt vmcnt(0)
	global_atomic_cmpswap_x2 v[9:10], v8, v[0:3], s[6:7] offset:24 glc
	s_waitcnt vmcnt(0)
	v_cmp_eq_u64_e32 vcc, v[9:10], v[2:3]
	v_mov_b32_e32 v2, v9
	s_or_b64 s[4:5], vcc, s[4:5]
	v_mov_b32_e32 v3, v10
	s_andn2_b64 exec, exec, s[4:5]
	s_cbranch_execnz .LBB11_475
.LBB11_476:
	s_or_b64 exec, exec, s[14:15]
	s_and_b64 vcc, exec, s[8:9]
	s_cbranch_vccz .LBB11_561
; %bb.477:
	s_waitcnt vmcnt(0)
	v_and_b32_e32 v29, 2, v4
	v_mov_b32_e32 v26, 0
	v_and_b32_e32 v0, -3, v4
	v_mov_b32_e32 v1, v5
	s_mov_b64 s[14:15], 3
	v_mov_b32_e32 v8, 2
	v_mov_b32_e32 v9, 1
	s_getpc_b64 s[12:13]
	s_add_u32 s12, s12, .str.5@rel32@lo+4
	s_addc_u32 s13, s13, .str.5@rel32@hi+12
	s_branch .LBB11_479
.LBB11_478:                             ;   in Loop: Header=BB11_479 Depth=1
	s_or_b64 exec, exec, s[20:21]
	s_sub_u32 s14, s14, s16
	s_subb_u32 s15, s15, s17
	s_add_u32 s12, s12, s16
	s_addc_u32 s13, s13, s17
	s_cmp_lg_u64 s[14:15], 0
	s_cbranch_scc0 .LBB11_560
.LBB11_479:                             ; =>This Loop Header: Depth=1
                                        ;     Child Loop BB11_482 Depth 2
                                        ;     Child Loop BB11_489 Depth 2
	;; [unrolled: 1-line block ×11, first 2 shown]
	v_cmp_lt_u64_e64 s[4:5], s[14:15], 56
	v_cmp_gt_u64_e64 s[18:19], s[14:15], 7
	s_and_b64 s[4:5], s[4:5], exec
	s_cselect_b32 s17, s15, 0
	s_cselect_b32 s16, s14, 56
	s_and_b64 vcc, exec, s[18:19]
	s_cbranch_vccnz .LBB11_484
; %bb.480:                              ;   in Loop: Header=BB11_479 Depth=1
	s_waitcnt vmcnt(0)
	v_mov_b32_e32 v2, 0
	s_cmp_eq_u64 s[14:15], 0
	v_mov_b32_e32 v3, 0
	s_mov_b64 s[4:5], 0
	s_cbranch_scc1 .LBB11_483
; %bb.481:                              ;   in Loop: Header=BB11_479 Depth=1
	v_mov_b32_e32 v2, 0
	s_lshl_b64 s[18:19], s[16:17], 3
	s_mov_b64 s[20:21], 0
	v_mov_b32_e32 v3, 0
	s_mov_b64 s[22:23], s[12:13]
.LBB11_482:                             ;   Parent Loop BB11_479 Depth=1
                                        ; =>  This Inner Loop Header: Depth=2
	global_load_ubyte v6, v26, s[22:23]
	s_waitcnt vmcnt(0)
	v_and_b32_e32 v25, 0xffff, v6
	v_lshlrev_b64 v[6:7], s20, v[25:26]
	s_add_u32 s20, s20, 8
	s_addc_u32 s21, s21, 0
	s_add_u32 s22, s22, 1
	s_addc_u32 s23, s23, 0
	v_or_b32_e32 v2, v6, v2
	s_cmp_lg_u32 s18, s20
	v_or_b32_e32 v3, v7, v3
	s_cbranch_scc1 .LBB11_482
.LBB11_483:                             ;   in Loop: Header=BB11_479 Depth=1
	s_mov_b32 s22, 0
	s_andn2_b64 vcc, exec, s[4:5]
	s_mov_b64 s[4:5], s[12:13]
	s_cbranch_vccz .LBB11_485
	s_branch .LBB11_486
.LBB11_484:                             ;   in Loop: Header=BB11_479 Depth=1
                                        ; implicit-def: $vgpr2_vgpr3
                                        ; implicit-def: $sgpr22
	s_mov_b64 s[4:5], s[12:13]
.LBB11_485:                             ;   in Loop: Header=BB11_479 Depth=1
	global_load_dwordx2 v[2:3], v26, s[12:13]
	s_add_i32 s22, s16, -8
	s_add_u32 s4, s12, 8
	s_addc_u32 s5, s13, 0
.LBB11_486:                             ;   in Loop: Header=BB11_479 Depth=1
	s_cmp_gt_u32 s22, 7
	s_cbranch_scc1 .LBB11_490
; %bb.487:                              ;   in Loop: Header=BB11_479 Depth=1
	s_cmp_eq_u32 s22, 0
	s_cbranch_scc1 .LBB11_491
; %bb.488:                              ;   in Loop: Header=BB11_479 Depth=1
	v_mov_b32_e32 v10, 0
	s_mov_b64 s[18:19], 0
	v_mov_b32_e32 v11, 0
	s_mov_b64 s[20:21], 0
.LBB11_489:                             ;   Parent Loop BB11_479 Depth=1
                                        ; =>  This Inner Loop Header: Depth=2
	s_add_u32 s24, s4, s20
	s_addc_u32 s25, s5, s21
	global_load_ubyte v6, v26, s[24:25]
	s_add_u32 s20, s20, 1
	s_addc_u32 s21, s21, 0
	s_waitcnt vmcnt(0)
	v_and_b32_e32 v25, 0xffff, v6
	v_lshlrev_b64 v[6:7], s18, v[25:26]
	s_add_u32 s18, s18, 8
	s_addc_u32 s19, s19, 0
	v_or_b32_e32 v10, v6, v10
	s_cmp_lg_u32 s22, s20
	v_or_b32_e32 v11, v7, v11
	s_cbranch_scc1 .LBB11_489
	s_branch .LBB11_492
.LBB11_490:                             ;   in Loop: Header=BB11_479 Depth=1
                                        ; implicit-def: $vgpr10_vgpr11
                                        ; implicit-def: $sgpr23
	s_branch .LBB11_493
.LBB11_491:                             ;   in Loop: Header=BB11_479 Depth=1
	v_mov_b32_e32 v10, 0
	v_mov_b32_e32 v11, 0
.LBB11_492:                             ;   in Loop: Header=BB11_479 Depth=1
	s_mov_b32 s23, 0
	s_cbranch_execnz .LBB11_494
.LBB11_493:                             ;   in Loop: Header=BB11_479 Depth=1
	global_load_dwordx2 v[10:11], v26, s[4:5]
	s_add_i32 s23, s22, -8
	s_add_u32 s4, s4, 8
	s_addc_u32 s5, s5, 0
.LBB11_494:                             ;   in Loop: Header=BB11_479 Depth=1
	s_cmp_gt_u32 s23, 7
	s_cbranch_scc1 .LBB11_498
; %bb.495:                              ;   in Loop: Header=BB11_479 Depth=1
	s_cmp_eq_u32 s23, 0
	s_cbranch_scc1 .LBB11_499
; %bb.496:                              ;   in Loop: Header=BB11_479 Depth=1
	v_mov_b32_e32 v12, 0
	s_mov_b64 s[18:19], 0
	v_mov_b32_e32 v13, 0
	s_mov_b64 s[20:21], 0
.LBB11_497:                             ;   Parent Loop BB11_479 Depth=1
                                        ; =>  This Inner Loop Header: Depth=2
	s_add_u32 s24, s4, s20
	s_addc_u32 s25, s5, s21
	global_load_ubyte v6, v26, s[24:25]
	s_add_u32 s20, s20, 1
	s_addc_u32 s21, s21, 0
	s_waitcnt vmcnt(0)
	v_and_b32_e32 v25, 0xffff, v6
	v_lshlrev_b64 v[6:7], s18, v[25:26]
	s_add_u32 s18, s18, 8
	s_addc_u32 s19, s19, 0
	v_or_b32_e32 v12, v6, v12
	s_cmp_lg_u32 s23, s20
	v_or_b32_e32 v13, v7, v13
	s_cbranch_scc1 .LBB11_497
	s_branch .LBB11_500
.LBB11_498:                             ;   in Loop: Header=BB11_479 Depth=1
                                        ; implicit-def: $sgpr22
	s_branch .LBB11_501
.LBB11_499:                             ;   in Loop: Header=BB11_479 Depth=1
	v_mov_b32_e32 v12, 0
	v_mov_b32_e32 v13, 0
.LBB11_500:                             ;   in Loop: Header=BB11_479 Depth=1
	s_mov_b32 s22, 0
	s_cbranch_execnz .LBB11_502
.LBB11_501:                             ;   in Loop: Header=BB11_479 Depth=1
	global_load_dwordx2 v[12:13], v26, s[4:5]
	s_add_i32 s22, s23, -8
	s_add_u32 s4, s4, 8
	s_addc_u32 s5, s5, 0
.LBB11_502:                             ;   in Loop: Header=BB11_479 Depth=1
	s_cmp_gt_u32 s22, 7
	s_cbranch_scc1 .LBB11_506
; %bb.503:                              ;   in Loop: Header=BB11_479 Depth=1
	s_cmp_eq_u32 s22, 0
	s_cbranch_scc1 .LBB11_507
; %bb.504:                              ;   in Loop: Header=BB11_479 Depth=1
	v_mov_b32_e32 v14, 0
	s_mov_b64 s[18:19], 0
	v_mov_b32_e32 v15, 0
	s_mov_b64 s[20:21], 0
.LBB11_505:                             ;   Parent Loop BB11_479 Depth=1
                                        ; =>  This Inner Loop Header: Depth=2
	s_add_u32 s24, s4, s20
	s_addc_u32 s25, s5, s21
	global_load_ubyte v6, v26, s[24:25]
	s_add_u32 s20, s20, 1
	s_addc_u32 s21, s21, 0
	s_waitcnt vmcnt(0)
	v_and_b32_e32 v25, 0xffff, v6
	v_lshlrev_b64 v[6:7], s18, v[25:26]
	s_add_u32 s18, s18, 8
	s_addc_u32 s19, s19, 0
	v_or_b32_e32 v14, v6, v14
	s_cmp_lg_u32 s22, s20
	v_or_b32_e32 v15, v7, v15
	s_cbranch_scc1 .LBB11_505
	s_branch .LBB11_508
.LBB11_506:                             ;   in Loop: Header=BB11_479 Depth=1
                                        ; implicit-def: $vgpr14_vgpr15
                                        ; implicit-def: $sgpr23
	s_branch .LBB11_509
.LBB11_507:                             ;   in Loop: Header=BB11_479 Depth=1
	v_mov_b32_e32 v14, 0
	v_mov_b32_e32 v15, 0
.LBB11_508:                             ;   in Loop: Header=BB11_479 Depth=1
	s_mov_b32 s23, 0
	s_cbranch_execnz .LBB11_510
.LBB11_509:                             ;   in Loop: Header=BB11_479 Depth=1
	global_load_dwordx2 v[14:15], v26, s[4:5]
	s_add_i32 s23, s22, -8
	s_add_u32 s4, s4, 8
	s_addc_u32 s5, s5, 0
.LBB11_510:                             ;   in Loop: Header=BB11_479 Depth=1
	s_cmp_gt_u32 s23, 7
	s_cbranch_scc1 .LBB11_514
; %bb.511:                              ;   in Loop: Header=BB11_479 Depth=1
	s_cmp_eq_u32 s23, 0
	s_cbranch_scc1 .LBB11_515
; %bb.512:                              ;   in Loop: Header=BB11_479 Depth=1
	v_mov_b32_e32 v16, 0
	s_mov_b64 s[18:19], 0
	v_mov_b32_e32 v17, 0
	s_mov_b64 s[20:21], 0
.LBB11_513:                             ;   Parent Loop BB11_479 Depth=1
                                        ; =>  This Inner Loop Header: Depth=2
	s_add_u32 s24, s4, s20
	s_addc_u32 s25, s5, s21
	global_load_ubyte v6, v26, s[24:25]
	s_add_u32 s20, s20, 1
	s_addc_u32 s21, s21, 0
	s_waitcnt vmcnt(0)
	v_and_b32_e32 v25, 0xffff, v6
	v_lshlrev_b64 v[6:7], s18, v[25:26]
	s_add_u32 s18, s18, 8
	s_addc_u32 s19, s19, 0
	v_or_b32_e32 v16, v6, v16
	s_cmp_lg_u32 s23, s20
	v_or_b32_e32 v17, v7, v17
	s_cbranch_scc1 .LBB11_513
	s_branch .LBB11_516
.LBB11_514:                             ;   in Loop: Header=BB11_479 Depth=1
                                        ; implicit-def: $sgpr22
	s_branch .LBB11_517
.LBB11_515:                             ;   in Loop: Header=BB11_479 Depth=1
	v_mov_b32_e32 v16, 0
	v_mov_b32_e32 v17, 0
.LBB11_516:                             ;   in Loop: Header=BB11_479 Depth=1
	s_mov_b32 s22, 0
	s_cbranch_execnz .LBB11_518
.LBB11_517:                             ;   in Loop: Header=BB11_479 Depth=1
	global_load_dwordx2 v[16:17], v26, s[4:5]
	s_add_i32 s22, s23, -8
	s_add_u32 s4, s4, 8
	s_addc_u32 s5, s5, 0
.LBB11_518:                             ;   in Loop: Header=BB11_479 Depth=1
	s_cmp_gt_u32 s22, 7
	s_cbranch_scc1 .LBB11_522
; %bb.519:                              ;   in Loop: Header=BB11_479 Depth=1
	s_cmp_eq_u32 s22, 0
	s_cbranch_scc1 .LBB11_523
; %bb.520:                              ;   in Loop: Header=BB11_479 Depth=1
	v_mov_b32_e32 v18, 0
	s_mov_b64 s[18:19], 0
	v_mov_b32_e32 v19, 0
	s_mov_b64 s[20:21], 0
.LBB11_521:                             ;   Parent Loop BB11_479 Depth=1
                                        ; =>  This Inner Loop Header: Depth=2
	s_add_u32 s24, s4, s20
	s_addc_u32 s25, s5, s21
	global_load_ubyte v6, v26, s[24:25]
	s_add_u32 s20, s20, 1
	s_addc_u32 s21, s21, 0
	s_waitcnt vmcnt(0)
	v_and_b32_e32 v25, 0xffff, v6
	v_lshlrev_b64 v[6:7], s18, v[25:26]
	s_add_u32 s18, s18, 8
	s_addc_u32 s19, s19, 0
	v_or_b32_e32 v18, v6, v18
	s_cmp_lg_u32 s22, s20
	v_or_b32_e32 v19, v7, v19
	s_cbranch_scc1 .LBB11_521
	s_branch .LBB11_524
.LBB11_522:                             ;   in Loop: Header=BB11_479 Depth=1
                                        ; implicit-def: $vgpr18_vgpr19
                                        ; implicit-def: $sgpr23
	s_branch .LBB11_525
.LBB11_523:                             ;   in Loop: Header=BB11_479 Depth=1
	v_mov_b32_e32 v18, 0
	v_mov_b32_e32 v19, 0
.LBB11_524:                             ;   in Loop: Header=BB11_479 Depth=1
	s_mov_b32 s23, 0
	s_cbranch_execnz .LBB11_526
.LBB11_525:                             ;   in Loop: Header=BB11_479 Depth=1
	global_load_dwordx2 v[18:19], v26, s[4:5]
	s_add_i32 s23, s22, -8
	s_add_u32 s4, s4, 8
	s_addc_u32 s5, s5, 0
.LBB11_526:                             ;   in Loop: Header=BB11_479 Depth=1
	s_cmp_gt_u32 s23, 7
	s_cbranch_scc1 .LBB11_530
; %bb.527:                              ;   in Loop: Header=BB11_479 Depth=1
	s_cmp_eq_u32 s23, 0
	s_cbranch_scc1 .LBB11_531
; %bb.528:                              ;   in Loop: Header=BB11_479 Depth=1
	v_mov_b32_e32 v20, 0
	s_mov_b64 s[18:19], 0
	v_mov_b32_e32 v21, 0
	s_mov_b64 s[20:21], s[4:5]
.LBB11_529:                             ;   Parent Loop BB11_479 Depth=1
                                        ; =>  This Inner Loop Header: Depth=2
	global_load_ubyte v6, v26, s[20:21]
	s_add_i32 s23, s23, -1
	s_waitcnt vmcnt(0)
	v_and_b32_e32 v25, 0xffff, v6
	v_lshlrev_b64 v[6:7], s18, v[25:26]
	s_add_u32 s18, s18, 8
	s_addc_u32 s19, s19, 0
	s_add_u32 s20, s20, 1
	s_addc_u32 s21, s21, 0
	v_or_b32_e32 v20, v6, v20
	s_cmp_lg_u32 s23, 0
	v_or_b32_e32 v21, v7, v21
	s_cbranch_scc1 .LBB11_529
	s_branch .LBB11_532
.LBB11_530:                             ;   in Loop: Header=BB11_479 Depth=1
	s_branch .LBB11_533
.LBB11_531:                             ;   in Loop: Header=BB11_479 Depth=1
	v_mov_b32_e32 v20, 0
	v_mov_b32_e32 v21, 0
.LBB11_532:                             ;   in Loop: Header=BB11_479 Depth=1
	s_cbranch_execnz .LBB11_534
.LBB11_533:                             ;   in Loop: Header=BB11_479 Depth=1
	global_load_dwordx2 v[20:21], v26, s[4:5]
.LBB11_534:                             ;   in Loop: Header=BB11_479 Depth=1
	v_readfirstlane_b32 s4, v32
	v_mov_b32_e32 v6, 0
	v_mov_b32_e32 v7, 0
	v_cmp_eq_u32_e64 s[4:5], s4, v32
	s_and_saveexec_b64 s[18:19], s[4:5]
	s_cbranch_execz .LBB11_540
; %bb.535:                              ;   in Loop: Header=BB11_479 Depth=1
	global_load_dwordx2 v[24:25], v26, s[6:7] offset:24 glc
	s_waitcnt vmcnt(0)
	buffer_wbinvl1_vol
	global_load_dwordx2 v[6:7], v26, s[6:7] offset:40
	global_load_dwordx2 v[22:23], v26, s[6:7]
	s_waitcnt vmcnt(1)
	v_and_b32_e32 v6, v6, v24
	v_and_b32_e32 v7, v7, v25
	v_mul_lo_u32 v7, v7, 24
	v_mul_hi_u32 v27, v6, 24
	v_mul_lo_u32 v6, v6, 24
	v_add_u32_e32 v7, v27, v7
	s_waitcnt vmcnt(0)
	v_add_co_u32_e32 v6, vcc, v22, v6
	v_addc_co_u32_e32 v7, vcc, v23, v7, vcc
	global_load_dwordx2 v[22:23], v[6:7], off glc
	s_waitcnt vmcnt(0)
	global_atomic_cmpswap_x2 v[6:7], v26, v[22:25], s[6:7] offset:24 glc
	s_waitcnt vmcnt(0)
	buffer_wbinvl1_vol
	v_cmp_ne_u64_e32 vcc, v[6:7], v[24:25]
	s_and_saveexec_b64 s[20:21], vcc
	s_cbranch_execz .LBB11_539
; %bb.536:                              ;   in Loop: Header=BB11_479 Depth=1
	s_mov_b64 s[22:23], 0
.LBB11_537:                             ;   Parent Loop BB11_479 Depth=1
                                        ; =>  This Inner Loop Header: Depth=2
	s_sleep 1
	global_load_dwordx2 v[22:23], v26, s[6:7] offset:40
	global_load_dwordx2 v[27:28], v26, s[6:7]
	v_mov_b32_e32 v25, v7
	v_mov_b32_e32 v24, v6
	s_waitcnt vmcnt(1)
	v_and_b32_e32 v6, v22, v24
	s_waitcnt vmcnt(0)
	v_mad_u64_u32 v[6:7], s[24:25], v6, 24, v[27:28]
	v_and_b32_e32 v22, v23, v25
	v_mad_u64_u32 v[22:23], s[24:25], v22, 24, v[7:8]
	v_mov_b32_e32 v7, v22
	global_load_dwordx2 v[22:23], v[6:7], off glc
	s_waitcnt vmcnt(0)
	global_atomic_cmpswap_x2 v[6:7], v26, v[22:25], s[6:7] offset:24 glc
	s_waitcnt vmcnt(0)
	buffer_wbinvl1_vol
	v_cmp_eq_u64_e32 vcc, v[6:7], v[24:25]
	s_or_b64 s[22:23], vcc, s[22:23]
	s_andn2_b64 exec, exec, s[22:23]
	s_cbranch_execnz .LBB11_537
; %bb.538:                              ;   in Loop: Header=BB11_479 Depth=1
	s_or_b64 exec, exec, s[22:23]
.LBB11_539:                             ;   in Loop: Header=BB11_479 Depth=1
	s_or_b64 exec, exec, s[20:21]
.LBB11_540:                             ;   in Loop: Header=BB11_479 Depth=1
	s_or_b64 exec, exec, s[18:19]
	global_load_dwordx2 v[27:28], v26, s[6:7] offset:40
	global_load_dwordx4 v[22:25], v26, s[6:7]
	v_readfirstlane_b32 s18, v6
	v_readfirstlane_b32 s19, v7
	s_mov_b64 s[20:21], exec
	s_waitcnt vmcnt(1)
	v_readfirstlane_b32 s22, v27
	v_readfirstlane_b32 s23, v28
	s_and_b64 s[22:23], s[18:19], s[22:23]
	s_mul_i32 s24, s23, 24
	s_mul_hi_u32 s25, s22, 24
	s_mul_i32 s26, s22, 24
	s_add_i32 s24, s25, s24
	v_mov_b32_e32 v6, s24
	s_waitcnt vmcnt(0)
	v_add_co_u32_e32 v27, vcc, s26, v22
	v_addc_co_u32_e32 v28, vcc, v23, v6, vcc
	s_and_saveexec_b64 s[24:25], s[4:5]
	s_cbranch_execz .LBB11_542
; %bb.541:                              ;   in Loop: Header=BB11_479 Depth=1
	v_mov_b32_e32 v6, s20
	v_mov_b32_e32 v7, s21
	global_store_dwordx4 v[27:28], v[6:9], off offset:8
.LBB11_542:                             ;   in Loop: Header=BB11_479 Depth=1
	s_or_b64 exec, exec, s[24:25]
	s_lshl_b64 s[20:21], s[22:23], 12
	v_mov_b32_e32 v6, s21
	v_add_co_u32_e32 v24, vcc, s20, v24
	v_addc_co_u32_e32 v30, vcc, v25, v6, vcc
	v_cmp_gt_u64_e64 vcc, s[14:15], 56
	v_or_b32_e32 v7, v0, v29
	s_lshl_b32 s20, s16, 2
	v_cndmask_b32_e32 v0, v7, v0, vcc
	s_add_i32 s20, s20, 28
	v_or_b32_e32 v6, 0, v1
	s_and_b32 s20, s20, 0x1e0
	v_and_b32_e32 v0, 0xffffff1f, v0
	v_cndmask_b32_e32 v1, v6, v1, vcc
	v_or_b32_e32 v0, s20, v0
	v_readfirstlane_b32 s20, v24
	v_readfirstlane_b32 s21, v30
	s_nop 4
	global_store_dwordx4 v31, v[0:3], s[20:21]
	global_store_dwordx4 v31, v[10:13], s[20:21] offset:16
	global_store_dwordx4 v31, v[14:17], s[20:21] offset:32
	;; [unrolled: 1-line block ×3, first 2 shown]
	s_and_saveexec_b64 s[20:21], s[4:5]
	s_cbranch_execz .LBB11_550
; %bb.543:                              ;   in Loop: Header=BB11_479 Depth=1
	global_load_dwordx2 v[12:13], v26, s[6:7] offset:32 glc
	global_load_dwordx2 v[0:1], v26, s[6:7] offset:40
	v_mov_b32_e32 v10, s18
	v_mov_b32_e32 v11, s19
	s_waitcnt vmcnt(0)
	v_readfirstlane_b32 s22, v0
	v_readfirstlane_b32 s23, v1
	s_and_b64 s[22:23], s[22:23], s[18:19]
	s_mul_i32 s23, s23, 24
	s_mul_hi_u32 s24, s22, 24
	s_mul_i32 s22, s22, 24
	s_add_i32 s23, s24, s23
	v_mov_b32_e32 v0, s23
	v_add_co_u32_e32 v6, vcc, s22, v22
	v_addc_co_u32_e32 v7, vcc, v23, v0, vcc
	global_store_dwordx2 v[6:7], v[12:13], off
	s_waitcnt vmcnt(0)
	global_atomic_cmpswap_x2 v[2:3], v26, v[10:13], s[6:7] offset:32 glc
	s_waitcnt vmcnt(0)
	v_cmp_ne_u64_e32 vcc, v[2:3], v[12:13]
	s_and_saveexec_b64 s[22:23], vcc
	s_cbranch_execz .LBB11_546
; %bb.544:                              ;   in Loop: Header=BB11_479 Depth=1
	s_mov_b64 s[24:25], 0
.LBB11_545:                             ;   Parent Loop BB11_479 Depth=1
                                        ; =>  This Inner Loop Header: Depth=2
	s_sleep 1
	global_store_dwordx2 v[6:7], v[2:3], off
	v_mov_b32_e32 v0, s18
	v_mov_b32_e32 v1, s19
	s_waitcnt vmcnt(0)
	global_atomic_cmpswap_x2 v[0:1], v26, v[0:3], s[6:7] offset:32 glc
	s_waitcnt vmcnt(0)
	v_cmp_eq_u64_e32 vcc, v[0:1], v[2:3]
	v_mov_b32_e32 v3, v1
	s_or_b64 s[24:25], vcc, s[24:25]
	v_mov_b32_e32 v2, v0
	s_andn2_b64 exec, exec, s[24:25]
	s_cbranch_execnz .LBB11_545
.LBB11_546:                             ;   in Loop: Header=BB11_479 Depth=1
	s_or_b64 exec, exec, s[22:23]
	global_load_dwordx2 v[0:1], v26, s[6:7] offset:16
	s_mov_b64 s[24:25], exec
	v_mbcnt_lo_u32_b32 v2, s24, 0
	v_mbcnt_hi_u32_b32 v2, s25, v2
	v_cmp_eq_u32_e32 vcc, 0, v2
	s_and_saveexec_b64 s[22:23], vcc
	s_cbranch_execz .LBB11_548
; %bb.547:                              ;   in Loop: Header=BB11_479 Depth=1
	s_bcnt1_i32_b64 s24, s[24:25]
	v_mov_b32_e32 v25, s24
	s_waitcnt vmcnt(0)
	global_atomic_add_x2 v[0:1], v[25:26], off offset:8
.LBB11_548:                             ;   in Loop: Header=BB11_479 Depth=1
	s_or_b64 exec, exec, s[22:23]
	s_waitcnt vmcnt(0)
	global_load_dwordx2 v[2:3], v[0:1], off offset:16
	s_waitcnt vmcnt(0)
	v_cmp_eq_u64_e32 vcc, 0, v[2:3]
	s_cbranch_vccnz .LBB11_550
; %bb.549:                              ;   in Loop: Header=BB11_479 Depth=1
	global_load_dword v25, v[0:1], off offset:24
	s_waitcnt vmcnt(0)
	v_and_b32_e32 v0, 0xffffff, v25
	v_readfirstlane_b32 m0, v0
	global_store_dwordx2 v[2:3], v[25:26], off
	s_sendmsg sendmsg(MSG_INTERRUPT)
.LBB11_550:                             ;   in Loop: Header=BB11_479 Depth=1
	s_or_b64 exec, exec, s[20:21]
	v_add_co_u32_e32 v0, vcc, v24, v31
	v_addc_co_u32_e32 v1, vcc, 0, v30, vcc
	s_branch .LBB11_554
.LBB11_551:                             ;   in Loop: Header=BB11_554 Depth=2
	s_or_b64 exec, exec, s[20:21]
	v_readfirstlane_b32 s20, v2
	s_cmp_eq_u32 s20, 0
	s_cbranch_scc1 .LBB11_553
; %bb.552:                              ;   in Loop: Header=BB11_554 Depth=2
	s_sleep 1
	s_cbranch_execnz .LBB11_554
	s_branch .LBB11_556
.LBB11_553:                             ;   in Loop: Header=BB11_479 Depth=1
	s_branch .LBB11_556
.LBB11_554:                             ;   Parent Loop BB11_479 Depth=1
                                        ; =>  This Inner Loop Header: Depth=2
	v_mov_b32_e32 v2, 1
	s_and_saveexec_b64 s[20:21], s[4:5]
	s_cbranch_execz .LBB11_551
; %bb.555:                              ;   in Loop: Header=BB11_554 Depth=2
	global_load_dword v2, v[27:28], off offset:20 glc
	s_waitcnt vmcnt(0)
	buffer_wbinvl1_vol
	v_and_b32_e32 v2, 1, v2
	s_branch .LBB11_551
.LBB11_556:                             ;   in Loop: Header=BB11_479 Depth=1
	global_load_dwordx4 v[0:3], v[0:1], off
	s_and_saveexec_b64 s[20:21], s[4:5]
	s_cbranch_execz .LBB11_478
; %bb.557:                              ;   in Loop: Header=BB11_479 Depth=1
	global_load_dwordx2 v[2:3], v26, s[6:7] offset:40
	global_load_dwordx2 v[6:7], v26, s[6:7] offset:24 glc
	global_load_dwordx2 v[13:14], v26, s[6:7]
	v_mov_b32_e32 v11, s19
	s_waitcnt vmcnt(2)
	v_add_co_u32_e32 v12, vcc, 1, v2
	v_addc_co_u32_e32 v15, vcc, 0, v3, vcc
	v_add_co_u32_e32 v10, vcc, s18, v12
	v_addc_co_u32_e32 v11, vcc, v15, v11, vcc
	v_cmp_eq_u64_e32 vcc, 0, v[10:11]
	v_cndmask_b32_e32 v11, v11, v15, vcc
	v_cndmask_b32_e32 v10, v10, v12, vcc
	v_and_b32_e32 v3, v11, v3
	v_and_b32_e32 v2, v10, v2
	v_mul_lo_u32 v3, v3, 24
	v_mul_hi_u32 v15, v2, 24
	v_mul_lo_u32 v2, v2, 24
	s_waitcnt vmcnt(1)
	v_mov_b32_e32 v12, v6
	v_add_u32_e32 v3, v15, v3
	s_waitcnt vmcnt(0)
	v_add_co_u32_e32 v2, vcc, v13, v2
	v_addc_co_u32_e32 v3, vcc, v14, v3, vcc
	global_store_dwordx2 v[2:3], v[6:7], off
	v_mov_b32_e32 v13, v7
	s_waitcnt vmcnt(0)
	global_atomic_cmpswap_x2 v[12:13], v26, v[10:13], s[6:7] offset:24 glc
	s_waitcnt vmcnt(0)
	v_cmp_ne_u64_e32 vcc, v[12:13], v[6:7]
	s_and_b64 exec, exec, vcc
	s_cbranch_execz .LBB11_478
; %bb.558:                              ;   in Loop: Header=BB11_479 Depth=1
	s_mov_b64 s[4:5], 0
.LBB11_559:                             ;   Parent Loop BB11_479 Depth=1
                                        ; =>  This Inner Loop Header: Depth=2
	s_sleep 1
	global_store_dwordx2 v[2:3], v[12:13], off
	s_waitcnt vmcnt(0)
	global_atomic_cmpswap_x2 v[6:7], v26, v[10:13], s[6:7] offset:24 glc
	s_waitcnt vmcnt(0)
	v_cmp_eq_u64_e32 vcc, v[6:7], v[12:13]
	v_mov_b32_e32 v13, v7
	s_or_b64 s[4:5], vcc, s[4:5]
	v_mov_b32_e32 v12, v6
	s_andn2_b64 exec, exec, s[4:5]
	s_cbranch_execnz .LBB11_559
	s_branch .LBB11_478
.LBB11_560:
	s_mov_b64 s[4:5], 0
	s_branch .LBB11_562
.LBB11_561:
	s_mov_b64 s[4:5], -1
                                        ; implicit-def: $vgpr0_vgpr1
.LBB11_562:
	s_and_b64 vcc, exec, s[4:5]
	s_cbranch_vccz .LBB11_589
; %bb.563:
	v_readfirstlane_b32 s4, v32
	v_mov_b32_e32 v7, 0
	v_mov_b32_e32 v8, 0
	v_cmp_eq_u32_e64 s[4:5], s4, v32
	s_and_saveexec_b64 s[12:13], s[4:5]
	s_cbranch_execz .LBB11_569
; %bb.564:
	s_waitcnt vmcnt(0)
	v_mov_b32_e32 v0, 0
	global_load_dwordx2 v[9:10], v0, s[6:7] offset:24 glc
	s_waitcnt vmcnt(0)
	buffer_wbinvl1_vol
	global_load_dwordx2 v[1:2], v0, s[6:7] offset:40
	global_load_dwordx2 v[6:7], v0, s[6:7]
	s_waitcnt vmcnt(1)
	v_and_b32_e32 v1, v1, v9
	v_and_b32_e32 v2, v2, v10
	v_mul_lo_u32 v2, v2, 24
	v_mul_hi_u32 v3, v1, 24
	v_mul_lo_u32 v1, v1, 24
	v_add_u32_e32 v2, v3, v2
	s_waitcnt vmcnt(0)
	v_add_co_u32_e32 v1, vcc, v6, v1
	v_addc_co_u32_e32 v2, vcc, v7, v2, vcc
	global_load_dwordx2 v[7:8], v[1:2], off glc
	s_waitcnt vmcnt(0)
	global_atomic_cmpswap_x2 v[7:8], v0, v[7:10], s[6:7] offset:24 glc
	s_waitcnt vmcnt(0)
	buffer_wbinvl1_vol
	v_cmp_ne_u64_e32 vcc, v[7:8], v[9:10]
	s_and_saveexec_b64 s[14:15], vcc
	s_cbranch_execz .LBB11_568
; %bb.565:
	s_mov_b64 s[16:17], 0
.LBB11_566:                             ; =>This Inner Loop Header: Depth=1
	s_sleep 1
	global_load_dwordx2 v[1:2], v0, s[6:7] offset:40
	global_load_dwordx2 v[11:12], v0, s[6:7]
	v_mov_b32_e32 v10, v8
	v_mov_b32_e32 v9, v7
	s_waitcnt vmcnt(1)
	v_and_b32_e32 v1, v1, v9
	s_waitcnt vmcnt(0)
	v_mad_u64_u32 v[6:7], s[18:19], v1, 24, v[11:12]
	v_and_b32_e32 v2, v2, v10
	v_mov_b32_e32 v1, v7
	v_mad_u64_u32 v[1:2], s[18:19], v2, 24, v[1:2]
	v_mov_b32_e32 v7, v1
	global_load_dwordx2 v[7:8], v[6:7], off glc
	s_waitcnt vmcnt(0)
	global_atomic_cmpswap_x2 v[7:8], v0, v[7:10], s[6:7] offset:24 glc
	s_waitcnt vmcnt(0)
	buffer_wbinvl1_vol
	v_cmp_eq_u64_e32 vcc, v[7:8], v[9:10]
	s_or_b64 s[16:17], vcc, s[16:17]
	s_andn2_b64 exec, exec, s[16:17]
	s_cbranch_execnz .LBB11_566
; %bb.567:
	s_or_b64 exec, exec, s[16:17]
.LBB11_568:
	s_or_b64 exec, exec, s[14:15]
.LBB11_569:
	s_or_b64 exec, exec, s[12:13]
	v_mov_b32_e32 v6, 0
	global_load_dwordx2 v[9:10], v6, s[6:7] offset:40
	global_load_dwordx4 v[0:3], v6, s[6:7]
	v_readfirstlane_b32 s12, v7
	v_readfirstlane_b32 s13, v8
	s_mov_b64 s[14:15], exec
	s_waitcnt vmcnt(1)
	v_readfirstlane_b32 s16, v9
	v_readfirstlane_b32 s17, v10
	s_and_b64 s[16:17], s[12:13], s[16:17]
	s_mul_i32 s18, s17, 24
	s_mul_hi_u32 s19, s16, 24
	s_mul_i32 s20, s16, 24
	s_add_i32 s18, s19, s18
	v_mov_b32_e32 v7, s18
	s_waitcnt vmcnt(0)
	v_add_co_u32_e32 v8, vcc, s20, v0
	v_addc_co_u32_e32 v9, vcc, v1, v7, vcc
	s_and_saveexec_b64 s[18:19], s[4:5]
	s_cbranch_execz .LBB11_571
; %bb.570:
	v_mov_b32_e32 v10, s14
	v_mov_b32_e32 v11, s15
	;; [unrolled: 1-line block ×4, first 2 shown]
	global_store_dwordx4 v[8:9], v[10:13], off offset:8
.LBB11_571:
	s_or_b64 exec, exec, s[18:19]
	s_lshl_b64 s[14:15], s[16:17], 12
	v_mov_b32_e32 v7, s15
	v_add_co_u32_e32 v2, vcc, s14, v2
	v_addc_co_u32_e32 v3, vcc, v3, v7, vcc
	s_movk_i32 s14, 0xff1f
	v_and_or_b32 v4, v4, s14, 32
	v_add_co_u32_e32 v10, vcc, v2, v31
	s_mov_b32 s16, 0
	v_mov_b32_e32 v7, v6
	v_readfirstlane_b32 s14, v2
	v_readfirstlane_b32 s15, v3
	v_addc_co_u32_e32 v11, vcc, 0, v3, vcc
	s_mov_b32 s17, s16
	s_mov_b32 s18, s16
	;; [unrolled: 1-line block ×3, first 2 shown]
	s_nop 0
	global_store_dwordx4 v31, v[4:7], s[14:15]
	v_mov_b32_e32 v2, s16
	v_mov_b32_e32 v3, s17
	;; [unrolled: 1-line block ×4, first 2 shown]
	global_store_dwordx4 v31, v[2:5], s[14:15] offset:16
	global_store_dwordx4 v31, v[2:5], s[14:15] offset:32
	;; [unrolled: 1-line block ×3, first 2 shown]
	s_and_saveexec_b64 s[14:15], s[4:5]
	s_cbranch_execz .LBB11_579
; %bb.572:
	v_mov_b32_e32 v6, 0
	global_load_dwordx2 v[14:15], v6, s[6:7] offset:32 glc
	global_load_dwordx2 v[2:3], v6, s[6:7] offset:40
	v_mov_b32_e32 v12, s12
	v_mov_b32_e32 v13, s13
	s_waitcnt vmcnt(0)
	v_readfirstlane_b32 s16, v2
	v_readfirstlane_b32 s17, v3
	s_and_b64 s[16:17], s[16:17], s[12:13]
	s_mul_i32 s17, s17, 24
	s_mul_hi_u32 s18, s16, 24
	s_mul_i32 s16, s16, 24
	s_add_i32 s17, s18, s17
	v_mov_b32_e32 v2, s17
	v_add_co_u32_e32 v4, vcc, s16, v0
	v_addc_co_u32_e32 v5, vcc, v1, v2, vcc
	global_store_dwordx2 v[4:5], v[14:15], off
	s_waitcnt vmcnt(0)
	global_atomic_cmpswap_x2 v[2:3], v6, v[12:15], s[6:7] offset:32 glc
	s_waitcnt vmcnt(0)
	v_cmp_ne_u64_e32 vcc, v[2:3], v[14:15]
	s_and_saveexec_b64 s[16:17], vcc
	s_cbranch_execz .LBB11_575
; %bb.573:
	s_mov_b64 s[18:19], 0
.LBB11_574:                             ; =>This Inner Loop Header: Depth=1
	s_sleep 1
	global_store_dwordx2 v[4:5], v[2:3], off
	v_mov_b32_e32 v0, s12
	v_mov_b32_e32 v1, s13
	s_waitcnt vmcnt(0)
	global_atomic_cmpswap_x2 v[0:1], v6, v[0:3], s[6:7] offset:32 glc
	s_waitcnt vmcnt(0)
	v_cmp_eq_u64_e32 vcc, v[0:1], v[2:3]
	v_mov_b32_e32 v3, v1
	s_or_b64 s[18:19], vcc, s[18:19]
	v_mov_b32_e32 v2, v0
	s_andn2_b64 exec, exec, s[18:19]
	s_cbranch_execnz .LBB11_574
.LBB11_575:
	s_or_b64 exec, exec, s[16:17]
	v_mov_b32_e32 v3, 0
	global_load_dwordx2 v[0:1], v3, s[6:7] offset:16
	s_mov_b64 s[16:17], exec
	v_mbcnt_lo_u32_b32 v2, s16, 0
	v_mbcnt_hi_u32_b32 v2, s17, v2
	v_cmp_eq_u32_e32 vcc, 0, v2
	s_and_saveexec_b64 s[18:19], vcc
	s_cbranch_execz .LBB11_577
; %bb.576:
	s_bcnt1_i32_b64 s16, s[16:17]
	v_mov_b32_e32 v2, s16
	s_waitcnt vmcnt(0)
	global_atomic_add_x2 v[0:1], v[2:3], off offset:8
.LBB11_577:
	s_or_b64 exec, exec, s[18:19]
	s_waitcnt vmcnt(0)
	global_load_dwordx2 v[2:3], v[0:1], off offset:16
	s_waitcnt vmcnt(0)
	v_cmp_eq_u64_e32 vcc, 0, v[2:3]
	s_cbranch_vccnz .LBB11_579
; %bb.578:
	global_load_dword v0, v[0:1], off offset:24
	v_mov_b32_e32 v1, 0
	s_waitcnt vmcnt(0)
	global_store_dwordx2 v[2:3], v[0:1], off
	v_and_b32_e32 v0, 0xffffff, v0
	v_readfirstlane_b32 m0, v0
	s_sendmsg sendmsg(MSG_INTERRUPT)
.LBB11_579:
	s_or_b64 exec, exec, s[14:15]
	s_branch .LBB11_583
.LBB11_580:                             ;   in Loop: Header=BB11_583 Depth=1
	s_or_b64 exec, exec, s[14:15]
	v_readfirstlane_b32 s14, v0
	s_cmp_eq_u32 s14, 0
	s_cbranch_scc1 .LBB11_582
; %bb.581:                              ;   in Loop: Header=BB11_583 Depth=1
	s_sleep 1
	s_cbranch_execnz .LBB11_583
	s_branch .LBB11_585
.LBB11_582:
	s_branch .LBB11_585
.LBB11_583:                             ; =>This Inner Loop Header: Depth=1
	v_mov_b32_e32 v0, 1
	s_and_saveexec_b64 s[14:15], s[4:5]
	s_cbranch_execz .LBB11_580
; %bb.584:                              ;   in Loop: Header=BB11_583 Depth=1
	global_load_dword v0, v[8:9], off offset:20 glc
	s_waitcnt vmcnt(0)
	buffer_wbinvl1_vol
	v_and_b32_e32 v0, 1, v0
	s_branch .LBB11_580
.LBB11_585:
	global_load_dwordx2 v[0:1], v[10:11], off
	s_and_saveexec_b64 s[14:15], s[4:5]
	s_cbranch_execz .LBB11_588
; %bb.586:
	v_mov_b32_e32 v8, 0
	global_load_dwordx2 v[4:5], v8, s[6:7] offset:40
	global_load_dwordx2 v[9:10], v8, s[6:7] offset:24 glc
	global_load_dwordx2 v[6:7], v8, s[6:7]
	v_mov_b32_e32 v3, s13
	s_mov_b64 s[4:5], 0
	s_waitcnt vmcnt(2)
	v_add_co_u32_e32 v11, vcc, 1, v4
	v_addc_co_u32_e32 v12, vcc, 0, v5, vcc
	v_add_co_u32_e32 v2, vcc, s12, v11
	v_addc_co_u32_e32 v3, vcc, v12, v3, vcc
	v_cmp_eq_u64_e32 vcc, 0, v[2:3]
	v_cndmask_b32_e32 v3, v3, v12, vcc
	v_cndmask_b32_e32 v2, v2, v11, vcc
	v_and_b32_e32 v5, v3, v5
	v_and_b32_e32 v4, v2, v4
	v_mul_lo_u32 v5, v5, 24
	v_mul_hi_u32 v11, v4, 24
	v_mul_lo_u32 v12, v4, 24
	s_waitcnt vmcnt(1)
	v_mov_b32_e32 v4, v9
	v_add_u32_e32 v5, v11, v5
	s_waitcnt vmcnt(0)
	v_add_co_u32_e32 v6, vcc, v6, v12
	v_addc_co_u32_e32 v7, vcc, v7, v5, vcc
	global_store_dwordx2 v[6:7], v[9:10], off
	v_mov_b32_e32 v5, v10
	s_waitcnt vmcnt(0)
	global_atomic_cmpswap_x2 v[4:5], v8, v[2:5], s[6:7] offset:24 glc
	s_waitcnt vmcnt(0)
	v_cmp_ne_u64_e32 vcc, v[4:5], v[9:10]
	s_and_b64 exec, exec, vcc
	s_cbranch_execz .LBB11_588
.LBB11_587:                             ; =>This Inner Loop Header: Depth=1
	s_sleep 1
	global_store_dwordx2 v[6:7], v[4:5], off
	s_waitcnt vmcnt(0)
	global_atomic_cmpswap_x2 v[9:10], v8, v[2:5], s[6:7] offset:24 glc
	s_waitcnt vmcnt(0)
	v_cmp_eq_u64_e32 vcc, v[9:10], v[4:5]
	v_mov_b32_e32 v4, v9
	s_or_b64 s[4:5], vcc, s[4:5]
	v_mov_b32_e32 v5, v10
	s_andn2_b64 exec, exec, s[4:5]
	s_cbranch_execnz .LBB11_587
.LBB11_588:
	s_or_b64 exec, exec, s[14:15]
.LBB11_589:
	s_getpc_b64 s[12:13]
	s_add_u32 s12, s12, .str.1@rel32@lo+4
	s_addc_u32 s13, s13, .str.1@rel32@hi+12
	s_cmp_lg_u64 s[12:13], 0
	s_cbranch_scc0 .LBB11_674
; %bb.590:
	s_waitcnt vmcnt(0)
	v_and_b32_e32 v6, -3, v0
	v_mov_b32_e32 v7, v1
	s_mov_b64 s[14:15], 0x53
	v_mov_b32_e32 v26, 0
	v_mov_b32_e32 v4, 2
	;; [unrolled: 1-line block ×3, first 2 shown]
	s_branch .LBB11_592
.LBB11_591:                             ;   in Loop: Header=BB11_592 Depth=1
	s_or_b64 exec, exec, s[20:21]
	s_sub_u32 s14, s14, s16
	s_subb_u32 s15, s15, s17
	s_add_u32 s12, s12, s16
	s_addc_u32 s13, s13, s17
	s_cmp_lg_u64 s[14:15], 0
	s_cbranch_scc0 .LBB11_673
.LBB11_592:                             ; =>This Loop Header: Depth=1
                                        ;     Child Loop BB11_595 Depth 2
                                        ;     Child Loop BB11_602 Depth 2
	;; [unrolled: 1-line block ×11, first 2 shown]
	v_cmp_lt_u64_e64 s[4:5], s[14:15], 56
	v_cmp_gt_u64_e64 s[18:19], s[14:15], 7
	s_and_b64 s[4:5], s[4:5], exec
	s_cselect_b32 s17, s15, 0
	s_cselect_b32 s16, s14, 56
	s_and_b64 vcc, exec, s[18:19]
	s_cbranch_vccnz .LBB11_597
; %bb.593:                              ;   in Loop: Header=BB11_592 Depth=1
	s_waitcnt vmcnt(0)
	v_mov_b32_e32 v8, 0
	s_cmp_eq_u64 s[14:15], 0
	v_mov_b32_e32 v9, 0
	s_mov_b64 s[4:5], 0
	s_cbranch_scc1 .LBB11_596
; %bb.594:                              ;   in Loop: Header=BB11_592 Depth=1
	v_mov_b32_e32 v8, 0
	s_lshl_b64 s[18:19], s[16:17], 3
	s_mov_b64 s[20:21], 0
	v_mov_b32_e32 v9, 0
	s_mov_b64 s[22:23], s[12:13]
.LBB11_595:                             ;   Parent Loop BB11_592 Depth=1
                                        ; =>  This Inner Loop Header: Depth=2
	global_load_ubyte v2, v26, s[22:23]
	s_waitcnt vmcnt(0)
	v_and_b32_e32 v25, 0xffff, v2
	v_lshlrev_b64 v[2:3], s20, v[25:26]
	s_add_u32 s20, s20, 8
	s_addc_u32 s21, s21, 0
	s_add_u32 s22, s22, 1
	s_addc_u32 s23, s23, 0
	v_or_b32_e32 v8, v2, v8
	s_cmp_lg_u32 s18, s20
	v_or_b32_e32 v9, v3, v9
	s_cbranch_scc1 .LBB11_595
.LBB11_596:                             ;   in Loop: Header=BB11_592 Depth=1
	s_mov_b32 s22, 0
	s_andn2_b64 vcc, exec, s[4:5]
	s_mov_b64 s[4:5], s[12:13]
	s_cbranch_vccz .LBB11_598
	s_branch .LBB11_599
.LBB11_597:                             ;   in Loop: Header=BB11_592 Depth=1
                                        ; implicit-def: $sgpr22
	s_mov_b64 s[4:5], s[12:13]
.LBB11_598:                             ;   in Loop: Header=BB11_592 Depth=1
	global_load_dwordx2 v[8:9], v26, s[12:13]
	s_add_i32 s22, s16, -8
	s_add_u32 s4, s12, 8
	s_addc_u32 s5, s13, 0
.LBB11_599:                             ;   in Loop: Header=BB11_592 Depth=1
	s_cmp_gt_u32 s22, 7
	s_cbranch_scc1 .LBB11_603
; %bb.600:                              ;   in Loop: Header=BB11_592 Depth=1
	s_cmp_eq_u32 s22, 0
	s_cbranch_scc1 .LBB11_604
; %bb.601:                              ;   in Loop: Header=BB11_592 Depth=1
	v_mov_b32_e32 v10, 0
	s_mov_b64 s[18:19], 0
	v_mov_b32_e32 v11, 0
	s_mov_b64 s[20:21], 0
.LBB11_602:                             ;   Parent Loop BB11_592 Depth=1
                                        ; =>  This Inner Loop Header: Depth=2
	s_add_u32 s24, s4, s20
	s_addc_u32 s25, s5, s21
	global_load_ubyte v2, v26, s[24:25]
	s_add_u32 s20, s20, 1
	s_addc_u32 s21, s21, 0
	s_waitcnt vmcnt(0)
	v_and_b32_e32 v25, 0xffff, v2
	v_lshlrev_b64 v[2:3], s18, v[25:26]
	s_add_u32 s18, s18, 8
	s_addc_u32 s19, s19, 0
	v_or_b32_e32 v10, v2, v10
	s_cmp_lg_u32 s22, s20
	v_or_b32_e32 v11, v3, v11
	s_cbranch_scc1 .LBB11_602
	s_branch .LBB11_605
.LBB11_603:                             ;   in Loop: Header=BB11_592 Depth=1
                                        ; implicit-def: $vgpr10_vgpr11
                                        ; implicit-def: $sgpr23
	s_branch .LBB11_606
.LBB11_604:                             ;   in Loop: Header=BB11_592 Depth=1
	v_mov_b32_e32 v10, 0
	v_mov_b32_e32 v11, 0
.LBB11_605:                             ;   in Loop: Header=BB11_592 Depth=1
	s_mov_b32 s23, 0
	s_cbranch_execnz .LBB11_607
.LBB11_606:                             ;   in Loop: Header=BB11_592 Depth=1
	global_load_dwordx2 v[10:11], v26, s[4:5]
	s_add_i32 s23, s22, -8
	s_add_u32 s4, s4, 8
	s_addc_u32 s5, s5, 0
.LBB11_607:                             ;   in Loop: Header=BB11_592 Depth=1
	s_cmp_gt_u32 s23, 7
	s_cbranch_scc1 .LBB11_611
; %bb.608:                              ;   in Loop: Header=BB11_592 Depth=1
	s_cmp_eq_u32 s23, 0
	s_cbranch_scc1 .LBB11_612
; %bb.609:                              ;   in Loop: Header=BB11_592 Depth=1
	v_mov_b32_e32 v12, 0
	s_mov_b64 s[18:19], 0
	v_mov_b32_e32 v13, 0
	s_mov_b64 s[20:21], 0
.LBB11_610:                             ;   Parent Loop BB11_592 Depth=1
                                        ; =>  This Inner Loop Header: Depth=2
	s_add_u32 s24, s4, s20
	s_addc_u32 s25, s5, s21
	global_load_ubyte v2, v26, s[24:25]
	s_add_u32 s20, s20, 1
	s_addc_u32 s21, s21, 0
	s_waitcnt vmcnt(0)
	v_and_b32_e32 v25, 0xffff, v2
	v_lshlrev_b64 v[2:3], s18, v[25:26]
	s_add_u32 s18, s18, 8
	s_addc_u32 s19, s19, 0
	v_or_b32_e32 v12, v2, v12
	s_cmp_lg_u32 s23, s20
	v_or_b32_e32 v13, v3, v13
	s_cbranch_scc1 .LBB11_610
	s_branch .LBB11_613
.LBB11_611:                             ;   in Loop: Header=BB11_592 Depth=1
                                        ; implicit-def: $sgpr22
	s_branch .LBB11_614
.LBB11_612:                             ;   in Loop: Header=BB11_592 Depth=1
	v_mov_b32_e32 v12, 0
	v_mov_b32_e32 v13, 0
.LBB11_613:                             ;   in Loop: Header=BB11_592 Depth=1
	s_mov_b32 s22, 0
	s_cbranch_execnz .LBB11_615
.LBB11_614:                             ;   in Loop: Header=BB11_592 Depth=1
	global_load_dwordx2 v[12:13], v26, s[4:5]
	s_add_i32 s22, s23, -8
	s_add_u32 s4, s4, 8
	s_addc_u32 s5, s5, 0
.LBB11_615:                             ;   in Loop: Header=BB11_592 Depth=1
	s_cmp_gt_u32 s22, 7
	s_cbranch_scc1 .LBB11_619
; %bb.616:                              ;   in Loop: Header=BB11_592 Depth=1
	s_cmp_eq_u32 s22, 0
	s_cbranch_scc1 .LBB11_620
; %bb.617:                              ;   in Loop: Header=BB11_592 Depth=1
	v_mov_b32_e32 v14, 0
	s_mov_b64 s[18:19], 0
	v_mov_b32_e32 v15, 0
	s_mov_b64 s[20:21], 0
.LBB11_618:                             ;   Parent Loop BB11_592 Depth=1
                                        ; =>  This Inner Loop Header: Depth=2
	s_add_u32 s24, s4, s20
	s_addc_u32 s25, s5, s21
	global_load_ubyte v2, v26, s[24:25]
	s_add_u32 s20, s20, 1
	s_addc_u32 s21, s21, 0
	s_waitcnt vmcnt(0)
	v_and_b32_e32 v25, 0xffff, v2
	v_lshlrev_b64 v[2:3], s18, v[25:26]
	s_add_u32 s18, s18, 8
	s_addc_u32 s19, s19, 0
	v_or_b32_e32 v14, v2, v14
	s_cmp_lg_u32 s22, s20
	v_or_b32_e32 v15, v3, v15
	s_cbranch_scc1 .LBB11_618
	s_branch .LBB11_621
.LBB11_619:                             ;   in Loop: Header=BB11_592 Depth=1
                                        ; implicit-def: $vgpr14_vgpr15
                                        ; implicit-def: $sgpr23
	s_branch .LBB11_622
.LBB11_620:                             ;   in Loop: Header=BB11_592 Depth=1
	v_mov_b32_e32 v14, 0
	v_mov_b32_e32 v15, 0
.LBB11_621:                             ;   in Loop: Header=BB11_592 Depth=1
	s_mov_b32 s23, 0
	s_cbranch_execnz .LBB11_623
.LBB11_622:                             ;   in Loop: Header=BB11_592 Depth=1
	global_load_dwordx2 v[14:15], v26, s[4:5]
	s_add_i32 s23, s22, -8
	s_add_u32 s4, s4, 8
	s_addc_u32 s5, s5, 0
.LBB11_623:                             ;   in Loop: Header=BB11_592 Depth=1
	s_cmp_gt_u32 s23, 7
	s_cbranch_scc1 .LBB11_627
; %bb.624:                              ;   in Loop: Header=BB11_592 Depth=1
	s_cmp_eq_u32 s23, 0
	s_cbranch_scc1 .LBB11_628
; %bb.625:                              ;   in Loop: Header=BB11_592 Depth=1
	v_mov_b32_e32 v16, 0
	s_mov_b64 s[18:19], 0
	v_mov_b32_e32 v17, 0
	s_mov_b64 s[20:21], 0
.LBB11_626:                             ;   Parent Loop BB11_592 Depth=1
                                        ; =>  This Inner Loop Header: Depth=2
	s_add_u32 s24, s4, s20
	s_addc_u32 s25, s5, s21
	global_load_ubyte v2, v26, s[24:25]
	s_add_u32 s20, s20, 1
	s_addc_u32 s21, s21, 0
	s_waitcnt vmcnt(0)
	v_and_b32_e32 v25, 0xffff, v2
	v_lshlrev_b64 v[2:3], s18, v[25:26]
	s_add_u32 s18, s18, 8
	s_addc_u32 s19, s19, 0
	v_or_b32_e32 v16, v2, v16
	s_cmp_lg_u32 s23, s20
	v_or_b32_e32 v17, v3, v17
	s_cbranch_scc1 .LBB11_626
	s_branch .LBB11_629
.LBB11_627:                             ;   in Loop: Header=BB11_592 Depth=1
                                        ; implicit-def: $sgpr22
	s_branch .LBB11_630
.LBB11_628:                             ;   in Loop: Header=BB11_592 Depth=1
	v_mov_b32_e32 v16, 0
	v_mov_b32_e32 v17, 0
.LBB11_629:                             ;   in Loop: Header=BB11_592 Depth=1
	s_mov_b32 s22, 0
	s_cbranch_execnz .LBB11_631
.LBB11_630:                             ;   in Loop: Header=BB11_592 Depth=1
	global_load_dwordx2 v[16:17], v26, s[4:5]
	s_add_i32 s22, s23, -8
	s_add_u32 s4, s4, 8
	s_addc_u32 s5, s5, 0
.LBB11_631:                             ;   in Loop: Header=BB11_592 Depth=1
	s_cmp_gt_u32 s22, 7
	s_cbranch_scc1 .LBB11_635
; %bb.632:                              ;   in Loop: Header=BB11_592 Depth=1
	s_cmp_eq_u32 s22, 0
	s_cbranch_scc1 .LBB11_636
; %bb.633:                              ;   in Loop: Header=BB11_592 Depth=1
	v_mov_b32_e32 v18, 0
	s_mov_b64 s[18:19], 0
	v_mov_b32_e32 v19, 0
	s_mov_b64 s[20:21], 0
.LBB11_634:                             ;   Parent Loop BB11_592 Depth=1
                                        ; =>  This Inner Loop Header: Depth=2
	s_add_u32 s24, s4, s20
	s_addc_u32 s25, s5, s21
	global_load_ubyte v2, v26, s[24:25]
	s_add_u32 s20, s20, 1
	s_addc_u32 s21, s21, 0
	s_waitcnt vmcnt(0)
	v_and_b32_e32 v25, 0xffff, v2
	v_lshlrev_b64 v[2:3], s18, v[25:26]
	s_add_u32 s18, s18, 8
	s_addc_u32 s19, s19, 0
	v_or_b32_e32 v18, v2, v18
	s_cmp_lg_u32 s22, s20
	v_or_b32_e32 v19, v3, v19
	s_cbranch_scc1 .LBB11_634
	s_branch .LBB11_637
.LBB11_635:                             ;   in Loop: Header=BB11_592 Depth=1
                                        ; implicit-def: $vgpr18_vgpr19
                                        ; implicit-def: $sgpr23
	s_branch .LBB11_638
.LBB11_636:                             ;   in Loop: Header=BB11_592 Depth=1
	v_mov_b32_e32 v18, 0
	v_mov_b32_e32 v19, 0
.LBB11_637:                             ;   in Loop: Header=BB11_592 Depth=1
	s_mov_b32 s23, 0
	s_cbranch_execnz .LBB11_639
.LBB11_638:                             ;   in Loop: Header=BB11_592 Depth=1
	global_load_dwordx2 v[18:19], v26, s[4:5]
	s_add_i32 s23, s22, -8
	s_add_u32 s4, s4, 8
	s_addc_u32 s5, s5, 0
.LBB11_639:                             ;   in Loop: Header=BB11_592 Depth=1
	s_cmp_gt_u32 s23, 7
	s_cbranch_scc1 .LBB11_643
; %bb.640:                              ;   in Loop: Header=BB11_592 Depth=1
	s_cmp_eq_u32 s23, 0
	s_cbranch_scc1 .LBB11_644
; %bb.641:                              ;   in Loop: Header=BB11_592 Depth=1
	v_mov_b32_e32 v20, 0
	s_mov_b64 s[18:19], 0
	v_mov_b32_e32 v21, 0
	s_mov_b64 s[20:21], s[4:5]
.LBB11_642:                             ;   Parent Loop BB11_592 Depth=1
                                        ; =>  This Inner Loop Header: Depth=2
	global_load_ubyte v2, v26, s[20:21]
	s_add_i32 s23, s23, -1
	s_waitcnt vmcnt(0)
	v_and_b32_e32 v25, 0xffff, v2
	v_lshlrev_b64 v[2:3], s18, v[25:26]
	s_add_u32 s18, s18, 8
	s_addc_u32 s19, s19, 0
	s_add_u32 s20, s20, 1
	s_addc_u32 s21, s21, 0
	v_or_b32_e32 v20, v2, v20
	s_cmp_lg_u32 s23, 0
	v_or_b32_e32 v21, v3, v21
	s_cbranch_scc1 .LBB11_642
	s_branch .LBB11_645
.LBB11_643:                             ;   in Loop: Header=BB11_592 Depth=1
	s_branch .LBB11_646
.LBB11_644:                             ;   in Loop: Header=BB11_592 Depth=1
	v_mov_b32_e32 v20, 0
	v_mov_b32_e32 v21, 0
.LBB11_645:                             ;   in Loop: Header=BB11_592 Depth=1
	s_cbranch_execnz .LBB11_647
.LBB11_646:                             ;   in Loop: Header=BB11_592 Depth=1
	global_load_dwordx2 v[20:21], v26, s[4:5]
.LBB11_647:                             ;   in Loop: Header=BB11_592 Depth=1
	v_readfirstlane_b32 s4, v32
	v_mov_b32_e32 v2, 0
	v_mov_b32_e32 v3, 0
	v_cmp_eq_u32_e64 s[4:5], s4, v32
	s_and_saveexec_b64 s[18:19], s[4:5]
	s_cbranch_execz .LBB11_653
; %bb.648:                              ;   in Loop: Header=BB11_592 Depth=1
	global_load_dwordx2 v[24:25], v26, s[6:7] offset:24 glc
	s_waitcnt vmcnt(0)
	buffer_wbinvl1_vol
	global_load_dwordx2 v[2:3], v26, s[6:7] offset:40
	global_load_dwordx2 v[22:23], v26, s[6:7]
	s_waitcnt vmcnt(1)
	v_and_b32_e32 v2, v2, v24
	v_and_b32_e32 v3, v3, v25
	v_mul_lo_u32 v3, v3, 24
	v_mul_hi_u32 v27, v2, 24
	v_mul_lo_u32 v2, v2, 24
	v_add_u32_e32 v3, v27, v3
	s_waitcnt vmcnt(0)
	v_add_co_u32_e32 v2, vcc, v22, v2
	v_addc_co_u32_e32 v3, vcc, v23, v3, vcc
	global_load_dwordx2 v[22:23], v[2:3], off glc
	s_waitcnt vmcnt(0)
	global_atomic_cmpswap_x2 v[2:3], v26, v[22:25], s[6:7] offset:24 glc
	s_waitcnt vmcnt(0)
	buffer_wbinvl1_vol
	v_cmp_ne_u64_e32 vcc, v[2:3], v[24:25]
	s_and_saveexec_b64 s[20:21], vcc
	s_cbranch_execz .LBB11_652
; %bb.649:                              ;   in Loop: Header=BB11_592 Depth=1
	s_mov_b64 s[22:23], 0
.LBB11_650:                             ;   Parent Loop BB11_592 Depth=1
                                        ; =>  This Inner Loop Header: Depth=2
	s_sleep 1
	global_load_dwordx2 v[22:23], v26, s[6:7] offset:40
	global_load_dwordx2 v[27:28], v26, s[6:7]
	v_mov_b32_e32 v25, v3
	v_mov_b32_e32 v24, v2
	s_waitcnt vmcnt(1)
	v_and_b32_e32 v2, v22, v24
	s_waitcnt vmcnt(0)
	v_mad_u64_u32 v[2:3], s[24:25], v2, 24, v[27:28]
	v_and_b32_e32 v22, v23, v25
	v_mad_u64_u32 v[22:23], s[24:25], v22, 24, v[3:4]
	v_mov_b32_e32 v3, v22
	global_load_dwordx2 v[22:23], v[2:3], off glc
	s_waitcnt vmcnt(0)
	global_atomic_cmpswap_x2 v[2:3], v26, v[22:25], s[6:7] offset:24 glc
	s_waitcnt vmcnt(0)
	buffer_wbinvl1_vol
	v_cmp_eq_u64_e32 vcc, v[2:3], v[24:25]
	s_or_b64 s[22:23], vcc, s[22:23]
	s_andn2_b64 exec, exec, s[22:23]
	s_cbranch_execnz .LBB11_650
; %bb.651:                              ;   in Loop: Header=BB11_592 Depth=1
	s_or_b64 exec, exec, s[22:23]
.LBB11_652:                             ;   in Loop: Header=BB11_592 Depth=1
	s_or_b64 exec, exec, s[20:21]
.LBB11_653:                             ;   in Loop: Header=BB11_592 Depth=1
	s_or_b64 exec, exec, s[18:19]
	global_load_dwordx2 v[27:28], v26, s[6:7] offset:40
	global_load_dwordx4 v[22:25], v26, s[6:7]
	v_readfirstlane_b32 s18, v2
	v_readfirstlane_b32 s19, v3
	s_mov_b64 s[20:21], exec
	s_waitcnt vmcnt(1)
	v_readfirstlane_b32 s22, v27
	v_readfirstlane_b32 s23, v28
	s_and_b64 s[22:23], s[18:19], s[22:23]
	s_mul_i32 s24, s23, 24
	s_mul_hi_u32 s25, s22, 24
	s_mul_i32 s26, s22, 24
	s_add_i32 s24, s25, s24
	v_mov_b32_e32 v2, s24
	s_waitcnt vmcnt(0)
	v_add_co_u32_e32 v27, vcc, s26, v22
	v_addc_co_u32_e32 v28, vcc, v23, v2, vcc
	s_and_saveexec_b64 s[24:25], s[4:5]
	s_cbranch_execz .LBB11_655
; %bb.654:                              ;   in Loop: Header=BB11_592 Depth=1
	v_mov_b32_e32 v2, s20
	v_mov_b32_e32 v3, s21
	global_store_dwordx4 v[27:28], v[2:5], off offset:8
.LBB11_655:                             ;   in Loop: Header=BB11_592 Depth=1
	s_or_b64 exec, exec, s[24:25]
	s_lshl_b64 s[20:21], s[22:23], 12
	v_mov_b32_e32 v2, s21
	v_add_co_u32_e32 v24, vcc, s20, v24
	v_addc_co_u32_e32 v29, vcc, v25, v2, vcc
	v_cmp_gt_u64_e64 vcc, s[14:15], 56
	v_or_b32_e32 v2, 2, v6
	s_lshl_b32 s20, s16, 2
	v_cndmask_b32_e32 v2, v2, v6, vcc
	s_add_i32 s20, s20, 28
	s_and_b32 s20, s20, 0x1e0
	v_and_b32_e32 v2, 0xffffff1f, v2
	v_or_b32_e32 v6, s20, v2
	v_readfirstlane_b32 s20, v24
	v_readfirstlane_b32 s21, v29
	s_nop 4
	global_store_dwordx4 v31, v[6:9], s[20:21]
	global_store_dwordx4 v31, v[10:13], s[20:21] offset:16
	global_store_dwordx4 v31, v[14:17], s[20:21] offset:32
	;; [unrolled: 1-line block ×3, first 2 shown]
	s_and_saveexec_b64 s[20:21], s[4:5]
	s_cbranch_execz .LBB11_663
; %bb.656:                              ;   in Loop: Header=BB11_592 Depth=1
	global_load_dwordx2 v[10:11], v26, s[6:7] offset:32 glc
	global_load_dwordx2 v[2:3], v26, s[6:7] offset:40
	v_mov_b32_e32 v8, s18
	v_mov_b32_e32 v9, s19
	s_waitcnt vmcnt(0)
	v_readfirstlane_b32 s22, v2
	v_readfirstlane_b32 s23, v3
	s_and_b64 s[22:23], s[22:23], s[18:19]
	s_mul_i32 s23, s23, 24
	s_mul_hi_u32 s24, s22, 24
	s_mul_i32 s22, s22, 24
	s_add_i32 s23, s24, s23
	v_mov_b32_e32 v3, s23
	v_add_co_u32_e32 v2, vcc, s22, v22
	v_addc_co_u32_e32 v3, vcc, v23, v3, vcc
	global_store_dwordx2 v[2:3], v[10:11], off
	s_waitcnt vmcnt(0)
	global_atomic_cmpswap_x2 v[8:9], v26, v[8:11], s[6:7] offset:32 glc
	s_waitcnt vmcnt(0)
	v_cmp_ne_u64_e32 vcc, v[8:9], v[10:11]
	s_and_saveexec_b64 s[22:23], vcc
	s_cbranch_execz .LBB11_659
; %bb.657:                              ;   in Loop: Header=BB11_592 Depth=1
	s_mov_b64 s[24:25], 0
.LBB11_658:                             ;   Parent Loop BB11_592 Depth=1
                                        ; =>  This Inner Loop Header: Depth=2
	s_sleep 1
	global_store_dwordx2 v[2:3], v[8:9], off
	v_mov_b32_e32 v6, s18
	v_mov_b32_e32 v7, s19
	s_waitcnt vmcnt(0)
	global_atomic_cmpswap_x2 v[6:7], v26, v[6:9], s[6:7] offset:32 glc
	s_waitcnt vmcnt(0)
	v_cmp_eq_u64_e32 vcc, v[6:7], v[8:9]
	v_mov_b32_e32 v9, v7
	s_or_b64 s[24:25], vcc, s[24:25]
	v_mov_b32_e32 v8, v6
	s_andn2_b64 exec, exec, s[24:25]
	s_cbranch_execnz .LBB11_658
.LBB11_659:                             ;   in Loop: Header=BB11_592 Depth=1
	s_or_b64 exec, exec, s[22:23]
	global_load_dwordx2 v[2:3], v26, s[6:7] offset:16
	s_mov_b64 s[24:25], exec
	v_mbcnt_lo_u32_b32 v6, s24, 0
	v_mbcnt_hi_u32_b32 v6, s25, v6
	v_cmp_eq_u32_e32 vcc, 0, v6
	s_and_saveexec_b64 s[22:23], vcc
	s_cbranch_execz .LBB11_661
; %bb.660:                              ;   in Loop: Header=BB11_592 Depth=1
	s_bcnt1_i32_b64 s24, s[24:25]
	v_mov_b32_e32 v25, s24
	s_waitcnt vmcnt(0)
	global_atomic_add_x2 v[2:3], v[25:26], off offset:8
.LBB11_661:                             ;   in Loop: Header=BB11_592 Depth=1
	s_or_b64 exec, exec, s[22:23]
	s_waitcnt vmcnt(0)
	global_load_dwordx2 v[6:7], v[2:3], off offset:16
	s_waitcnt vmcnt(0)
	v_cmp_eq_u64_e32 vcc, 0, v[6:7]
	s_cbranch_vccnz .LBB11_663
; %bb.662:                              ;   in Loop: Header=BB11_592 Depth=1
	global_load_dword v25, v[2:3], off offset:24
	s_waitcnt vmcnt(0)
	v_and_b32_e32 v2, 0xffffff, v25
	v_readfirstlane_b32 m0, v2
	global_store_dwordx2 v[6:7], v[25:26], off
	s_sendmsg sendmsg(MSG_INTERRUPT)
.LBB11_663:                             ;   in Loop: Header=BB11_592 Depth=1
	s_or_b64 exec, exec, s[20:21]
	v_add_co_u32_e32 v2, vcc, v24, v31
	v_addc_co_u32_e32 v3, vcc, 0, v29, vcc
	s_branch .LBB11_667
.LBB11_664:                             ;   in Loop: Header=BB11_667 Depth=2
	s_or_b64 exec, exec, s[20:21]
	v_readfirstlane_b32 s20, v6
	s_cmp_eq_u32 s20, 0
	s_cbranch_scc1 .LBB11_666
; %bb.665:                              ;   in Loop: Header=BB11_667 Depth=2
	s_sleep 1
	s_cbranch_execnz .LBB11_667
	s_branch .LBB11_669
.LBB11_666:                             ;   in Loop: Header=BB11_592 Depth=1
	s_branch .LBB11_669
.LBB11_667:                             ;   Parent Loop BB11_592 Depth=1
                                        ; =>  This Inner Loop Header: Depth=2
	v_mov_b32_e32 v6, 1
	s_and_saveexec_b64 s[20:21], s[4:5]
	s_cbranch_execz .LBB11_664
; %bb.668:                              ;   in Loop: Header=BB11_667 Depth=2
	global_load_dword v6, v[27:28], off offset:20 glc
	s_waitcnt vmcnt(0)
	buffer_wbinvl1_vol
	v_and_b32_e32 v6, 1, v6
	s_branch .LBB11_664
.LBB11_669:                             ;   in Loop: Header=BB11_592 Depth=1
	global_load_dwordx4 v[6:9], v[2:3], off
	s_and_saveexec_b64 s[20:21], s[4:5]
	s_cbranch_execz .LBB11_591
; %bb.670:                              ;   in Loop: Header=BB11_592 Depth=1
	global_load_dwordx2 v[2:3], v26, s[6:7] offset:40
	global_load_dwordx2 v[12:13], v26, s[6:7] offset:24 glc
	global_load_dwordx2 v[14:15], v26, s[6:7]
	s_waitcnt vmcnt(3)
	v_mov_b32_e32 v9, s19
	s_waitcnt vmcnt(2)
	v_add_co_u32_e32 v10, vcc, 1, v2
	v_addc_co_u32_e32 v11, vcc, 0, v3, vcc
	v_add_co_u32_e32 v8, vcc, s18, v10
	v_addc_co_u32_e32 v9, vcc, v11, v9, vcc
	v_cmp_eq_u64_e32 vcc, 0, v[8:9]
	v_cndmask_b32_e32 v9, v9, v11, vcc
	v_cndmask_b32_e32 v8, v8, v10, vcc
	v_and_b32_e32 v3, v9, v3
	v_and_b32_e32 v2, v8, v2
	v_mul_lo_u32 v3, v3, 24
	v_mul_hi_u32 v11, v2, 24
	v_mul_lo_u32 v2, v2, 24
	s_waitcnt vmcnt(1)
	v_mov_b32_e32 v10, v12
	v_add_u32_e32 v3, v11, v3
	s_waitcnt vmcnt(0)
	v_add_co_u32_e32 v2, vcc, v14, v2
	v_addc_co_u32_e32 v3, vcc, v15, v3, vcc
	global_store_dwordx2 v[2:3], v[12:13], off
	v_mov_b32_e32 v11, v13
	s_waitcnt vmcnt(0)
	global_atomic_cmpswap_x2 v[10:11], v26, v[8:11], s[6:7] offset:24 glc
	s_waitcnt vmcnt(0)
	v_cmp_ne_u64_e32 vcc, v[10:11], v[12:13]
	s_and_b64 exec, exec, vcc
	s_cbranch_execz .LBB11_591
; %bb.671:                              ;   in Loop: Header=BB11_592 Depth=1
	s_mov_b64 s[4:5], 0
.LBB11_672:                             ;   Parent Loop BB11_592 Depth=1
                                        ; =>  This Inner Loop Header: Depth=2
	s_sleep 1
	global_store_dwordx2 v[2:3], v[10:11], off
	s_waitcnt vmcnt(0)
	global_atomic_cmpswap_x2 v[12:13], v26, v[8:11], s[6:7] offset:24 glc
	s_waitcnt vmcnt(0)
	v_cmp_eq_u64_e32 vcc, v[12:13], v[10:11]
	v_mov_b32_e32 v10, v12
	s_or_b64 s[4:5], vcc, s[4:5]
	v_mov_b32_e32 v11, v13
	s_andn2_b64 exec, exec, s[4:5]
	s_cbranch_execnz .LBB11_672
	s_branch .LBB11_591
.LBB11_673:
	s_mov_b64 s[4:5], 0
	s_branch .LBB11_675
.LBB11_674:
	s_mov_b64 s[4:5], -1
.LBB11_675:
	s_and_b64 vcc, exec, s[4:5]
	s_cbranch_vccz .LBB11_702
; %bb.676:
	v_readfirstlane_b32 s4, v32
	s_waitcnt vmcnt(0)
	v_mov_b32_e32 v8, 0
	v_mov_b32_e32 v9, 0
	v_cmp_eq_u32_e64 s[4:5], s4, v32
	s_and_saveexec_b64 s[12:13], s[4:5]
	s_cbranch_execz .LBB11_682
; %bb.677:
	v_mov_b32_e32 v2, 0
	global_load_dwordx2 v[5:6], v2, s[6:7] offset:24 glc
	s_waitcnt vmcnt(0)
	buffer_wbinvl1_vol
	global_load_dwordx2 v[3:4], v2, s[6:7] offset:40
	global_load_dwordx2 v[7:8], v2, s[6:7]
	s_waitcnt vmcnt(1)
	v_and_b32_e32 v3, v3, v5
	v_and_b32_e32 v4, v4, v6
	v_mul_lo_u32 v4, v4, 24
	v_mul_hi_u32 v9, v3, 24
	v_mul_lo_u32 v3, v3, 24
	v_add_u32_e32 v4, v9, v4
	s_waitcnt vmcnt(0)
	v_add_co_u32_e32 v3, vcc, v7, v3
	v_addc_co_u32_e32 v4, vcc, v8, v4, vcc
	global_load_dwordx2 v[3:4], v[3:4], off glc
	s_waitcnt vmcnt(0)
	global_atomic_cmpswap_x2 v[8:9], v2, v[3:6], s[6:7] offset:24 glc
	s_waitcnt vmcnt(0)
	buffer_wbinvl1_vol
	v_cmp_ne_u64_e32 vcc, v[8:9], v[5:6]
	s_and_saveexec_b64 s[14:15], vcc
	s_cbranch_execz .LBB11_681
; %bb.678:
	s_mov_b64 s[16:17], 0
.LBB11_679:                             ; =>This Inner Loop Header: Depth=1
	s_sleep 1
	global_load_dwordx2 v[3:4], v2, s[6:7] offset:40
	global_load_dwordx2 v[10:11], v2, s[6:7]
	v_mov_b32_e32 v5, v8
	v_mov_b32_e32 v6, v9
	s_waitcnt vmcnt(1)
	v_and_b32_e32 v3, v3, v5
	s_waitcnt vmcnt(0)
	v_mad_u64_u32 v[7:8], s[18:19], v3, 24, v[10:11]
	v_and_b32_e32 v4, v4, v6
	v_mov_b32_e32 v3, v8
	v_mad_u64_u32 v[3:4], s[18:19], v4, 24, v[3:4]
	v_mov_b32_e32 v8, v3
	global_load_dwordx2 v[3:4], v[7:8], off glc
	s_waitcnt vmcnt(0)
	global_atomic_cmpswap_x2 v[8:9], v2, v[3:6], s[6:7] offset:24 glc
	s_waitcnt vmcnt(0)
	buffer_wbinvl1_vol
	v_cmp_eq_u64_e32 vcc, v[8:9], v[5:6]
	s_or_b64 s[16:17], vcc, s[16:17]
	s_andn2_b64 exec, exec, s[16:17]
	s_cbranch_execnz .LBB11_679
; %bb.680:
	s_or_b64 exec, exec, s[16:17]
.LBB11_681:
	s_or_b64 exec, exec, s[14:15]
.LBB11_682:
	s_or_b64 exec, exec, s[12:13]
	v_mov_b32_e32 v2, 0
	global_load_dwordx2 v[10:11], v2, s[6:7] offset:40
	global_load_dwordx4 v[4:7], v2, s[6:7]
	v_readfirstlane_b32 s12, v8
	v_readfirstlane_b32 s13, v9
	s_mov_b64 s[14:15], exec
	s_waitcnt vmcnt(1)
	v_readfirstlane_b32 s16, v10
	v_readfirstlane_b32 s17, v11
	s_and_b64 s[16:17], s[12:13], s[16:17]
	s_mul_i32 s18, s17, 24
	s_mul_hi_u32 s19, s16, 24
	s_mul_i32 s20, s16, 24
	s_add_i32 s18, s19, s18
	v_mov_b32_e32 v3, s18
	s_waitcnt vmcnt(0)
	v_add_co_u32_e32 v8, vcc, s20, v4
	v_addc_co_u32_e32 v9, vcc, v5, v3, vcc
	s_and_saveexec_b64 s[18:19], s[4:5]
	s_cbranch_execz .LBB11_684
; %bb.683:
	v_mov_b32_e32 v10, s14
	v_mov_b32_e32 v11, s15
	;; [unrolled: 1-line block ×4, first 2 shown]
	global_store_dwordx4 v[8:9], v[10:13], off offset:8
.LBB11_684:
	s_or_b64 exec, exec, s[18:19]
	s_lshl_b64 s[14:15], s[16:17], 12
	v_mov_b32_e32 v3, s15
	v_add_co_u32_e32 v6, vcc, s14, v6
	v_addc_co_u32_e32 v7, vcc, v7, v3, vcc
	s_movk_i32 s14, 0xff1d
	v_and_or_b32 v0, v0, s14, 34
	s_mov_b32 s16, 0
	v_mov_b32_e32 v3, v2
	v_readfirstlane_b32 s14, v6
	v_readfirstlane_b32 s15, v7
	s_mov_b32 s17, s16
	s_mov_b32 s18, s16
	;; [unrolled: 1-line block ×3, first 2 shown]
	s_nop 1
	global_store_dwordx4 v31, v[0:3], s[14:15]
	s_nop 0
	v_mov_b32_e32 v0, s16
	v_mov_b32_e32 v1, s17
	;; [unrolled: 1-line block ×4, first 2 shown]
	global_store_dwordx4 v31, v[0:3], s[14:15] offset:16
	global_store_dwordx4 v31, v[0:3], s[14:15] offset:32
	;; [unrolled: 1-line block ×3, first 2 shown]
	s_and_saveexec_b64 s[14:15], s[4:5]
	s_cbranch_execz .LBB11_692
; %bb.685:
	v_mov_b32_e32 v6, 0
	global_load_dwordx2 v[12:13], v6, s[6:7] offset:32 glc
	global_load_dwordx2 v[0:1], v6, s[6:7] offset:40
	v_mov_b32_e32 v10, s12
	v_mov_b32_e32 v11, s13
	s_waitcnt vmcnt(0)
	v_readfirstlane_b32 s16, v0
	v_readfirstlane_b32 s17, v1
	s_and_b64 s[16:17], s[16:17], s[12:13]
	s_mul_i32 s17, s17, 24
	s_mul_hi_u32 s18, s16, 24
	s_mul_i32 s16, s16, 24
	s_add_i32 s17, s18, s17
	v_mov_b32_e32 v0, s17
	v_add_co_u32_e32 v4, vcc, s16, v4
	v_addc_co_u32_e32 v5, vcc, v5, v0, vcc
	global_store_dwordx2 v[4:5], v[12:13], off
	s_waitcnt vmcnt(0)
	global_atomic_cmpswap_x2 v[2:3], v6, v[10:13], s[6:7] offset:32 glc
	s_waitcnt vmcnt(0)
	v_cmp_ne_u64_e32 vcc, v[2:3], v[12:13]
	s_and_saveexec_b64 s[16:17], vcc
	s_cbranch_execz .LBB11_688
; %bb.686:
	s_mov_b64 s[18:19], 0
.LBB11_687:                             ; =>This Inner Loop Header: Depth=1
	s_sleep 1
	global_store_dwordx2 v[4:5], v[2:3], off
	v_mov_b32_e32 v0, s12
	v_mov_b32_e32 v1, s13
	s_waitcnt vmcnt(0)
	global_atomic_cmpswap_x2 v[0:1], v6, v[0:3], s[6:7] offset:32 glc
	s_waitcnt vmcnt(0)
	v_cmp_eq_u64_e32 vcc, v[0:1], v[2:3]
	v_mov_b32_e32 v3, v1
	s_or_b64 s[18:19], vcc, s[18:19]
	v_mov_b32_e32 v2, v0
	s_andn2_b64 exec, exec, s[18:19]
	s_cbranch_execnz .LBB11_687
.LBB11_688:
	s_or_b64 exec, exec, s[16:17]
	v_mov_b32_e32 v3, 0
	global_load_dwordx2 v[0:1], v3, s[6:7] offset:16
	s_mov_b64 s[16:17], exec
	v_mbcnt_lo_u32_b32 v2, s16, 0
	v_mbcnt_hi_u32_b32 v2, s17, v2
	v_cmp_eq_u32_e32 vcc, 0, v2
	s_and_saveexec_b64 s[18:19], vcc
	s_cbranch_execz .LBB11_690
; %bb.689:
	s_bcnt1_i32_b64 s16, s[16:17]
	v_mov_b32_e32 v2, s16
	s_waitcnt vmcnt(0)
	global_atomic_add_x2 v[0:1], v[2:3], off offset:8
.LBB11_690:
	s_or_b64 exec, exec, s[18:19]
	s_waitcnt vmcnt(0)
	global_load_dwordx2 v[2:3], v[0:1], off offset:16
	s_waitcnt vmcnt(0)
	v_cmp_eq_u64_e32 vcc, 0, v[2:3]
	s_cbranch_vccnz .LBB11_692
; %bb.691:
	global_load_dword v0, v[0:1], off offset:24
	v_mov_b32_e32 v1, 0
	s_waitcnt vmcnt(0)
	global_store_dwordx2 v[2:3], v[0:1], off
	v_and_b32_e32 v0, 0xffffff, v0
	v_readfirstlane_b32 m0, v0
	s_sendmsg sendmsg(MSG_INTERRUPT)
.LBB11_692:
	s_or_b64 exec, exec, s[14:15]
	s_branch .LBB11_696
.LBB11_693:                             ;   in Loop: Header=BB11_696 Depth=1
	s_or_b64 exec, exec, s[14:15]
	v_readfirstlane_b32 s14, v0
	s_cmp_eq_u32 s14, 0
	s_cbranch_scc1 .LBB11_695
; %bb.694:                              ;   in Loop: Header=BB11_696 Depth=1
	s_sleep 1
	s_cbranch_execnz .LBB11_696
	s_branch .LBB11_698
.LBB11_695:
	s_branch .LBB11_698
.LBB11_696:                             ; =>This Inner Loop Header: Depth=1
	v_mov_b32_e32 v0, 1
	s_and_saveexec_b64 s[14:15], s[4:5]
	s_cbranch_execz .LBB11_693
; %bb.697:                              ;   in Loop: Header=BB11_696 Depth=1
	global_load_dword v0, v[8:9], off offset:20 glc
	s_waitcnt vmcnt(0)
	buffer_wbinvl1_vol
	v_and_b32_e32 v0, 1, v0
	s_branch .LBB11_693
.LBB11_698:
	s_and_saveexec_b64 s[14:15], s[4:5]
	s_cbranch_execz .LBB11_701
; %bb.699:
	v_mov_b32_e32 v6, 0
	global_load_dwordx2 v[2:3], v6, s[6:7] offset:40
	global_load_dwordx2 v[7:8], v6, s[6:7] offset:24 glc
	global_load_dwordx2 v[4:5], v6, s[6:7]
	v_mov_b32_e32 v1, s13
	s_mov_b64 s[4:5], 0
	s_waitcnt vmcnt(2)
	v_add_co_u32_e32 v9, vcc, 1, v2
	v_addc_co_u32_e32 v10, vcc, 0, v3, vcc
	v_add_co_u32_e32 v0, vcc, s12, v9
	v_addc_co_u32_e32 v1, vcc, v10, v1, vcc
	v_cmp_eq_u64_e32 vcc, 0, v[0:1]
	v_cndmask_b32_e32 v1, v1, v10, vcc
	v_cndmask_b32_e32 v0, v0, v9, vcc
	v_and_b32_e32 v3, v1, v3
	v_and_b32_e32 v2, v0, v2
	v_mul_lo_u32 v3, v3, 24
	v_mul_hi_u32 v9, v2, 24
	v_mul_lo_u32 v10, v2, 24
	s_waitcnt vmcnt(1)
	v_mov_b32_e32 v2, v7
	v_add_u32_e32 v3, v9, v3
	s_waitcnt vmcnt(0)
	v_add_co_u32_e32 v4, vcc, v4, v10
	v_addc_co_u32_e32 v5, vcc, v5, v3, vcc
	global_store_dwordx2 v[4:5], v[7:8], off
	v_mov_b32_e32 v3, v8
	s_waitcnt vmcnt(0)
	global_atomic_cmpswap_x2 v[2:3], v6, v[0:3], s[6:7] offset:24 glc
	s_waitcnt vmcnt(0)
	v_cmp_ne_u64_e32 vcc, v[2:3], v[7:8]
	s_and_b64 exec, exec, vcc
	s_cbranch_execz .LBB11_701
.LBB11_700:                             ; =>This Inner Loop Header: Depth=1
	s_sleep 1
	global_store_dwordx2 v[4:5], v[2:3], off
	s_waitcnt vmcnt(0)
	global_atomic_cmpswap_x2 v[7:8], v6, v[0:3], s[6:7] offset:24 glc
	s_waitcnt vmcnt(0)
	v_cmp_eq_u64_e32 vcc, v[7:8], v[2:3]
	v_mov_b32_e32 v2, v7
	s_or_b64 s[4:5], vcc, s[4:5]
	v_mov_b32_e32 v3, v8
	s_andn2_b64 exec, exec, s[4:5]
	s_cbranch_execnz .LBB11_700
.LBB11_701:
	s_or_b64 exec, exec, s[14:15]
.LBB11_702:
	v_readfirstlane_b32 s4, v32
	s_waitcnt vmcnt(0)
	v_mov_b32_e32 v5, 0
	v_mov_b32_e32 v6, 0
	v_cmp_eq_u32_e64 s[4:5], s4, v32
	s_and_saveexec_b64 s[12:13], s[4:5]
	s_cbranch_execz .LBB11_708
; %bb.703:
	v_mov_b32_e32 v0, 0
	global_load_dwordx2 v[3:4], v0, s[6:7] offset:24 glc
	s_waitcnt vmcnt(0)
	buffer_wbinvl1_vol
	global_load_dwordx2 v[1:2], v0, s[6:7] offset:40
	global_load_dwordx2 v[5:6], v0, s[6:7]
	s_waitcnt vmcnt(1)
	v_and_b32_e32 v1, v1, v3
	v_and_b32_e32 v2, v2, v4
	v_mul_lo_u32 v2, v2, 24
	v_mul_hi_u32 v7, v1, 24
	v_mul_lo_u32 v1, v1, 24
	v_add_u32_e32 v2, v7, v2
	s_waitcnt vmcnt(0)
	v_add_co_u32_e32 v1, vcc, v5, v1
	v_addc_co_u32_e32 v2, vcc, v6, v2, vcc
	global_load_dwordx2 v[1:2], v[1:2], off glc
	s_waitcnt vmcnt(0)
	global_atomic_cmpswap_x2 v[5:6], v0, v[1:4], s[6:7] offset:24 glc
	s_waitcnt vmcnt(0)
	buffer_wbinvl1_vol
	v_cmp_ne_u64_e32 vcc, v[5:6], v[3:4]
	s_and_saveexec_b64 s[14:15], vcc
	s_cbranch_execz .LBB11_707
; %bb.704:
	s_mov_b64 s[16:17], 0
.LBB11_705:                             ; =>This Inner Loop Header: Depth=1
	s_sleep 1
	global_load_dwordx2 v[1:2], v0, s[6:7] offset:40
	global_load_dwordx2 v[7:8], v0, s[6:7]
	v_mov_b32_e32 v3, v5
	v_mov_b32_e32 v4, v6
	s_waitcnt vmcnt(1)
	v_and_b32_e32 v1, v1, v3
	s_waitcnt vmcnt(0)
	v_mad_u64_u32 v[5:6], s[18:19], v1, 24, v[7:8]
	v_and_b32_e32 v2, v2, v4
	v_mov_b32_e32 v1, v6
	v_mad_u64_u32 v[1:2], s[18:19], v2, 24, v[1:2]
	v_mov_b32_e32 v6, v1
	global_load_dwordx2 v[1:2], v[5:6], off glc
	s_waitcnt vmcnt(0)
	global_atomic_cmpswap_x2 v[5:6], v0, v[1:4], s[6:7] offset:24 glc
	s_waitcnt vmcnt(0)
	buffer_wbinvl1_vol
	v_cmp_eq_u64_e32 vcc, v[5:6], v[3:4]
	s_or_b64 s[16:17], vcc, s[16:17]
	s_andn2_b64 exec, exec, s[16:17]
	s_cbranch_execnz .LBB11_705
; %bb.706:
	s_or_b64 exec, exec, s[16:17]
.LBB11_707:
	s_or_b64 exec, exec, s[14:15]
.LBB11_708:
	s_or_b64 exec, exec, s[12:13]
	v_mov_b32_e32 v4, 0
	global_load_dwordx2 v[7:8], v4, s[6:7] offset:40
	global_load_dwordx4 v[0:3], v4, s[6:7]
	v_readfirstlane_b32 s12, v5
	v_readfirstlane_b32 s13, v6
	s_mov_b64 s[14:15], exec
	s_waitcnt vmcnt(1)
	v_readfirstlane_b32 s16, v7
	v_readfirstlane_b32 s17, v8
	s_and_b64 s[16:17], s[12:13], s[16:17]
	s_mul_i32 s18, s17, 24
	s_mul_hi_u32 s19, s16, 24
	s_mul_i32 s20, s16, 24
	s_add_i32 s18, s19, s18
	v_mov_b32_e32 v5, s18
	s_waitcnt vmcnt(0)
	v_add_co_u32_e32 v7, vcc, s20, v0
	v_addc_co_u32_e32 v8, vcc, v1, v5, vcc
	s_and_saveexec_b64 s[18:19], s[4:5]
	s_cbranch_execz .LBB11_710
; %bb.709:
	v_mov_b32_e32 v9, s14
	v_mov_b32_e32 v10, s15
	;; [unrolled: 1-line block ×4, first 2 shown]
	global_store_dwordx4 v[7:8], v[9:12], off offset:8
.LBB11_710:
	s_or_b64 exec, exec, s[18:19]
	s_lshl_b64 s[14:15], s[16:17], 12
	v_mov_b32_e32 v5, s15
	v_add_co_u32_e32 v2, vcc, s14, v2
	v_addc_co_u32_e32 v11, vcc, v3, v5, vcc
	s_mov_b32 s16, 0
	v_mov_b32_e32 v3, 33
	v_mov_b32_e32 v5, v4
	;; [unrolled: 1-line block ×3, first 2 shown]
	v_readfirstlane_b32 s14, v2
	v_readfirstlane_b32 s15, v11
	v_add_co_u32_e32 v9, vcc, v2, v31
	s_mov_b32 s17, s16
	s_mov_b32 s18, s16
	;; [unrolled: 1-line block ×3, first 2 shown]
	s_nop 0
	global_store_dwordx4 v31, v[3:6], s[14:15]
	v_mov_b32_e32 v2, s16
	v_addc_co_u32_e32 v10, vcc, 0, v11, vcc
	v_mov_b32_e32 v3, s17
	v_mov_b32_e32 v4, s18
	;; [unrolled: 1-line block ×3, first 2 shown]
	global_store_dwordx4 v31, v[2:5], s[14:15] offset:16
	global_store_dwordx4 v31, v[2:5], s[14:15] offset:32
	;; [unrolled: 1-line block ×3, first 2 shown]
	s_and_saveexec_b64 s[14:15], s[4:5]
	s_cbranch_execz .LBB11_718
; %bb.711:
	v_mov_b32_e32 v6, 0
	global_load_dwordx2 v[13:14], v6, s[6:7] offset:32 glc
	global_load_dwordx2 v[2:3], v6, s[6:7] offset:40
	v_mov_b32_e32 v11, s12
	v_mov_b32_e32 v12, s13
	s_waitcnt vmcnt(0)
	v_readfirstlane_b32 s16, v2
	v_readfirstlane_b32 s17, v3
	s_and_b64 s[16:17], s[16:17], s[12:13]
	s_mul_i32 s17, s17, 24
	s_mul_hi_u32 s18, s16, 24
	s_mul_i32 s16, s16, 24
	s_add_i32 s17, s18, s17
	v_mov_b32_e32 v2, s17
	v_add_co_u32_e32 v4, vcc, s16, v0
	v_addc_co_u32_e32 v5, vcc, v1, v2, vcc
	global_store_dwordx2 v[4:5], v[13:14], off
	s_waitcnt vmcnt(0)
	global_atomic_cmpswap_x2 v[2:3], v6, v[11:14], s[6:7] offset:32 glc
	s_waitcnt vmcnt(0)
	v_cmp_ne_u64_e32 vcc, v[2:3], v[13:14]
	s_and_saveexec_b64 s[16:17], vcc
	s_cbranch_execz .LBB11_714
; %bb.712:
	s_mov_b64 s[18:19], 0
.LBB11_713:                             ; =>This Inner Loop Header: Depth=1
	s_sleep 1
	global_store_dwordx2 v[4:5], v[2:3], off
	v_mov_b32_e32 v0, s12
	v_mov_b32_e32 v1, s13
	s_waitcnt vmcnt(0)
	global_atomic_cmpswap_x2 v[0:1], v6, v[0:3], s[6:7] offset:32 glc
	s_waitcnt vmcnt(0)
	v_cmp_eq_u64_e32 vcc, v[0:1], v[2:3]
	v_mov_b32_e32 v3, v1
	s_or_b64 s[18:19], vcc, s[18:19]
	v_mov_b32_e32 v2, v0
	s_andn2_b64 exec, exec, s[18:19]
	s_cbranch_execnz .LBB11_713
.LBB11_714:
	s_or_b64 exec, exec, s[16:17]
	v_mov_b32_e32 v3, 0
	global_load_dwordx2 v[0:1], v3, s[6:7] offset:16
	s_mov_b64 s[16:17], exec
	v_mbcnt_lo_u32_b32 v2, s16, 0
	v_mbcnt_hi_u32_b32 v2, s17, v2
	v_cmp_eq_u32_e32 vcc, 0, v2
	s_and_saveexec_b64 s[18:19], vcc
	s_cbranch_execz .LBB11_716
; %bb.715:
	s_bcnt1_i32_b64 s16, s[16:17]
	v_mov_b32_e32 v2, s16
	s_waitcnt vmcnt(0)
	global_atomic_add_x2 v[0:1], v[2:3], off offset:8
.LBB11_716:
	s_or_b64 exec, exec, s[18:19]
	s_waitcnt vmcnt(0)
	global_load_dwordx2 v[2:3], v[0:1], off offset:16
	s_waitcnt vmcnt(0)
	v_cmp_eq_u64_e32 vcc, 0, v[2:3]
	s_cbranch_vccnz .LBB11_718
; %bb.717:
	global_load_dword v0, v[0:1], off offset:24
	v_mov_b32_e32 v1, 0
	s_waitcnt vmcnt(0)
	global_store_dwordx2 v[2:3], v[0:1], off
	v_and_b32_e32 v0, 0xffffff, v0
	v_readfirstlane_b32 m0, v0
	s_sendmsg sendmsg(MSG_INTERRUPT)
.LBB11_718:
	s_or_b64 exec, exec, s[14:15]
	s_branch .LBB11_722
.LBB11_719:                             ;   in Loop: Header=BB11_722 Depth=1
	s_or_b64 exec, exec, s[14:15]
	v_readfirstlane_b32 s14, v0
	s_cmp_eq_u32 s14, 0
	s_cbranch_scc1 .LBB11_721
; %bb.720:                              ;   in Loop: Header=BB11_722 Depth=1
	s_sleep 1
	s_cbranch_execnz .LBB11_722
	s_branch .LBB11_724
.LBB11_721:
	s_branch .LBB11_724
.LBB11_722:                             ; =>This Inner Loop Header: Depth=1
	v_mov_b32_e32 v0, 1
	s_and_saveexec_b64 s[14:15], s[4:5]
	s_cbranch_execz .LBB11_719
; %bb.723:                              ;   in Loop: Header=BB11_722 Depth=1
	global_load_dword v0, v[7:8], off offset:20 glc
	s_waitcnt vmcnt(0)
	buffer_wbinvl1_vol
	v_and_b32_e32 v0, 1, v0
	s_branch .LBB11_719
.LBB11_724:
	global_load_dwordx2 v[0:1], v[9:10], off
	s_and_saveexec_b64 s[14:15], s[4:5]
	s_cbranch_execz .LBB11_727
; %bb.725:
	v_mov_b32_e32 v8, 0
	global_load_dwordx2 v[4:5], v8, s[6:7] offset:40
	global_load_dwordx2 v[9:10], v8, s[6:7] offset:24 glc
	global_load_dwordx2 v[6:7], v8, s[6:7]
	v_mov_b32_e32 v3, s13
	s_mov_b64 s[4:5], 0
	s_waitcnt vmcnt(2)
	v_add_co_u32_e32 v11, vcc, 1, v4
	v_addc_co_u32_e32 v12, vcc, 0, v5, vcc
	v_add_co_u32_e32 v2, vcc, s12, v11
	v_addc_co_u32_e32 v3, vcc, v12, v3, vcc
	v_cmp_eq_u64_e32 vcc, 0, v[2:3]
	v_cndmask_b32_e32 v3, v3, v12, vcc
	v_cndmask_b32_e32 v2, v2, v11, vcc
	v_and_b32_e32 v5, v3, v5
	v_and_b32_e32 v4, v2, v4
	v_mul_lo_u32 v5, v5, 24
	v_mul_hi_u32 v11, v4, 24
	v_mul_lo_u32 v12, v4, 24
	s_waitcnt vmcnt(1)
	v_mov_b32_e32 v4, v9
	v_add_u32_e32 v5, v11, v5
	s_waitcnt vmcnt(0)
	v_add_co_u32_e32 v6, vcc, v6, v12
	v_addc_co_u32_e32 v7, vcc, v7, v5, vcc
	global_store_dwordx2 v[6:7], v[9:10], off
	v_mov_b32_e32 v5, v10
	s_waitcnt vmcnt(0)
	global_atomic_cmpswap_x2 v[4:5], v8, v[2:5], s[6:7] offset:24 glc
	s_waitcnt vmcnt(0)
	v_cmp_ne_u64_e32 vcc, v[4:5], v[9:10]
	s_and_b64 exec, exec, vcc
	s_cbranch_execz .LBB11_727
.LBB11_726:                             ; =>This Inner Loop Header: Depth=1
	s_sleep 1
	global_store_dwordx2 v[6:7], v[4:5], off
	s_waitcnt vmcnt(0)
	global_atomic_cmpswap_x2 v[9:10], v8, v[2:5], s[6:7] offset:24 glc
	s_waitcnt vmcnt(0)
	v_cmp_eq_u64_e32 vcc, v[9:10], v[4:5]
	v_mov_b32_e32 v4, v9
	s_or_b64 s[4:5], vcc, s[4:5]
	v_mov_b32_e32 v5, v10
	s_andn2_b64 exec, exec, s[4:5]
	s_cbranch_execnz .LBB11_726
.LBB11_727:
	s_or_b64 exec, exec, s[14:15]
	s_and_b64 vcc, exec, s[10:11]
	s_cbranch_vccz .LBB11_812
; %bb.728:
	s_waitcnt vmcnt(0)
	v_and_b32_e32 v33, 2, v0
	v_mov_b32_e32 v28, 0
	v_and_b32_e32 v2, -3, v0
	v_mov_b32_e32 v3, v1
	s_mov_b64 s[14:15], 3
	v_mov_b32_e32 v6, 2
	v_mov_b32_e32 v7, 1
	s_getpc_b64 s[12:13]
	s_add_u32 s12, s12, .str.6@rel32@lo+4
	s_addc_u32 s13, s13, .str.6@rel32@hi+12
	s_branch .LBB11_730
.LBB11_729:                             ;   in Loop: Header=BB11_730 Depth=1
	s_or_b64 exec, exec, s[20:21]
	s_sub_u32 s14, s14, s16
	s_subb_u32 s15, s15, s17
	s_add_u32 s12, s12, s16
	s_addc_u32 s13, s13, s17
	s_cmp_lg_u64 s[14:15], 0
	s_cbranch_scc0 .LBB11_811
.LBB11_730:                             ; =>This Loop Header: Depth=1
                                        ;     Child Loop BB11_733 Depth 2
                                        ;     Child Loop BB11_740 Depth 2
                                        ;     Child Loop BB11_748 Depth 2
                                        ;     Child Loop BB11_756 Depth 2
                                        ;     Child Loop BB11_764 Depth 2
                                        ;     Child Loop BB11_772 Depth 2
                                        ;     Child Loop BB11_780 Depth 2
                                        ;     Child Loop BB11_788 Depth 2
                                        ;     Child Loop BB11_796 Depth 2
                                        ;     Child Loop BB11_805 Depth 2
                                        ;     Child Loop BB11_810 Depth 2
	v_cmp_lt_u64_e64 s[4:5], s[14:15], 56
	v_cmp_gt_u64_e64 s[18:19], s[14:15], 7
	s_and_b64 s[4:5], s[4:5], exec
	s_cselect_b32 s17, s15, 0
	s_cselect_b32 s16, s14, 56
	s_and_b64 vcc, exec, s[18:19]
	s_cbranch_vccnz .LBB11_735
; %bb.731:                              ;   in Loop: Header=BB11_730 Depth=1
	v_mov_b32_e32 v10, 0
	s_cmp_eq_u64 s[14:15], 0
	v_mov_b32_e32 v11, 0
	s_mov_b64 s[4:5], 0
	s_cbranch_scc1 .LBB11_734
; %bb.732:                              ;   in Loop: Header=BB11_730 Depth=1
	v_mov_b32_e32 v10, 0
	s_lshl_b64 s[18:19], s[16:17], 3
	s_mov_b64 s[20:21], 0
	v_mov_b32_e32 v11, 0
	s_mov_b64 s[22:23], s[12:13]
.LBB11_733:                             ;   Parent Loop BB11_730 Depth=1
                                        ; =>  This Inner Loop Header: Depth=2
	global_load_ubyte v4, v28, s[22:23]
	s_waitcnt vmcnt(0)
	v_and_b32_e32 v27, 0xffff, v4
	v_lshlrev_b64 v[4:5], s20, v[27:28]
	s_add_u32 s20, s20, 8
	s_addc_u32 s21, s21, 0
	s_add_u32 s22, s22, 1
	s_addc_u32 s23, s23, 0
	v_or_b32_e32 v10, v4, v10
	s_cmp_lg_u32 s18, s20
	v_or_b32_e32 v11, v5, v11
	s_cbranch_scc1 .LBB11_733
.LBB11_734:                             ;   in Loop: Header=BB11_730 Depth=1
	s_mov_b32 s22, 0
	s_andn2_b64 vcc, exec, s[4:5]
	s_mov_b64 s[4:5], s[12:13]
	s_cbranch_vccz .LBB11_736
	s_branch .LBB11_737
.LBB11_735:                             ;   in Loop: Header=BB11_730 Depth=1
                                        ; implicit-def: $vgpr10_vgpr11
                                        ; implicit-def: $sgpr22
	s_mov_b64 s[4:5], s[12:13]
.LBB11_736:                             ;   in Loop: Header=BB11_730 Depth=1
	global_load_dwordx2 v[10:11], v28, s[12:13]
	s_add_i32 s22, s16, -8
	s_add_u32 s4, s12, 8
	s_addc_u32 s5, s13, 0
.LBB11_737:                             ;   in Loop: Header=BB11_730 Depth=1
	s_cmp_gt_u32 s22, 7
	s_cbranch_scc1 .LBB11_741
; %bb.738:                              ;   in Loop: Header=BB11_730 Depth=1
	s_cmp_eq_u32 s22, 0
	s_cbranch_scc1 .LBB11_742
; %bb.739:                              ;   in Loop: Header=BB11_730 Depth=1
	v_mov_b32_e32 v12, 0
	s_mov_b64 s[18:19], 0
	v_mov_b32_e32 v13, 0
	s_mov_b64 s[20:21], 0
.LBB11_740:                             ;   Parent Loop BB11_730 Depth=1
                                        ; =>  This Inner Loop Header: Depth=2
	s_add_u32 s24, s4, s20
	s_addc_u32 s25, s5, s21
	global_load_ubyte v4, v28, s[24:25]
	s_add_u32 s20, s20, 1
	s_addc_u32 s21, s21, 0
	s_waitcnt vmcnt(0)
	v_and_b32_e32 v27, 0xffff, v4
	v_lshlrev_b64 v[4:5], s18, v[27:28]
	s_add_u32 s18, s18, 8
	s_addc_u32 s19, s19, 0
	v_or_b32_e32 v12, v4, v12
	s_cmp_lg_u32 s22, s20
	v_or_b32_e32 v13, v5, v13
	s_cbranch_scc1 .LBB11_740
	s_branch .LBB11_743
.LBB11_741:                             ;   in Loop: Header=BB11_730 Depth=1
                                        ; implicit-def: $vgpr12_vgpr13
                                        ; implicit-def: $sgpr23
	s_branch .LBB11_744
.LBB11_742:                             ;   in Loop: Header=BB11_730 Depth=1
	v_mov_b32_e32 v12, 0
	v_mov_b32_e32 v13, 0
.LBB11_743:                             ;   in Loop: Header=BB11_730 Depth=1
	s_mov_b32 s23, 0
	s_cbranch_execnz .LBB11_745
.LBB11_744:                             ;   in Loop: Header=BB11_730 Depth=1
	global_load_dwordx2 v[12:13], v28, s[4:5]
	s_add_i32 s23, s22, -8
	s_add_u32 s4, s4, 8
	s_addc_u32 s5, s5, 0
.LBB11_745:                             ;   in Loop: Header=BB11_730 Depth=1
	s_cmp_gt_u32 s23, 7
	s_cbranch_scc1 .LBB11_749
; %bb.746:                              ;   in Loop: Header=BB11_730 Depth=1
	s_cmp_eq_u32 s23, 0
	s_cbranch_scc1 .LBB11_750
; %bb.747:                              ;   in Loop: Header=BB11_730 Depth=1
	v_mov_b32_e32 v14, 0
	s_mov_b64 s[18:19], 0
	v_mov_b32_e32 v15, 0
	s_mov_b64 s[20:21], 0
.LBB11_748:                             ;   Parent Loop BB11_730 Depth=1
                                        ; =>  This Inner Loop Header: Depth=2
	s_add_u32 s24, s4, s20
	s_addc_u32 s25, s5, s21
	global_load_ubyte v4, v28, s[24:25]
	s_add_u32 s20, s20, 1
	s_addc_u32 s21, s21, 0
	s_waitcnt vmcnt(0)
	v_and_b32_e32 v27, 0xffff, v4
	v_lshlrev_b64 v[4:5], s18, v[27:28]
	s_add_u32 s18, s18, 8
	s_addc_u32 s19, s19, 0
	v_or_b32_e32 v14, v4, v14
	s_cmp_lg_u32 s23, s20
	v_or_b32_e32 v15, v5, v15
	s_cbranch_scc1 .LBB11_748
	s_branch .LBB11_751
.LBB11_749:                             ;   in Loop: Header=BB11_730 Depth=1
                                        ; implicit-def: $sgpr22
	s_branch .LBB11_752
.LBB11_750:                             ;   in Loop: Header=BB11_730 Depth=1
	v_mov_b32_e32 v14, 0
	v_mov_b32_e32 v15, 0
.LBB11_751:                             ;   in Loop: Header=BB11_730 Depth=1
	s_mov_b32 s22, 0
	s_cbranch_execnz .LBB11_753
.LBB11_752:                             ;   in Loop: Header=BB11_730 Depth=1
	global_load_dwordx2 v[14:15], v28, s[4:5]
	s_add_i32 s22, s23, -8
	s_add_u32 s4, s4, 8
	s_addc_u32 s5, s5, 0
.LBB11_753:                             ;   in Loop: Header=BB11_730 Depth=1
	s_cmp_gt_u32 s22, 7
	s_cbranch_scc1 .LBB11_757
; %bb.754:                              ;   in Loop: Header=BB11_730 Depth=1
	s_cmp_eq_u32 s22, 0
	s_cbranch_scc1 .LBB11_758
; %bb.755:                              ;   in Loop: Header=BB11_730 Depth=1
	v_mov_b32_e32 v16, 0
	s_mov_b64 s[18:19], 0
	v_mov_b32_e32 v17, 0
	s_mov_b64 s[20:21], 0
.LBB11_756:                             ;   Parent Loop BB11_730 Depth=1
                                        ; =>  This Inner Loop Header: Depth=2
	s_add_u32 s24, s4, s20
	s_addc_u32 s25, s5, s21
	global_load_ubyte v4, v28, s[24:25]
	s_add_u32 s20, s20, 1
	s_addc_u32 s21, s21, 0
	s_waitcnt vmcnt(0)
	v_and_b32_e32 v27, 0xffff, v4
	v_lshlrev_b64 v[4:5], s18, v[27:28]
	s_add_u32 s18, s18, 8
	s_addc_u32 s19, s19, 0
	v_or_b32_e32 v16, v4, v16
	s_cmp_lg_u32 s22, s20
	v_or_b32_e32 v17, v5, v17
	s_cbranch_scc1 .LBB11_756
	s_branch .LBB11_759
.LBB11_757:                             ;   in Loop: Header=BB11_730 Depth=1
                                        ; implicit-def: $vgpr16_vgpr17
                                        ; implicit-def: $sgpr23
	s_branch .LBB11_760
.LBB11_758:                             ;   in Loop: Header=BB11_730 Depth=1
	v_mov_b32_e32 v16, 0
	v_mov_b32_e32 v17, 0
.LBB11_759:                             ;   in Loop: Header=BB11_730 Depth=1
	s_mov_b32 s23, 0
	s_cbranch_execnz .LBB11_761
.LBB11_760:                             ;   in Loop: Header=BB11_730 Depth=1
	global_load_dwordx2 v[16:17], v28, s[4:5]
	s_add_i32 s23, s22, -8
	s_add_u32 s4, s4, 8
	s_addc_u32 s5, s5, 0
.LBB11_761:                             ;   in Loop: Header=BB11_730 Depth=1
	s_cmp_gt_u32 s23, 7
	s_cbranch_scc1 .LBB11_765
; %bb.762:                              ;   in Loop: Header=BB11_730 Depth=1
	s_cmp_eq_u32 s23, 0
	s_cbranch_scc1 .LBB11_766
; %bb.763:                              ;   in Loop: Header=BB11_730 Depth=1
	v_mov_b32_e32 v18, 0
	s_mov_b64 s[18:19], 0
	v_mov_b32_e32 v19, 0
	s_mov_b64 s[20:21], 0
.LBB11_764:                             ;   Parent Loop BB11_730 Depth=1
                                        ; =>  This Inner Loop Header: Depth=2
	s_add_u32 s24, s4, s20
	s_addc_u32 s25, s5, s21
	global_load_ubyte v4, v28, s[24:25]
	s_add_u32 s20, s20, 1
	s_addc_u32 s21, s21, 0
	s_waitcnt vmcnt(0)
	v_and_b32_e32 v27, 0xffff, v4
	v_lshlrev_b64 v[4:5], s18, v[27:28]
	s_add_u32 s18, s18, 8
	s_addc_u32 s19, s19, 0
	v_or_b32_e32 v18, v4, v18
	s_cmp_lg_u32 s23, s20
	v_or_b32_e32 v19, v5, v19
	s_cbranch_scc1 .LBB11_764
	s_branch .LBB11_767
.LBB11_765:                             ;   in Loop: Header=BB11_730 Depth=1
                                        ; implicit-def: $sgpr22
	s_branch .LBB11_768
.LBB11_766:                             ;   in Loop: Header=BB11_730 Depth=1
	v_mov_b32_e32 v18, 0
	v_mov_b32_e32 v19, 0
.LBB11_767:                             ;   in Loop: Header=BB11_730 Depth=1
	s_mov_b32 s22, 0
	s_cbranch_execnz .LBB11_769
.LBB11_768:                             ;   in Loop: Header=BB11_730 Depth=1
	global_load_dwordx2 v[18:19], v28, s[4:5]
	s_add_i32 s22, s23, -8
	s_add_u32 s4, s4, 8
	s_addc_u32 s5, s5, 0
.LBB11_769:                             ;   in Loop: Header=BB11_730 Depth=1
	s_cmp_gt_u32 s22, 7
	s_cbranch_scc1 .LBB11_773
; %bb.770:                              ;   in Loop: Header=BB11_730 Depth=1
	s_cmp_eq_u32 s22, 0
	s_cbranch_scc1 .LBB11_774
; %bb.771:                              ;   in Loop: Header=BB11_730 Depth=1
	v_mov_b32_e32 v20, 0
	s_mov_b64 s[18:19], 0
	v_mov_b32_e32 v21, 0
	s_mov_b64 s[20:21], 0
.LBB11_772:                             ;   Parent Loop BB11_730 Depth=1
                                        ; =>  This Inner Loop Header: Depth=2
	s_add_u32 s24, s4, s20
	s_addc_u32 s25, s5, s21
	global_load_ubyte v4, v28, s[24:25]
	s_add_u32 s20, s20, 1
	s_addc_u32 s21, s21, 0
	s_waitcnt vmcnt(0)
	v_and_b32_e32 v27, 0xffff, v4
	v_lshlrev_b64 v[4:5], s18, v[27:28]
	s_add_u32 s18, s18, 8
	s_addc_u32 s19, s19, 0
	v_or_b32_e32 v20, v4, v20
	s_cmp_lg_u32 s22, s20
	v_or_b32_e32 v21, v5, v21
	s_cbranch_scc1 .LBB11_772
	s_branch .LBB11_775
.LBB11_773:                             ;   in Loop: Header=BB11_730 Depth=1
                                        ; implicit-def: $vgpr20_vgpr21
                                        ; implicit-def: $sgpr23
	s_branch .LBB11_776
.LBB11_774:                             ;   in Loop: Header=BB11_730 Depth=1
	v_mov_b32_e32 v20, 0
	v_mov_b32_e32 v21, 0
.LBB11_775:                             ;   in Loop: Header=BB11_730 Depth=1
	s_mov_b32 s23, 0
	s_cbranch_execnz .LBB11_777
.LBB11_776:                             ;   in Loop: Header=BB11_730 Depth=1
	global_load_dwordx2 v[20:21], v28, s[4:5]
	s_add_i32 s23, s22, -8
	s_add_u32 s4, s4, 8
	s_addc_u32 s5, s5, 0
.LBB11_777:                             ;   in Loop: Header=BB11_730 Depth=1
	s_cmp_gt_u32 s23, 7
	s_cbranch_scc1 .LBB11_781
; %bb.778:                              ;   in Loop: Header=BB11_730 Depth=1
	s_cmp_eq_u32 s23, 0
	s_cbranch_scc1 .LBB11_782
; %bb.779:                              ;   in Loop: Header=BB11_730 Depth=1
	v_mov_b32_e32 v22, 0
	s_mov_b64 s[18:19], 0
	v_mov_b32_e32 v23, 0
	s_mov_b64 s[20:21], s[4:5]
.LBB11_780:                             ;   Parent Loop BB11_730 Depth=1
                                        ; =>  This Inner Loop Header: Depth=2
	global_load_ubyte v4, v28, s[20:21]
	s_add_i32 s23, s23, -1
	s_waitcnt vmcnt(0)
	v_and_b32_e32 v27, 0xffff, v4
	v_lshlrev_b64 v[4:5], s18, v[27:28]
	s_add_u32 s18, s18, 8
	s_addc_u32 s19, s19, 0
	s_add_u32 s20, s20, 1
	s_addc_u32 s21, s21, 0
	v_or_b32_e32 v22, v4, v22
	s_cmp_lg_u32 s23, 0
	v_or_b32_e32 v23, v5, v23
	s_cbranch_scc1 .LBB11_780
	s_branch .LBB11_783
.LBB11_781:                             ;   in Loop: Header=BB11_730 Depth=1
	s_branch .LBB11_784
.LBB11_782:                             ;   in Loop: Header=BB11_730 Depth=1
	v_mov_b32_e32 v22, 0
	v_mov_b32_e32 v23, 0
.LBB11_783:                             ;   in Loop: Header=BB11_730 Depth=1
	s_cbranch_execnz .LBB11_785
.LBB11_784:                             ;   in Loop: Header=BB11_730 Depth=1
	global_load_dwordx2 v[22:23], v28, s[4:5]
.LBB11_785:                             ;   in Loop: Header=BB11_730 Depth=1
	v_readfirstlane_b32 s4, v32
	s_waitcnt vmcnt(0)
	v_mov_b32_e32 v4, 0
	v_mov_b32_e32 v5, 0
	v_cmp_eq_u32_e64 s[4:5], s4, v32
	s_and_saveexec_b64 s[18:19], s[4:5]
	s_cbranch_execz .LBB11_791
; %bb.786:                              ;   in Loop: Header=BB11_730 Depth=1
	global_load_dwordx2 v[26:27], v28, s[6:7] offset:24 glc
	s_waitcnt vmcnt(0)
	buffer_wbinvl1_vol
	global_load_dwordx2 v[4:5], v28, s[6:7] offset:40
	global_load_dwordx2 v[8:9], v28, s[6:7]
	s_waitcnt vmcnt(1)
	v_and_b32_e32 v4, v4, v26
	v_and_b32_e32 v5, v5, v27
	v_mul_lo_u32 v5, v5, 24
	v_mul_hi_u32 v24, v4, 24
	v_mul_lo_u32 v4, v4, 24
	v_add_u32_e32 v5, v24, v5
	s_waitcnt vmcnt(0)
	v_add_co_u32_e32 v4, vcc, v8, v4
	v_addc_co_u32_e32 v5, vcc, v9, v5, vcc
	global_load_dwordx2 v[24:25], v[4:5], off glc
	s_waitcnt vmcnt(0)
	global_atomic_cmpswap_x2 v[4:5], v28, v[24:27], s[6:7] offset:24 glc
	s_waitcnt vmcnt(0)
	buffer_wbinvl1_vol
	v_cmp_ne_u64_e32 vcc, v[4:5], v[26:27]
	s_and_saveexec_b64 s[20:21], vcc
	s_cbranch_execz .LBB11_790
; %bb.787:                              ;   in Loop: Header=BB11_730 Depth=1
	s_mov_b64 s[22:23], 0
.LBB11_788:                             ;   Parent Loop BB11_730 Depth=1
                                        ; =>  This Inner Loop Header: Depth=2
	s_sleep 1
	global_load_dwordx2 v[8:9], v28, s[6:7] offset:40
	global_load_dwordx2 v[24:25], v28, s[6:7]
	v_mov_b32_e32 v27, v5
	v_mov_b32_e32 v26, v4
	s_waitcnt vmcnt(1)
	v_and_b32_e32 v4, v8, v26
	s_waitcnt vmcnt(0)
	v_mad_u64_u32 v[4:5], s[24:25], v4, 24, v[24:25]
	v_and_b32_e32 v8, v9, v27
	v_mad_u64_u32 v[8:9], s[24:25], v8, 24, v[5:6]
	v_mov_b32_e32 v5, v8
	global_load_dwordx2 v[24:25], v[4:5], off glc
	s_waitcnt vmcnt(0)
	global_atomic_cmpswap_x2 v[4:5], v28, v[24:27], s[6:7] offset:24 glc
	s_waitcnt vmcnt(0)
	buffer_wbinvl1_vol
	v_cmp_eq_u64_e32 vcc, v[4:5], v[26:27]
	s_or_b64 s[22:23], vcc, s[22:23]
	s_andn2_b64 exec, exec, s[22:23]
	s_cbranch_execnz .LBB11_788
; %bb.789:                              ;   in Loop: Header=BB11_730 Depth=1
	s_or_b64 exec, exec, s[22:23]
.LBB11_790:                             ;   in Loop: Header=BB11_730 Depth=1
	s_or_b64 exec, exec, s[20:21]
.LBB11_791:                             ;   in Loop: Header=BB11_730 Depth=1
	s_or_b64 exec, exec, s[18:19]
	global_load_dwordx2 v[8:9], v28, s[6:7] offset:40
	global_load_dwordx4 v[24:27], v28, s[6:7]
	v_readfirstlane_b32 s18, v4
	v_readfirstlane_b32 s19, v5
	s_mov_b64 s[20:21], exec
	s_waitcnt vmcnt(1)
	v_readfirstlane_b32 s22, v8
	v_readfirstlane_b32 s23, v9
	s_and_b64 s[22:23], s[18:19], s[22:23]
	s_mul_i32 s24, s23, 24
	s_mul_hi_u32 s25, s22, 24
	s_mul_i32 s26, s22, 24
	s_add_i32 s24, s25, s24
	v_mov_b32_e32 v4, s24
	s_waitcnt vmcnt(0)
	v_add_co_u32_e32 v29, vcc, s26, v24
	v_addc_co_u32_e32 v30, vcc, v25, v4, vcc
	s_and_saveexec_b64 s[24:25], s[4:5]
	s_cbranch_execz .LBB11_793
; %bb.792:                              ;   in Loop: Header=BB11_730 Depth=1
	v_mov_b32_e32 v4, s20
	v_mov_b32_e32 v5, s21
	global_store_dwordx4 v[29:30], v[4:7], off offset:8
.LBB11_793:                             ;   in Loop: Header=BB11_730 Depth=1
	s_or_b64 exec, exec, s[24:25]
	s_lshl_b64 s[20:21], s[22:23], 12
	v_mov_b32_e32 v4, s21
	v_add_co_u32_e32 v26, vcc, s20, v26
	v_addc_co_u32_e32 v34, vcc, v27, v4, vcc
	v_cmp_gt_u64_e64 vcc, s[14:15], 56
	v_or_b32_e32 v5, v2, v33
	s_lshl_b32 s20, s16, 2
	v_cndmask_b32_e32 v2, v5, v2, vcc
	s_add_i32 s20, s20, 28
	v_or_b32_e32 v4, 0, v3
	s_and_b32 s20, s20, 0x1e0
	v_and_b32_e32 v2, 0xffffff1f, v2
	v_cndmask_b32_e32 v9, v4, v3, vcc
	v_or_b32_e32 v8, s20, v2
	v_readfirstlane_b32 s20, v26
	v_readfirstlane_b32 s21, v34
	s_nop 4
	global_store_dwordx4 v31, v[8:11], s[20:21]
	global_store_dwordx4 v31, v[12:15], s[20:21] offset:16
	global_store_dwordx4 v31, v[16:19], s[20:21] offset:32
	;; [unrolled: 1-line block ×3, first 2 shown]
	s_and_saveexec_b64 s[20:21], s[4:5]
	s_cbranch_execz .LBB11_801
; %bb.794:                              ;   in Loop: Header=BB11_730 Depth=1
	global_load_dwordx2 v[12:13], v28, s[6:7] offset:32 glc
	global_load_dwordx2 v[2:3], v28, s[6:7] offset:40
	v_mov_b32_e32 v10, s18
	v_mov_b32_e32 v11, s19
	s_waitcnt vmcnt(0)
	v_readfirstlane_b32 s22, v2
	v_readfirstlane_b32 s23, v3
	s_and_b64 s[22:23], s[22:23], s[18:19]
	s_mul_i32 s23, s23, 24
	s_mul_hi_u32 s24, s22, 24
	s_mul_i32 s22, s22, 24
	s_add_i32 s23, s24, s23
	v_mov_b32_e32 v2, s23
	v_add_co_u32_e32 v8, vcc, s22, v24
	v_addc_co_u32_e32 v9, vcc, v25, v2, vcc
	global_store_dwordx2 v[8:9], v[12:13], off
	s_waitcnt vmcnt(0)
	global_atomic_cmpswap_x2 v[4:5], v28, v[10:13], s[6:7] offset:32 glc
	s_waitcnt vmcnt(0)
	v_cmp_ne_u64_e32 vcc, v[4:5], v[12:13]
	s_and_saveexec_b64 s[22:23], vcc
	s_cbranch_execz .LBB11_797
; %bb.795:                              ;   in Loop: Header=BB11_730 Depth=1
	s_mov_b64 s[24:25], 0
.LBB11_796:                             ;   Parent Loop BB11_730 Depth=1
                                        ; =>  This Inner Loop Header: Depth=2
	s_sleep 1
	global_store_dwordx2 v[8:9], v[4:5], off
	v_mov_b32_e32 v2, s18
	v_mov_b32_e32 v3, s19
	s_waitcnt vmcnt(0)
	global_atomic_cmpswap_x2 v[2:3], v28, v[2:5], s[6:7] offset:32 glc
	s_waitcnt vmcnt(0)
	v_cmp_eq_u64_e32 vcc, v[2:3], v[4:5]
	v_mov_b32_e32 v5, v3
	s_or_b64 s[24:25], vcc, s[24:25]
	v_mov_b32_e32 v4, v2
	s_andn2_b64 exec, exec, s[24:25]
	s_cbranch_execnz .LBB11_796
.LBB11_797:                             ;   in Loop: Header=BB11_730 Depth=1
	s_or_b64 exec, exec, s[22:23]
	global_load_dwordx2 v[2:3], v28, s[6:7] offset:16
	s_mov_b64 s[24:25], exec
	v_mbcnt_lo_u32_b32 v4, s24, 0
	v_mbcnt_hi_u32_b32 v4, s25, v4
	v_cmp_eq_u32_e32 vcc, 0, v4
	s_and_saveexec_b64 s[22:23], vcc
	s_cbranch_execz .LBB11_799
; %bb.798:                              ;   in Loop: Header=BB11_730 Depth=1
	s_bcnt1_i32_b64 s24, s[24:25]
	v_mov_b32_e32 v27, s24
	s_waitcnt vmcnt(0)
	global_atomic_add_x2 v[2:3], v[27:28], off offset:8
.LBB11_799:                             ;   in Loop: Header=BB11_730 Depth=1
	s_or_b64 exec, exec, s[22:23]
	s_waitcnt vmcnt(0)
	global_load_dwordx2 v[4:5], v[2:3], off offset:16
	s_waitcnt vmcnt(0)
	v_cmp_eq_u64_e32 vcc, 0, v[4:5]
	s_cbranch_vccnz .LBB11_801
; %bb.800:                              ;   in Loop: Header=BB11_730 Depth=1
	global_load_dword v27, v[2:3], off offset:24
	s_waitcnt vmcnt(0)
	v_and_b32_e32 v2, 0xffffff, v27
	v_readfirstlane_b32 m0, v2
	global_store_dwordx2 v[4:5], v[27:28], off
	s_sendmsg sendmsg(MSG_INTERRUPT)
.LBB11_801:                             ;   in Loop: Header=BB11_730 Depth=1
	s_or_b64 exec, exec, s[20:21]
	v_add_co_u32_e32 v2, vcc, v26, v31
	v_addc_co_u32_e32 v3, vcc, 0, v34, vcc
	s_branch .LBB11_805
.LBB11_802:                             ;   in Loop: Header=BB11_805 Depth=2
	s_or_b64 exec, exec, s[20:21]
	v_readfirstlane_b32 s20, v4
	s_cmp_eq_u32 s20, 0
	s_cbranch_scc1 .LBB11_804
; %bb.803:                              ;   in Loop: Header=BB11_805 Depth=2
	s_sleep 1
	s_cbranch_execnz .LBB11_805
	s_branch .LBB11_807
.LBB11_804:                             ;   in Loop: Header=BB11_730 Depth=1
	s_branch .LBB11_807
.LBB11_805:                             ;   Parent Loop BB11_730 Depth=1
                                        ; =>  This Inner Loop Header: Depth=2
	v_mov_b32_e32 v4, 1
	s_and_saveexec_b64 s[20:21], s[4:5]
	s_cbranch_execz .LBB11_802
; %bb.806:                              ;   in Loop: Header=BB11_805 Depth=2
	global_load_dword v4, v[29:30], off offset:20 glc
	s_waitcnt vmcnt(0)
	buffer_wbinvl1_vol
	v_and_b32_e32 v4, 1, v4
	s_branch .LBB11_802
.LBB11_807:                             ;   in Loop: Header=BB11_730 Depth=1
	global_load_dwordx4 v[2:5], v[2:3], off
	s_and_saveexec_b64 s[20:21], s[4:5]
	s_cbranch_execz .LBB11_729
; %bb.808:                              ;   in Loop: Header=BB11_730 Depth=1
	global_load_dwordx2 v[4:5], v28, s[6:7] offset:40
	global_load_dwordx2 v[12:13], v28, s[6:7] offset:24 glc
	global_load_dwordx2 v[14:15], v28, s[6:7]
	v_mov_b32_e32 v9, s19
	s_waitcnt vmcnt(2)
	v_add_co_u32_e32 v10, vcc, 1, v4
	v_addc_co_u32_e32 v11, vcc, 0, v5, vcc
	v_add_co_u32_e32 v8, vcc, s18, v10
	v_addc_co_u32_e32 v9, vcc, v11, v9, vcc
	v_cmp_eq_u64_e32 vcc, 0, v[8:9]
	v_cndmask_b32_e32 v9, v9, v11, vcc
	v_cndmask_b32_e32 v8, v8, v10, vcc
	v_and_b32_e32 v5, v9, v5
	v_and_b32_e32 v4, v8, v4
	v_mul_lo_u32 v5, v5, 24
	v_mul_hi_u32 v11, v4, 24
	v_mul_lo_u32 v4, v4, 24
	s_waitcnt vmcnt(1)
	v_mov_b32_e32 v10, v12
	v_add_u32_e32 v5, v11, v5
	s_waitcnt vmcnt(0)
	v_add_co_u32_e32 v4, vcc, v14, v4
	v_addc_co_u32_e32 v5, vcc, v15, v5, vcc
	global_store_dwordx2 v[4:5], v[12:13], off
	v_mov_b32_e32 v11, v13
	s_waitcnt vmcnt(0)
	global_atomic_cmpswap_x2 v[10:11], v28, v[8:11], s[6:7] offset:24 glc
	s_waitcnt vmcnt(0)
	v_cmp_ne_u64_e32 vcc, v[10:11], v[12:13]
	s_and_b64 exec, exec, vcc
	s_cbranch_execz .LBB11_729
; %bb.809:                              ;   in Loop: Header=BB11_730 Depth=1
	s_mov_b64 s[4:5], 0
.LBB11_810:                             ;   Parent Loop BB11_730 Depth=1
                                        ; =>  This Inner Loop Header: Depth=2
	s_sleep 1
	global_store_dwordx2 v[4:5], v[10:11], off
	s_waitcnt vmcnt(0)
	global_atomic_cmpswap_x2 v[12:13], v28, v[8:11], s[6:7] offset:24 glc
	s_waitcnt vmcnt(0)
	v_cmp_eq_u64_e32 vcc, v[12:13], v[10:11]
	v_mov_b32_e32 v10, v12
	s_or_b64 s[4:5], vcc, s[4:5]
	v_mov_b32_e32 v11, v13
	s_andn2_b64 exec, exec, s[4:5]
	s_cbranch_execnz .LBB11_810
	s_branch .LBB11_729
.LBB11_811:
	s_mov_b64 s[4:5], 0
	s_branch .LBB11_813
.LBB11_812:
	s_mov_b64 s[4:5], -1
                                        ; implicit-def: $vgpr2_vgpr3
.LBB11_813:
	s_and_b64 vcc, exec, s[4:5]
	s_cbranch_vccz .LBB11_840
; %bb.814:
	v_readfirstlane_b32 s4, v32
	v_mov_b32_e32 v8, 0
	v_mov_b32_e32 v9, 0
	v_cmp_eq_u32_e64 s[4:5], s4, v32
	s_and_saveexec_b64 s[12:13], s[4:5]
	s_cbranch_execz .LBB11_820
; %bb.815:
	s_waitcnt vmcnt(0)
	v_mov_b32_e32 v2, 0
	global_load_dwordx2 v[5:6], v2, s[6:7] offset:24 glc
	s_waitcnt vmcnt(0)
	buffer_wbinvl1_vol
	global_load_dwordx2 v[3:4], v2, s[6:7] offset:40
	global_load_dwordx2 v[7:8], v2, s[6:7]
	s_waitcnt vmcnt(1)
	v_and_b32_e32 v3, v3, v5
	v_and_b32_e32 v4, v4, v6
	v_mul_lo_u32 v4, v4, 24
	v_mul_hi_u32 v9, v3, 24
	v_mul_lo_u32 v3, v3, 24
	v_add_u32_e32 v4, v9, v4
	s_waitcnt vmcnt(0)
	v_add_co_u32_e32 v3, vcc, v7, v3
	v_addc_co_u32_e32 v4, vcc, v8, v4, vcc
	global_load_dwordx2 v[3:4], v[3:4], off glc
	s_waitcnt vmcnt(0)
	global_atomic_cmpswap_x2 v[8:9], v2, v[3:6], s[6:7] offset:24 glc
	s_waitcnt vmcnt(0)
	buffer_wbinvl1_vol
	v_cmp_ne_u64_e32 vcc, v[8:9], v[5:6]
	s_and_saveexec_b64 s[14:15], vcc
	s_cbranch_execz .LBB11_819
; %bb.816:
	s_mov_b64 s[16:17], 0
.LBB11_817:                             ; =>This Inner Loop Header: Depth=1
	s_sleep 1
	global_load_dwordx2 v[3:4], v2, s[6:7] offset:40
	global_load_dwordx2 v[10:11], v2, s[6:7]
	v_mov_b32_e32 v5, v8
	v_mov_b32_e32 v6, v9
	s_waitcnt vmcnt(1)
	v_and_b32_e32 v3, v3, v5
	s_waitcnt vmcnt(0)
	v_mad_u64_u32 v[7:8], s[18:19], v3, 24, v[10:11]
	v_and_b32_e32 v4, v4, v6
	v_mov_b32_e32 v3, v8
	v_mad_u64_u32 v[3:4], s[18:19], v4, 24, v[3:4]
	v_mov_b32_e32 v8, v3
	global_load_dwordx2 v[3:4], v[7:8], off glc
	s_waitcnt vmcnt(0)
	global_atomic_cmpswap_x2 v[8:9], v2, v[3:6], s[6:7] offset:24 glc
	s_waitcnt vmcnt(0)
	buffer_wbinvl1_vol
	v_cmp_eq_u64_e32 vcc, v[8:9], v[5:6]
	s_or_b64 s[16:17], vcc, s[16:17]
	s_andn2_b64 exec, exec, s[16:17]
	s_cbranch_execnz .LBB11_817
; %bb.818:
	s_or_b64 exec, exec, s[16:17]
.LBB11_819:
	s_or_b64 exec, exec, s[14:15]
.LBB11_820:
	s_or_b64 exec, exec, s[12:13]
	s_waitcnt vmcnt(0)
	v_mov_b32_e32 v2, 0
	global_load_dwordx2 v[10:11], v2, s[6:7] offset:40
	global_load_dwordx4 v[4:7], v2, s[6:7]
	v_readfirstlane_b32 s12, v8
	v_readfirstlane_b32 s13, v9
	s_mov_b64 s[14:15], exec
	s_waitcnt vmcnt(1)
	v_readfirstlane_b32 s16, v10
	v_readfirstlane_b32 s17, v11
	s_and_b64 s[16:17], s[12:13], s[16:17]
	s_mul_i32 s18, s17, 24
	s_mul_hi_u32 s19, s16, 24
	s_mul_i32 s20, s16, 24
	s_add_i32 s18, s19, s18
	v_mov_b32_e32 v3, s18
	s_waitcnt vmcnt(0)
	v_add_co_u32_e32 v8, vcc, s20, v4
	v_addc_co_u32_e32 v9, vcc, v5, v3, vcc
	s_and_saveexec_b64 s[18:19], s[4:5]
	s_cbranch_execz .LBB11_822
; %bb.821:
	v_mov_b32_e32 v10, s14
	v_mov_b32_e32 v11, s15
	;; [unrolled: 1-line block ×4, first 2 shown]
	global_store_dwordx4 v[8:9], v[10:13], off offset:8
.LBB11_822:
	s_or_b64 exec, exec, s[18:19]
	s_lshl_b64 s[14:15], s[16:17], 12
	v_mov_b32_e32 v3, s15
	v_add_co_u32_e32 v10, vcc, s14, v6
	v_addc_co_u32_e32 v11, vcc, v7, v3, vcc
	s_movk_i32 s14, 0xff1f
	v_and_or_b32 v0, v0, s14, 32
	s_mov_b32 s16, 0
	v_mov_b32_e32 v3, v2
	v_readfirstlane_b32 s14, v10
	v_readfirstlane_b32 s15, v11
	v_add_co_u32_e32 v6, vcc, v10, v31
	s_mov_b32 s17, s16
	s_mov_b32 s18, s16
	;; [unrolled: 1-line block ×3, first 2 shown]
	s_nop 0
	global_store_dwordx4 v31, v[0:3], s[14:15]
	v_addc_co_u32_e32 v7, vcc, 0, v11, vcc
	v_mov_b32_e32 v0, s16
	v_mov_b32_e32 v1, s17
	v_mov_b32_e32 v2, s18
	v_mov_b32_e32 v3, s19
	global_store_dwordx4 v31, v[0:3], s[14:15] offset:16
	global_store_dwordx4 v31, v[0:3], s[14:15] offset:32
	;; [unrolled: 1-line block ×3, first 2 shown]
	s_and_saveexec_b64 s[14:15], s[4:5]
	s_cbranch_execz .LBB11_830
; %bb.823:
	v_mov_b32_e32 v10, 0
	global_load_dwordx2 v[13:14], v10, s[6:7] offset:32 glc
	global_load_dwordx2 v[0:1], v10, s[6:7] offset:40
	v_mov_b32_e32 v11, s12
	v_mov_b32_e32 v12, s13
	s_waitcnt vmcnt(0)
	v_readfirstlane_b32 s16, v0
	v_readfirstlane_b32 s17, v1
	s_and_b64 s[16:17], s[16:17], s[12:13]
	s_mul_i32 s17, s17, 24
	s_mul_hi_u32 s18, s16, 24
	s_mul_i32 s16, s16, 24
	s_add_i32 s17, s18, s17
	v_mov_b32_e32 v0, s17
	v_add_co_u32_e32 v4, vcc, s16, v4
	v_addc_co_u32_e32 v5, vcc, v5, v0, vcc
	global_store_dwordx2 v[4:5], v[13:14], off
	s_waitcnt vmcnt(0)
	global_atomic_cmpswap_x2 v[2:3], v10, v[11:14], s[6:7] offset:32 glc
	s_waitcnt vmcnt(0)
	v_cmp_ne_u64_e32 vcc, v[2:3], v[13:14]
	s_and_saveexec_b64 s[16:17], vcc
	s_cbranch_execz .LBB11_826
; %bb.824:
	s_mov_b64 s[18:19], 0
.LBB11_825:                             ; =>This Inner Loop Header: Depth=1
	s_sleep 1
	global_store_dwordx2 v[4:5], v[2:3], off
	v_mov_b32_e32 v0, s12
	v_mov_b32_e32 v1, s13
	s_waitcnt vmcnt(0)
	global_atomic_cmpswap_x2 v[0:1], v10, v[0:3], s[6:7] offset:32 glc
	s_waitcnt vmcnt(0)
	v_cmp_eq_u64_e32 vcc, v[0:1], v[2:3]
	v_mov_b32_e32 v3, v1
	s_or_b64 s[18:19], vcc, s[18:19]
	v_mov_b32_e32 v2, v0
	s_andn2_b64 exec, exec, s[18:19]
	s_cbranch_execnz .LBB11_825
.LBB11_826:
	s_or_b64 exec, exec, s[16:17]
	v_mov_b32_e32 v3, 0
	global_load_dwordx2 v[0:1], v3, s[6:7] offset:16
	s_mov_b64 s[16:17], exec
	v_mbcnt_lo_u32_b32 v2, s16, 0
	v_mbcnt_hi_u32_b32 v2, s17, v2
	v_cmp_eq_u32_e32 vcc, 0, v2
	s_and_saveexec_b64 s[18:19], vcc
	s_cbranch_execz .LBB11_828
; %bb.827:
	s_bcnt1_i32_b64 s16, s[16:17]
	v_mov_b32_e32 v2, s16
	s_waitcnt vmcnt(0)
	global_atomic_add_x2 v[0:1], v[2:3], off offset:8
.LBB11_828:
	s_or_b64 exec, exec, s[18:19]
	s_waitcnt vmcnt(0)
	global_load_dwordx2 v[2:3], v[0:1], off offset:16
	s_waitcnt vmcnt(0)
	v_cmp_eq_u64_e32 vcc, 0, v[2:3]
	s_cbranch_vccnz .LBB11_830
; %bb.829:
	global_load_dword v0, v[0:1], off offset:24
	v_mov_b32_e32 v1, 0
	s_waitcnt vmcnt(0)
	global_store_dwordx2 v[2:3], v[0:1], off
	v_and_b32_e32 v0, 0xffffff, v0
	v_readfirstlane_b32 m0, v0
	s_sendmsg sendmsg(MSG_INTERRUPT)
.LBB11_830:
	s_or_b64 exec, exec, s[14:15]
	s_branch .LBB11_834
.LBB11_831:                             ;   in Loop: Header=BB11_834 Depth=1
	s_or_b64 exec, exec, s[14:15]
	v_readfirstlane_b32 s14, v0
	s_cmp_eq_u32 s14, 0
	s_cbranch_scc1 .LBB11_833
; %bb.832:                              ;   in Loop: Header=BB11_834 Depth=1
	s_sleep 1
	s_cbranch_execnz .LBB11_834
	s_branch .LBB11_836
.LBB11_833:
	s_branch .LBB11_836
.LBB11_834:                             ; =>This Inner Loop Header: Depth=1
	v_mov_b32_e32 v0, 1
	s_and_saveexec_b64 s[14:15], s[4:5]
	s_cbranch_execz .LBB11_831
; %bb.835:                              ;   in Loop: Header=BB11_834 Depth=1
	global_load_dword v0, v[8:9], off offset:20 glc
	s_waitcnt vmcnt(0)
	buffer_wbinvl1_vol
	v_and_b32_e32 v0, 1, v0
	s_branch .LBB11_831
.LBB11_836:
	global_load_dwordx2 v[2:3], v[6:7], off
	s_and_saveexec_b64 s[14:15], s[4:5]
	s_cbranch_execz .LBB11_839
; %bb.837:
	v_mov_b32_e32 v8, 0
	global_load_dwordx2 v[0:1], v8, s[6:7] offset:40
	global_load_dwordx2 v[9:10], v8, s[6:7] offset:24 glc
	global_load_dwordx2 v[11:12], v8, s[6:7]
	v_mov_b32_e32 v5, s13
	s_mov_b64 s[4:5], 0
	s_waitcnt vmcnt(2)
	v_add_co_u32_e32 v6, vcc, 1, v0
	v_addc_co_u32_e32 v7, vcc, 0, v1, vcc
	v_add_co_u32_e32 v4, vcc, s12, v6
	v_addc_co_u32_e32 v5, vcc, v7, v5, vcc
	v_cmp_eq_u64_e32 vcc, 0, v[4:5]
	v_cndmask_b32_e32 v5, v5, v7, vcc
	v_cndmask_b32_e32 v4, v4, v6, vcc
	v_and_b32_e32 v1, v5, v1
	v_and_b32_e32 v0, v4, v0
	v_mul_lo_u32 v1, v1, 24
	v_mul_hi_u32 v7, v0, 24
	v_mul_lo_u32 v0, v0, 24
	s_waitcnt vmcnt(1)
	v_mov_b32_e32 v6, v9
	v_add_u32_e32 v1, v7, v1
	s_waitcnt vmcnt(0)
	v_add_co_u32_e32 v0, vcc, v11, v0
	v_addc_co_u32_e32 v1, vcc, v12, v1, vcc
	global_store_dwordx2 v[0:1], v[9:10], off
	v_mov_b32_e32 v7, v10
	s_waitcnt vmcnt(0)
	global_atomic_cmpswap_x2 v[6:7], v8, v[4:7], s[6:7] offset:24 glc
	s_waitcnt vmcnt(0)
	v_cmp_ne_u64_e32 vcc, v[6:7], v[9:10]
	s_and_b64 exec, exec, vcc
	s_cbranch_execz .LBB11_839
.LBB11_838:                             ; =>This Inner Loop Header: Depth=1
	s_sleep 1
	global_store_dwordx2 v[0:1], v[6:7], off
	s_waitcnt vmcnt(0)
	global_atomic_cmpswap_x2 v[9:10], v8, v[4:7], s[6:7] offset:24 glc
	s_waitcnt vmcnt(0)
	v_cmp_eq_u64_e32 vcc, v[9:10], v[6:7]
	v_mov_b32_e32 v6, v9
	s_or_b64 s[4:5], vcc, s[4:5]
	v_mov_b32_e32 v7, v10
	s_andn2_b64 exec, exec, s[4:5]
	s_cbranch_execnz .LBB11_838
.LBB11_839:
	s_or_b64 exec, exec, s[14:15]
.LBB11_840:
	v_readfirstlane_b32 s4, v32
	s_waitcnt vmcnt(0)
	v_mov_b32_e32 v0, 0
	v_mov_b32_e32 v1, 0
	v_cmp_eq_u32_e64 s[4:5], s4, v32
	s_and_saveexec_b64 s[12:13], s[4:5]
	s_cbranch_execz .LBB11_846
; %bb.841:
	v_mov_b32_e32 v4, 0
	global_load_dwordx2 v[7:8], v4, s[6:7] offset:24 glc
	s_waitcnt vmcnt(0)
	buffer_wbinvl1_vol
	global_load_dwordx2 v[0:1], v4, s[6:7] offset:40
	global_load_dwordx2 v[5:6], v4, s[6:7]
	s_waitcnt vmcnt(1)
	v_and_b32_e32 v0, v0, v7
	v_and_b32_e32 v1, v1, v8
	v_mul_lo_u32 v1, v1, 24
	v_mul_hi_u32 v9, v0, 24
	v_mul_lo_u32 v0, v0, 24
	v_add_u32_e32 v1, v9, v1
	s_waitcnt vmcnt(0)
	v_add_co_u32_e32 v0, vcc, v5, v0
	v_addc_co_u32_e32 v1, vcc, v6, v1, vcc
	global_load_dwordx2 v[5:6], v[0:1], off glc
	s_waitcnt vmcnt(0)
	global_atomic_cmpswap_x2 v[0:1], v4, v[5:8], s[6:7] offset:24 glc
	s_waitcnt vmcnt(0)
	buffer_wbinvl1_vol
	v_cmp_ne_u64_e32 vcc, v[0:1], v[7:8]
	s_and_saveexec_b64 s[14:15], vcc
	s_cbranch_execz .LBB11_845
; %bb.842:
	s_mov_b64 s[16:17], 0
.LBB11_843:                             ; =>This Inner Loop Header: Depth=1
	s_sleep 1
	global_load_dwordx2 v[5:6], v4, s[6:7] offset:40
	global_load_dwordx2 v[9:10], v4, s[6:7]
	v_mov_b32_e32 v8, v1
	v_mov_b32_e32 v7, v0
	s_waitcnt vmcnt(1)
	v_and_b32_e32 v0, v5, v7
	s_waitcnt vmcnt(0)
	v_mad_u64_u32 v[0:1], s[18:19], v0, 24, v[9:10]
	v_and_b32_e32 v5, v6, v8
	v_mad_u64_u32 v[5:6], s[18:19], v5, 24, v[1:2]
	v_mov_b32_e32 v1, v5
	global_load_dwordx2 v[5:6], v[0:1], off glc
	s_waitcnt vmcnt(0)
	global_atomic_cmpswap_x2 v[0:1], v4, v[5:8], s[6:7] offset:24 glc
	s_waitcnt vmcnt(0)
	buffer_wbinvl1_vol
	v_cmp_eq_u64_e32 vcc, v[0:1], v[7:8]
	s_or_b64 s[16:17], vcc, s[16:17]
	s_andn2_b64 exec, exec, s[16:17]
	s_cbranch_execnz .LBB11_843
; %bb.844:
	s_or_b64 exec, exec, s[16:17]
.LBB11_845:
	s_or_b64 exec, exec, s[14:15]
.LBB11_846:
	s_or_b64 exec, exec, s[12:13]
	v_mov_b32_e32 v5, 0
	global_load_dwordx2 v[10:11], v5, s[6:7] offset:40
	global_load_dwordx4 v[6:9], v5, s[6:7]
	v_readfirstlane_b32 s12, v0
	v_readfirstlane_b32 s13, v1
	s_mov_b64 s[14:15], exec
	s_waitcnt vmcnt(1)
	v_readfirstlane_b32 s16, v10
	v_readfirstlane_b32 s17, v11
	s_and_b64 s[16:17], s[12:13], s[16:17]
	s_mul_i32 s18, s17, 24
	s_mul_hi_u32 s19, s16, 24
	s_mul_i32 s20, s16, 24
	s_add_i32 s18, s19, s18
	v_mov_b32_e32 v0, s18
	s_waitcnt vmcnt(0)
	v_add_co_u32_e32 v10, vcc, s20, v6
	v_addc_co_u32_e32 v11, vcc, v7, v0, vcc
	s_and_saveexec_b64 s[18:19], s[4:5]
	s_cbranch_execz .LBB11_848
; %bb.847:
	v_mov_b32_e32 v12, s14
	v_mov_b32_e32 v13, s15
	;; [unrolled: 1-line block ×4, first 2 shown]
	global_store_dwordx4 v[10:11], v[12:15], off offset:8
.LBB11_848:
	s_or_b64 exec, exec, s[18:19]
	s_lshl_b64 s[14:15], s[16:17], 12
	v_mov_b32_e32 v0, s15
	v_add_co_u32_e32 v1, vcc, s14, v8
	v_addc_co_u32_e32 v0, vcc, v9, v0, vcc
	s_movk_i32 s14, 0xff1d
	v_and_or_b32 v2, v2, s14, 34
	s_mov_b32 s16, 0
	v_mov_b32_e32 v4, 58
	v_readfirstlane_b32 s14, v1
	v_readfirstlane_b32 s15, v0
	s_mov_b32 s17, s16
	s_mov_b32 s18, s16
	s_mov_b32 s19, s16
	s_nop 1
	global_store_dwordx4 v31, v[2:5], s[14:15]
	v_mov_b32_e32 v0, s16
	v_mov_b32_e32 v1, s17
	;; [unrolled: 1-line block ×4, first 2 shown]
	global_store_dwordx4 v31, v[0:3], s[14:15] offset:16
	global_store_dwordx4 v31, v[0:3], s[14:15] offset:32
	;; [unrolled: 1-line block ×3, first 2 shown]
	s_and_saveexec_b64 s[14:15], s[4:5]
	s_cbranch_execz .LBB11_856
; %bb.849:
	v_mov_b32_e32 v8, 0
	global_load_dwordx2 v[14:15], v8, s[6:7] offset:32 glc
	global_load_dwordx2 v[0:1], v8, s[6:7] offset:40
	v_mov_b32_e32 v12, s12
	v_mov_b32_e32 v13, s13
	s_waitcnt vmcnt(0)
	v_readfirstlane_b32 s16, v0
	v_readfirstlane_b32 s17, v1
	s_and_b64 s[16:17], s[16:17], s[12:13]
	s_mul_i32 s17, s17, 24
	s_mul_hi_u32 s18, s16, 24
	s_mul_i32 s16, s16, 24
	s_add_i32 s17, s18, s17
	v_mov_b32_e32 v0, s17
	v_add_co_u32_e32 v4, vcc, s16, v6
	v_addc_co_u32_e32 v5, vcc, v7, v0, vcc
	global_store_dwordx2 v[4:5], v[14:15], off
	s_waitcnt vmcnt(0)
	global_atomic_cmpswap_x2 v[2:3], v8, v[12:15], s[6:7] offset:32 glc
	s_waitcnt vmcnt(0)
	v_cmp_ne_u64_e32 vcc, v[2:3], v[14:15]
	s_and_saveexec_b64 s[16:17], vcc
	s_cbranch_execz .LBB11_852
; %bb.850:
	s_mov_b64 s[18:19], 0
.LBB11_851:                             ; =>This Inner Loop Header: Depth=1
	s_sleep 1
	global_store_dwordx2 v[4:5], v[2:3], off
	v_mov_b32_e32 v0, s12
	v_mov_b32_e32 v1, s13
	s_waitcnt vmcnt(0)
	global_atomic_cmpswap_x2 v[0:1], v8, v[0:3], s[6:7] offset:32 glc
	s_waitcnt vmcnt(0)
	v_cmp_eq_u64_e32 vcc, v[0:1], v[2:3]
	v_mov_b32_e32 v3, v1
	s_or_b64 s[18:19], vcc, s[18:19]
	v_mov_b32_e32 v2, v0
	s_andn2_b64 exec, exec, s[18:19]
	s_cbranch_execnz .LBB11_851
.LBB11_852:
	s_or_b64 exec, exec, s[16:17]
	v_mov_b32_e32 v3, 0
	global_load_dwordx2 v[0:1], v3, s[6:7] offset:16
	s_mov_b64 s[16:17], exec
	v_mbcnt_lo_u32_b32 v2, s16, 0
	v_mbcnt_hi_u32_b32 v2, s17, v2
	v_cmp_eq_u32_e32 vcc, 0, v2
	s_and_saveexec_b64 s[18:19], vcc
	s_cbranch_execz .LBB11_854
; %bb.853:
	s_bcnt1_i32_b64 s16, s[16:17]
	v_mov_b32_e32 v2, s16
	s_waitcnt vmcnt(0)
	global_atomic_add_x2 v[0:1], v[2:3], off offset:8
.LBB11_854:
	s_or_b64 exec, exec, s[18:19]
	s_waitcnt vmcnt(0)
	global_load_dwordx2 v[2:3], v[0:1], off offset:16
	s_waitcnt vmcnt(0)
	v_cmp_eq_u64_e32 vcc, 0, v[2:3]
	s_cbranch_vccnz .LBB11_856
; %bb.855:
	global_load_dword v0, v[0:1], off offset:24
	v_mov_b32_e32 v1, 0
	s_waitcnt vmcnt(0)
	global_store_dwordx2 v[2:3], v[0:1], off
	v_and_b32_e32 v0, 0xffffff, v0
	v_readfirstlane_b32 m0, v0
	s_sendmsg sendmsg(MSG_INTERRUPT)
.LBB11_856:
	s_or_b64 exec, exec, s[14:15]
	s_branch .LBB11_860
.LBB11_857:                             ;   in Loop: Header=BB11_860 Depth=1
	s_or_b64 exec, exec, s[14:15]
	v_readfirstlane_b32 s14, v0
	s_cmp_eq_u32 s14, 0
	s_cbranch_scc1 .LBB11_859
; %bb.858:                              ;   in Loop: Header=BB11_860 Depth=1
	s_sleep 1
	s_cbranch_execnz .LBB11_860
	s_branch .LBB11_862
.LBB11_859:
	s_branch .LBB11_862
.LBB11_860:                             ; =>This Inner Loop Header: Depth=1
	v_mov_b32_e32 v0, 1
	s_and_saveexec_b64 s[14:15], s[4:5]
	s_cbranch_execz .LBB11_857
; %bb.861:                              ;   in Loop: Header=BB11_860 Depth=1
	global_load_dword v0, v[10:11], off offset:20 glc
	s_waitcnt vmcnt(0)
	buffer_wbinvl1_vol
	v_and_b32_e32 v0, 1, v0
	s_branch .LBB11_857
.LBB11_862:
	s_and_saveexec_b64 s[14:15], s[4:5]
	s_cbranch_execz .LBB11_865
; %bb.863:
	v_mov_b32_e32 v6, 0
	global_load_dwordx2 v[2:3], v6, s[6:7] offset:40
	global_load_dwordx2 v[7:8], v6, s[6:7] offset:24 glc
	global_load_dwordx2 v[4:5], v6, s[6:7]
	v_mov_b32_e32 v1, s13
	s_mov_b64 s[4:5], 0
	s_waitcnt vmcnt(2)
	v_add_co_u32_e32 v9, vcc, 1, v2
	v_addc_co_u32_e32 v10, vcc, 0, v3, vcc
	v_add_co_u32_e32 v0, vcc, s12, v9
	v_addc_co_u32_e32 v1, vcc, v10, v1, vcc
	v_cmp_eq_u64_e32 vcc, 0, v[0:1]
	v_cndmask_b32_e32 v1, v1, v10, vcc
	v_cndmask_b32_e32 v0, v0, v9, vcc
	v_and_b32_e32 v3, v1, v3
	v_and_b32_e32 v2, v0, v2
	v_mul_lo_u32 v3, v3, 24
	v_mul_hi_u32 v9, v2, 24
	v_mul_lo_u32 v10, v2, 24
	s_waitcnt vmcnt(1)
	v_mov_b32_e32 v2, v7
	v_add_u32_e32 v3, v9, v3
	s_waitcnt vmcnt(0)
	v_add_co_u32_e32 v4, vcc, v4, v10
	v_addc_co_u32_e32 v5, vcc, v5, v3, vcc
	global_store_dwordx2 v[4:5], v[7:8], off
	v_mov_b32_e32 v3, v8
	s_waitcnt vmcnt(0)
	global_atomic_cmpswap_x2 v[2:3], v6, v[0:3], s[6:7] offset:24 glc
	s_waitcnt vmcnt(0)
	v_cmp_ne_u64_e32 vcc, v[2:3], v[7:8]
	s_and_b64 exec, exec, vcc
	s_cbranch_execz .LBB11_865
.LBB11_864:                             ; =>This Inner Loop Header: Depth=1
	s_sleep 1
	global_store_dwordx2 v[4:5], v[2:3], off
	s_waitcnt vmcnt(0)
	global_atomic_cmpswap_x2 v[7:8], v6, v[0:3], s[6:7] offset:24 glc
	s_waitcnt vmcnt(0)
	v_cmp_eq_u64_e32 vcc, v[7:8], v[2:3]
	v_mov_b32_e32 v2, v7
	s_or_b64 s[4:5], vcc, s[4:5]
	v_mov_b32_e32 v3, v8
	s_andn2_b64 exec, exec, s[4:5]
	s_cbranch_execnz .LBB11_864
.LBB11_865:
	s_or_b64 exec, exec, s[14:15]
	v_readfirstlane_b32 s4, v32
	v_mov_b32_e32 v5, 0
	v_mov_b32_e32 v6, 0
	v_cmp_eq_u32_e64 s[4:5], s4, v32
	s_and_saveexec_b64 s[12:13], s[4:5]
	s_cbranch_execz .LBB11_871
; %bb.866:
	v_mov_b32_e32 v0, 0
	global_load_dwordx2 v[3:4], v0, s[6:7] offset:24 glc
	s_waitcnt vmcnt(0)
	buffer_wbinvl1_vol
	global_load_dwordx2 v[1:2], v0, s[6:7] offset:40
	global_load_dwordx2 v[5:6], v0, s[6:7]
	s_waitcnt vmcnt(1)
	v_and_b32_e32 v1, v1, v3
	v_and_b32_e32 v2, v2, v4
	v_mul_lo_u32 v2, v2, 24
	v_mul_hi_u32 v7, v1, 24
	v_mul_lo_u32 v1, v1, 24
	v_add_u32_e32 v2, v7, v2
	s_waitcnt vmcnt(0)
	v_add_co_u32_e32 v1, vcc, v5, v1
	v_addc_co_u32_e32 v2, vcc, v6, v2, vcc
	global_load_dwordx2 v[1:2], v[1:2], off glc
	s_waitcnt vmcnt(0)
	global_atomic_cmpswap_x2 v[5:6], v0, v[1:4], s[6:7] offset:24 glc
	s_waitcnt vmcnt(0)
	buffer_wbinvl1_vol
	v_cmp_ne_u64_e32 vcc, v[5:6], v[3:4]
	s_and_saveexec_b64 s[14:15], vcc
	s_cbranch_execz .LBB11_870
; %bb.867:
	s_mov_b64 s[16:17], 0
.LBB11_868:                             ; =>This Inner Loop Header: Depth=1
	s_sleep 1
	global_load_dwordx2 v[1:2], v0, s[6:7] offset:40
	global_load_dwordx2 v[7:8], v0, s[6:7]
	v_mov_b32_e32 v3, v5
	v_mov_b32_e32 v4, v6
	s_waitcnt vmcnt(1)
	v_and_b32_e32 v1, v1, v3
	s_waitcnt vmcnt(0)
	v_mad_u64_u32 v[5:6], s[18:19], v1, 24, v[7:8]
	v_and_b32_e32 v2, v2, v4
	v_mov_b32_e32 v1, v6
	v_mad_u64_u32 v[1:2], s[18:19], v2, 24, v[1:2]
	v_mov_b32_e32 v6, v1
	global_load_dwordx2 v[1:2], v[5:6], off glc
	s_waitcnt vmcnt(0)
	global_atomic_cmpswap_x2 v[5:6], v0, v[1:4], s[6:7] offset:24 glc
	s_waitcnt vmcnt(0)
	buffer_wbinvl1_vol
	v_cmp_eq_u64_e32 vcc, v[5:6], v[3:4]
	s_or_b64 s[16:17], vcc, s[16:17]
	s_andn2_b64 exec, exec, s[16:17]
	s_cbranch_execnz .LBB11_868
; %bb.869:
	s_or_b64 exec, exec, s[16:17]
.LBB11_870:
	s_or_b64 exec, exec, s[14:15]
.LBB11_871:
	s_or_b64 exec, exec, s[12:13]
	v_mov_b32_e32 v4, 0
	global_load_dwordx2 v[7:8], v4, s[6:7] offset:40
	global_load_dwordx4 v[0:3], v4, s[6:7]
	v_readfirstlane_b32 s12, v5
	v_readfirstlane_b32 s13, v6
	s_mov_b64 s[14:15], exec
	s_waitcnt vmcnt(1)
	v_readfirstlane_b32 s16, v7
	v_readfirstlane_b32 s17, v8
	s_and_b64 s[16:17], s[12:13], s[16:17]
	s_mul_i32 s18, s17, 24
	s_mul_hi_u32 s19, s16, 24
	s_mul_i32 s20, s16, 24
	s_add_i32 s18, s19, s18
	v_mov_b32_e32 v5, s18
	s_waitcnt vmcnt(0)
	v_add_co_u32_e32 v7, vcc, s20, v0
	v_addc_co_u32_e32 v8, vcc, v1, v5, vcc
	s_and_saveexec_b64 s[18:19], s[4:5]
	s_cbranch_execz .LBB11_873
; %bb.872:
	v_mov_b32_e32 v9, s14
	v_mov_b32_e32 v10, s15
	v_mov_b32_e32 v11, 2
	v_mov_b32_e32 v12, 1
	global_store_dwordx4 v[7:8], v[9:12], off offset:8
.LBB11_873:
	s_or_b64 exec, exec, s[18:19]
	s_lshl_b64 s[14:15], s[16:17], 12
	v_mov_b32_e32 v5, s15
	v_add_co_u32_e32 v2, vcc, s14, v2
	v_addc_co_u32_e32 v11, vcc, v3, v5, vcc
	s_mov_b32 s16, 0
	v_mov_b32_e32 v3, 33
	v_mov_b32_e32 v5, v4
	v_mov_b32_e32 v6, v4
	v_readfirstlane_b32 s14, v2
	v_readfirstlane_b32 s15, v11
	v_add_co_u32_e32 v9, vcc, v2, v31
	s_mov_b32 s17, s16
	s_mov_b32 s18, s16
	;; [unrolled: 1-line block ×3, first 2 shown]
	s_nop 0
	global_store_dwordx4 v31, v[3:6], s[14:15]
	v_mov_b32_e32 v2, s16
	v_addc_co_u32_e32 v10, vcc, 0, v11, vcc
	v_mov_b32_e32 v3, s17
	v_mov_b32_e32 v4, s18
	;; [unrolled: 1-line block ×3, first 2 shown]
	global_store_dwordx4 v31, v[2:5], s[14:15] offset:16
	global_store_dwordx4 v31, v[2:5], s[14:15] offset:32
	;; [unrolled: 1-line block ×3, first 2 shown]
	s_and_saveexec_b64 s[14:15], s[4:5]
	s_cbranch_execz .LBB11_881
; %bb.874:
	v_mov_b32_e32 v6, 0
	global_load_dwordx2 v[13:14], v6, s[6:7] offset:32 glc
	global_load_dwordx2 v[2:3], v6, s[6:7] offset:40
	v_mov_b32_e32 v11, s12
	v_mov_b32_e32 v12, s13
	s_waitcnt vmcnt(0)
	v_readfirstlane_b32 s16, v2
	v_readfirstlane_b32 s17, v3
	s_and_b64 s[16:17], s[16:17], s[12:13]
	s_mul_i32 s17, s17, 24
	s_mul_hi_u32 s18, s16, 24
	s_mul_i32 s16, s16, 24
	s_add_i32 s17, s18, s17
	v_mov_b32_e32 v2, s17
	v_add_co_u32_e32 v4, vcc, s16, v0
	v_addc_co_u32_e32 v5, vcc, v1, v2, vcc
	global_store_dwordx2 v[4:5], v[13:14], off
	s_waitcnt vmcnt(0)
	global_atomic_cmpswap_x2 v[2:3], v6, v[11:14], s[6:7] offset:32 glc
	s_waitcnt vmcnt(0)
	v_cmp_ne_u64_e32 vcc, v[2:3], v[13:14]
	s_and_saveexec_b64 s[16:17], vcc
	s_cbranch_execz .LBB11_877
; %bb.875:
	s_mov_b64 s[18:19], 0
.LBB11_876:                             ; =>This Inner Loop Header: Depth=1
	s_sleep 1
	global_store_dwordx2 v[4:5], v[2:3], off
	v_mov_b32_e32 v0, s12
	v_mov_b32_e32 v1, s13
	s_waitcnt vmcnt(0)
	global_atomic_cmpswap_x2 v[0:1], v6, v[0:3], s[6:7] offset:32 glc
	s_waitcnt vmcnt(0)
	v_cmp_eq_u64_e32 vcc, v[0:1], v[2:3]
	v_mov_b32_e32 v3, v1
	s_or_b64 s[18:19], vcc, s[18:19]
	v_mov_b32_e32 v2, v0
	s_andn2_b64 exec, exec, s[18:19]
	s_cbranch_execnz .LBB11_876
.LBB11_877:
	s_or_b64 exec, exec, s[16:17]
	v_mov_b32_e32 v3, 0
	global_load_dwordx2 v[0:1], v3, s[6:7] offset:16
	s_mov_b64 s[16:17], exec
	v_mbcnt_lo_u32_b32 v2, s16, 0
	v_mbcnt_hi_u32_b32 v2, s17, v2
	v_cmp_eq_u32_e32 vcc, 0, v2
	s_and_saveexec_b64 s[18:19], vcc
	s_cbranch_execz .LBB11_879
; %bb.878:
	s_bcnt1_i32_b64 s16, s[16:17]
	v_mov_b32_e32 v2, s16
	s_waitcnt vmcnt(0)
	global_atomic_add_x2 v[0:1], v[2:3], off offset:8
.LBB11_879:
	s_or_b64 exec, exec, s[18:19]
	s_waitcnt vmcnt(0)
	global_load_dwordx2 v[2:3], v[0:1], off offset:16
	s_waitcnt vmcnt(0)
	v_cmp_eq_u64_e32 vcc, 0, v[2:3]
	s_cbranch_vccnz .LBB11_881
; %bb.880:
	global_load_dword v0, v[0:1], off offset:24
	v_mov_b32_e32 v1, 0
	s_waitcnt vmcnt(0)
	global_store_dwordx2 v[2:3], v[0:1], off
	v_and_b32_e32 v0, 0xffffff, v0
	v_readfirstlane_b32 m0, v0
	s_sendmsg sendmsg(MSG_INTERRUPT)
.LBB11_881:
	s_or_b64 exec, exec, s[14:15]
	s_branch .LBB11_885
.LBB11_882:                             ;   in Loop: Header=BB11_885 Depth=1
	s_or_b64 exec, exec, s[14:15]
	v_readfirstlane_b32 s14, v0
	s_cmp_eq_u32 s14, 0
	s_cbranch_scc1 .LBB11_884
; %bb.883:                              ;   in Loop: Header=BB11_885 Depth=1
	s_sleep 1
	s_cbranch_execnz .LBB11_885
	s_branch .LBB11_887
.LBB11_884:
	s_branch .LBB11_887
.LBB11_885:                             ; =>This Inner Loop Header: Depth=1
	v_mov_b32_e32 v0, 1
	s_and_saveexec_b64 s[14:15], s[4:5]
	s_cbranch_execz .LBB11_882
; %bb.886:                              ;   in Loop: Header=BB11_885 Depth=1
	global_load_dword v0, v[7:8], off offset:20 glc
	s_waitcnt vmcnt(0)
	buffer_wbinvl1_vol
	v_and_b32_e32 v0, 1, v0
	s_branch .LBB11_882
.LBB11_887:
	global_load_dwordx2 v[0:1], v[9:10], off
	s_and_saveexec_b64 s[14:15], s[4:5]
	s_cbranch_execz .LBB11_890
; %bb.888:
	v_mov_b32_e32 v8, 0
	global_load_dwordx2 v[4:5], v8, s[6:7] offset:40
	global_load_dwordx2 v[9:10], v8, s[6:7] offset:24 glc
	global_load_dwordx2 v[6:7], v8, s[6:7]
	v_mov_b32_e32 v3, s13
	s_mov_b64 s[4:5], 0
	s_waitcnt vmcnt(2)
	v_add_co_u32_e32 v11, vcc, 1, v4
	v_addc_co_u32_e32 v12, vcc, 0, v5, vcc
	v_add_co_u32_e32 v2, vcc, s12, v11
	v_addc_co_u32_e32 v3, vcc, v12, v3, vcc
	v_cmp_eq_u64_e32 vcc, 0, v[2:3]
	v_cndmask_b32_e32 v3, v3, v12, vcc
	v_cndmask_b32_e32 v2, v2, v11, vcc
	v_and_b32_e32 v5, v3, v5
	v_and_b32_e32 v4, v2, v4
	v_mul_lo_u32 v5, v5, 24
	v_mul_hi_u32 v11, v4, 24
	v_mul_lo_u32 v12, v4, 24
	s_waitcnt vmcnt(1)
	v_mov_b32_e32 v4, v9
	v_add_u32_e32 v5, v11, v5
	s_waitcnt vmcnt(0)
	v_add_co_u32_e32 v6, vcc, v6, v12
	v_addc_co_u32_e32 v7, vcc, v7, v5, vcc
	global_store_dwordx2 v[6:7], v[9:10], off
	v_mov_b32_e32 v5, v10
	s_waitcnt vmcnt(0)
	global_atomic_cmpswap_x2 v[4:5], v8, v[2:5], s[6:7] offset:24 glc
	s_waitcnt vmcnt(0)
	v_cmp_ne_u64_e32 vcc, v[4:5], v[9:10]
	s_and_b64 exec, exec, vcc
	s_cbranch_execz .LBB11_890
.LBB11_889:                             ; =>This Inner Loop Header: Depth=1
	s_sleep 1
	global_store_dwordx2 v[6:7], v[4:5], off
	s_waitcnt vmcnt(0)
	global_atomic_cmpswap_x2 v[9:10], v8, v[2:5], s[6:7] offset:24 glc
	s_waitcnt vmcnt(0)
	v_cmp_eq_u64_e32 vcc, v[9:10], v[4:5]
	v_mov_b32_e32 v4, v9
	s_or_b64 s[4:5], vcc, s[4:5]
	v_mov_b32_e32 v5, v10
	s_andn2_b64 exec, exec, s[4:5]
	s_cbranch_execnz .LBB11_889
.LBB11_890:
	s_or_b64 exec, exec, s[14:15]
	s_getpc_b64 s[12:13]
	s_add_u32 s12, s12, .str.7@rel32@lo+4
	s_addc_u32 s13, s13, .str.7@rel32@hi+12
	s_cmp_lg_u64 s[12:13], 0
	s_cbranch_scc0 .LBB11_975
; %bb.891:
	s_waitcnt vmcnt(0)
	v_and_b32_e32 v33, 2, v0
	v_mov_b32_e32 v28, 0
	v_and_b32_e32 v2, -3, v0
	v_mov_b32_e32 v3, v1
	s_mov_b64 s[14:15], 4
	v_mov_b32_e32 v6, 2
	v_mov_b32_e32 v7, 1
	s_branch .LBB11_893
.LBB11_892:                             ;   in Loop: Header=BB11_893 Depth=1
	s_or_b64 exec, exec, s[20:21]
	s_sub_u32 s14, s14, s16
	s_subb_u32 s15, s15, s17
	s_add_u32 s12, s12, s16
	s_addc_u32 s13, s13, s17
	s_cmp_lg_u64 s[14:15], 0
	s_cbranch_scc0 .LBB11_974
.LBB11_893:                             ; =>This Loop Header: Depth=1
                                        ;     Child Loop BB11_896 Depth 2
                                        ;     Child Loop BB11_903 Depth 2
	;; [unrolled: 1-line block ×11, first 2 shown]
	v_cmp_lt_u64_e64 s[4:5], s[14:15], 56
	v_cmp_gt_u64_e64 s[18:19], s[14:15], 7
	s_and_b64 s[4:5], s[4:5], exec
	s_cselect_b32 s17, s15, 0
	s_cselect_b32 s16, s14, 56
	s_and_b64 vcc, exec, s[18:19]
	s_cbranch_vccnz .LBB11_898
; %bb.894:                              ;   in Loop: Header=BB11_893 Depth=1
	v_mov_b32_e32 v10, 0
	s_cmp_eq_u64 s[14:15], 0
	v_mov_b32_e32 v11, 0
	s_mov_b64 s[4:5], 0
	s_cbranch_scc1 .LBB11_897
; %bb.895:                              ;   in Loop: Header=BB11_893 Depth=1
	v_mov_b32_e32 v10, 0
	s_lshl_b64 s[18:19], s[16:17], 3
	s_mov_b64 s[20:21], 0
	v_mov_b32_e32 v11, 0
	s_mov_b64 s[22:23], s[12:13]
.LBB11_896:                             ;   Parent Loop BB11_893 Depth=1
                                        ; =>  This Inner Loop Header: Depth=2
	global_load_ubyte v4, v28, s[22:23]
	s_waitcnt vmcnt(0)
	v_and_b32_e32 v27, 0xffff, v4
	v_lshlrev_b64 v[4:5], s20, v[27:28]
	s_add_u32 s20, s20, 8
	s_addc_u32 s21, s21, 0
	s_add_u32 s22, s22, 1
	s_addc_u32 s23, s23, 0
	v_or_b32_e32 v10, v4, v10
	s_cmp_lg_u32 s18, s20
	v_or_b32_e32 v11, v5, v11
	s_cbranch_scc1 .LBB11_896
.LBB11_897:                             ;   in Loop: Header=BB11_893 Depth=1
	s_mov_b32 s22, 0
	s_andn2_b64 vcc, exec, s[4:5]
	s_mov_b64 s[4:5], s[12:13]
	s_cbranch_vccz .LBB11_899
	s_branch .LBB11_900
.LBB11_898:                             ;   in Loop: Header=BB11_893 Depth=1
                                        ; implicit-def: $vgpr10_vgpr11
                                        ; implicit-def: $sgpr22
	s_mov_b64 s[4:5], s[12:13]
.LBB11_899:                             ;   in Loop: Header=BB11_893 Depth=1
	global_load_dwordx2 v[10:11], v28, s[12:13]
	s_add_i32 s22, s16, -8
	s_add_u32 s4, s12, 8
	s_addc_u32 s5, s13, 0
.LBB11_900:                             ;   in Loop: Header=BB11_893 Depth=1
	s_cmp_gt_u32 s22, 7
	s_cbranch_scc1 .LBB11_904
; %bb.901:                              ;   in Loop: Header=BB11_893 Depth=1
	s_cmp_eq_u32 s22, 0
	s_cbranch_scc1 .LBB11_905
; %bb.902:                              ;   in Loop: Header=BB11_893 Depth=1
	v_mov_b32_e32 v12, 0
	s_mov_b64 s[18:19], 0
	v_mov_b32_e32 v13, 0
	s_mov_b64 s[20:21], 0
.LBB11_903:                             ;   Parent Loop BB11_893 Depth=1
                                        ; =>  This Inner Loop Header: Depth=2
	s_add_u32 s24, s4, s20
	s_addc_u32 s25, s5, s21
	global_load_ubyte v4, v28, s[24:25]
	s_add_u32 s20, s20, 1
	s_addc_u32 s21, s21, 0
	s_waitcnt vmcnt(0)
	v_and_b32_e32 v27, 0xffff, v4
	v_lshlrev_b64 v[4:5], s18, v[27:28]
	s_add_u32 s18, s18, 8
	s_addc_u32 s19, s19, 0
	v_or_b32_e32 v12, v4, v12
	s_cmp_lg_u32 s22, s20
	v_or_b32_e32 v13, v5, v13
	s_cbranch_scc1 .LBB11_903
	s_branch .LBB11_906
.LBB11_904:                             ;   in Loop: Header=BB11_893 Depth=1
                                        ; implicit-def: $vgpr12_vgpr13
                                        ; implicit-def: $sgpr23
	s_branch .LBB11_907
.LBB11_905:                             ;   in Loop: Header=BB11_893 Depth=1
	v_mov_b32_e32 v12, 0
	v_mov_b32_e32 v13, 0
.LBB11_906:                             ;   in Loop: Header=BB11_893 Depth=1
	s_mov_b32 s23, 0
	s_cbranch_execnz .LBB11_908
.LBB11_907:                             ;   in Loop: Header=BB11_893 Depth=1
	global_load_dwordx2 v[12:13], v28, s[4:5]
	s_add_i32 s23, s22, -8
	s_add_u32 s4, s4, 8
	s_addc_u32 s5, s5, 0
.LBB11_908:                             ;   in Loop: Header=BB11_893 Depth=1
	s_cmp_gt_u32 s23, 7
	s_cbranch_scc1 .LBB11_912
; %bb.909:                              ;   in Loop: Header=BB11_893 Depth=1
	s_cmp_eq_u32 s23, 0
	s_cbranch_scc1 .LBB11_913
; %bb.910:                              ;   in Loop: Header=BB11_893 Depth=1
	v_mov_b32_e32 v14, 0
	s_mov_b64 s[18:19], 0
	v_mov_b32_e32 v15, 0
	s_mov_b64 s[20:21], 0
.LBB11_911:                             ;   Parent Loop BB11_893 Depth=1
                                        ; =>  This Inner Loop Header: Depth=2
	s_add_u32 s24, s4, s20
	s_addc_u32 s25, s5, s21
	global_load_ubyte v4, v28, s[24:25]
	s_add_u32 s20, s20, 1
	s_addc_u32 s21, s21, 0
	s_waitcnt vmcnt(0)
	v_and_b32_e32 v27, 0xffff, v4
	v_lshlrev_b64 v[4:5], s18, v[27:28]
	s_add_u32 s18, s18, 8
	s_addc_u32 s19, s19, 0
	v_or_b32_e32 v14, v4, v14
	s_cmp_lg_u32 s23, s20
	v_or_b32_e32 v15, v5, v15
	s_cbranch_scc1 .LBB11_911
	s_branch .LBB11_914
.LBB11_912:                             ;   in Loop: Header=BB11_893 Depth=1
                                        ; implicit-def: $sgpr22
	s_branch .LBB11_915
.LBB11_913:                             ;   in Loop: Header=BB11_893 Depth=1
	v_mov_b32_e32 v14, 0
	v_mov_b32_e32 v15, 0
.LBB11_914:                             ;   in Loop: Header=BB11_893 Depth=1
	s_mov_b32 s22, 0
	s_cbranch_execnz .LBB11_916
.LBB11_915:                             ;   in Loop: Header=BB11_893 Depth=1
	global_load_dwordx2 v[14:15], v28, s[4:5]
	s_add_i32 s22, s23, -8
	s_add_u32 s4, s4, 8
	s_addc_u32 s5, s5, 0
.LBB11_916:                             ;   in Loop: Header=BB11_893 Depth=1
	s_cmp_gt_u32 s22, 7
	s_cbranch_scc1 .LBB11_920
; %bb.917:                              ;   in Loop: Header=BB11_893 Depth=1
	s_cmp_eq_u32 s22, 0
	s_cbranch_scc1 .LBB11_921
; %bb.918:                              ;   in Loop: Header=BB11_893 Depth=1
	v_mov_b32_e32 v16, 0
	s_mov_b64 s[18:19], 0
	v_mov_b32_e32 v17, 0
	s_mov_b64 s[20:21], 0
.LBB11_919:                             ;   Parent Loop BB11_893 Depth=1
                                        ; =>  This Inner Loop Header: Depth=2
	s_add_u32 s24, s4, s20
	s_addc_u32 s25, s5, s21
	global_load_ubyte v4, v28, s[24:25]
	s_add_u32 s20, s20, 1
	s_addc_u32 s21, s21, 0
	s_waitcnt vmcnt(0)
	v_and_b32_e32 v27, 0xffff, v4
	v_lshlrev_b64 v[4:5], s18, v[27:28]
	s_add_u32 s18, s18, 8
	s_addc_u32 s19, s19, 0
	v_or_b32_e32 v16, v4, v16
	s_cmp_lg_u32 s22, s20
	v_or_b32_e32 v17, v5, v17
	s_cbranch_scc1 .LBB11_919
	s_branch .LBB11_922
.LBB11_920:                             ;   in Loop: Header=BB11_893 Depth=1
                                        ; implicit-def: $vgpr16_vgpr17
                                        ; implicit-def: $sgpr23
	s_branch .LBB11_923
.LBB11_921:                             ;   in Loop: Header=BB11_893 Depth=1
	v_mov_b32_e32 v16, 0
	v_mov_b32_e32 v17, 0
.LBB11_922:                             ;   in Loop: Header=BB11_893 Depth=1
	s_mov_b32 s23, 0
	s_cbranch_execnz .LBB11_924
.LBB11_923:                             ;   in Loop: Header=BB11_893 Depth=1
	global_load_dwordx2 v[16:17], v28, s[4:5]
	s_add_i32 s23, s22, -8
	s_add_u32 s4, s4, 8
	s_addc_u32 s5, s5, 0
.LBB11_924:                             ;   in Loop: Header=BB11_893 Depth=1
	s_cmp_gt_u32 s23, 7
	s_cbranch_scc1 .LBB11_928
; %bb.925:                              ;   in Loop: Header=BB11_893 Depth=1
	s_cmp_eq_u32 s23, 0
	s_cbranch_scc1 .LBB11_929
; %bb.926:                              ;   in Loop: Header=BB11_893 Depth=1
	v_mov_b32_e32 v18, 0
	s_mov_b64 s[18:19], 0
	v_mov_b32_e32 v19, 0
	s_mov_b64 s[20:21], 0
.LBB11_927:                             ;   Parent Loop BB11_893 Depth=1
                                        ; =>  This Inner Loop Header: Depth=2
	s_add_u32 s24, s4, s20
	s_addc_u32 s25, s5, s21
	global_load_ubyte v4, v28, s[24:25]
	s_add_u32 s20, s20, 1
	s_addc_u32 s21, s21, 0
	s_waitcnt vmcnt(0)
	v_and_b32_e32 v27, 0xffff, v4
	v_lshlrev_b64 v[4:5], s18, v[27:28]
	s_add_u32 s18, s18, 8
	s_addc_u32 s19, s19, 0
	v_or_b32_e32 v18, v4, v18
	s_cmp_lg_u32 s23, s20
	v_or_b32_e32 v19, v5, v19
	s_cbranch_scc1 .LBB11_927
	s_branch .LBB11_930
.LBB11_928:                             ;   in Loop: Header=BB11_893 Depth=1
                                        ; implicit-def: $sgpr22
	s_branch .LBB11_931
.LBB11_929:                             ;   in Loop: Header=BB11_893 Depth=1
	v_mov_b32_e32 v18, 0
	v_mov_b32_e32 v19, 0
.LBB11_930:                             ;   in Loop: Header=BB11_893 Depth=1
	s_mov_b32 s22, 0
	s_cbranch_execnz .LBB11_932
.LBB11_931:                             ;   in Loop: Header=BB11_893 Depth=1
	global_load_dwordx2 v[18:19], v28, s[4:5]
	s_add_i32 s22, s23, -8
	s_add_u32 s4, s4, 8
	s_addc_u32 s5, s5, 0
.LBB11_932:                             ;   in Loop: Header=BB11_893 Depth=1
	s_cmp_gt_u32 s22, 7
	s_cbranch_scc1 .LBB11_936
; %bb.933:                              ;   in Loop: Header=BB11_893 Depth=1
	s_cmp_eq_u32 s22, 0
	s_cbranch_scc1 .LBB11_937
; %bb.934:                              ;   in Loop: Header=BB11_893 Depth=1
	v_mov_b32_e32 v20, 0
	s_mov_b64 s[18:19], 0
	v_mov_b32_e32 v21, 0
	s_mov_b64 s[20:21], 0
.LBB11_935:                             ;   Parent Loop BB11_893 Depth=1
                                        ; =>  This Inner Loop Header: Depth=2
	s_add_u32 s24, s4, s20
	s_addc_u32 s25, s5, s21
	global_load_ubyte v4, v28, s[24:25]
	s_add_u32 s20, s20, 1
	s_addc_u32 s21, s21, 0
	s_waitcnt vmcnt(0)
	v_and_b32_e32 v27, 0xffff, v4
	v_lshlrev_b64 v[4:5], s18, v[27:28]
	s_add_u32 s18, s18, 8
	s_addc_u32 s19, s19, 0
	v_or_b32_e32 v20, v4, v20
	s_cmp_lg_u32 s22, s20
	v_or_b32_e32 v21, v5, v21
	s_cbranch_scc1 .LBB11_935
	s_branch .LBB11_938
.LBB11_936:                             ;   in Loop: Header=BB11_893 Depth=1
                                        ; implicit-def: $vgpr20_vgpr21
                                        ; implicit-def: $sgpr23
	s_branch .LBB11_939
.LBB11_937:                             ;   in Loop: Header=BB11_893 Depth=1
	v_mov_b32_e32 v20, 0
	v_mov_b32_e32 v21, 0
.LBB11_938:                             ;   in Loop: Header=BB11_893 Depth=1
	s_mov_b32 s23, 0
	s_cbranch_execnz .LBB11_940
.LBB11_939:                             ;   in Loop: Header=BB11_893 Depth=1
	global_load_dwordx2 v[20:21], v28, s[4:5]
	s_add_i32 s23, s22, -8
	s_add_u32 s4, s4, 8
	s_addc_u32 s5, s5, 0
.LBB11_940:                             ;   in Loop: Header=BB11_893 Depth=1
	s_cmp_gt_u32 s23, 7
	s_cbranch_scc1 .LBB11_944
; %bb.941:                              ;   in Loop: Header=BB11_893 Depth=1
	s_cmp_eq_u32 s23, 0
	s_cbranch_scc1 .LBB11_945
; %bb.942:                              ;   in Loop: Header=BB11_893 Depth=1
	v_mov_b32_e32 v22, 0
	s_mov_b64 s[18:19], 0
	v_mov_b32_e32 v23, 0
	s_mov_b64 s[20:21], s[4:5]
.LBB11_943:                             ;   Parent Loop BB11_893 Depth=1
                                        ; =>  This Inner Loop Header: Depth=2
	global_load_ubyte v4, v28, s[20:21]
	s_add_i32 s23, s23, -1
	s_waitcnt vmcnt(0)
	v_and_b32_e32 v27, 0xffff, v4
	v_lshlrev_b64 v[4:5], s18, v[27:28]
	s_add_u32 s18, s18, 8
	s_addc_u32 s19, s19, 0
	s_add_u32 s20, s20, 1
	s_addc_u32 s21, s21, 0
	v_or_b32_e32 v22, v4, v22
	s_cmp_lg_u32 s23, 0
	v_or_b32_e32 v23, v5, v23
	s_cbranch_scc1 .LBB11_943
	s_branch .LBB11_946
.LBB11_944:                             ;   in Loop: Header=BB11_893 Depth=1
	s_branch .LBB11_947
.LBB11_945:                             ;   in Loop: Header=BB11_893 Depth=1
	v_mov_b32_e32 v22, 0
	v_mov_b32_e32 v23, 0
.LBB11_946:                             ;   in Loop: Header=BB11_893 Depth=1
	s_cbranch_execnz .LBB11_948
.LBB11_947:                             ;   in Loop: Header=BB11_893 Depth=1
	global_load_dwordx2 v[22:23], v28, s[4:5]
.LBB11_948:                             ;   in Loop: Header=BB11_893 Depth=1
	v_readfirstlane_b32 s4, v32
	s_waitcnt vmcnt(0)
	v_mov_b32_e32 v4, 0
	v_mov_b32_e32 v5, 0
	v_cmp_eq_u32_e64 s[4:5], s4, v32
	s_and_saveexec_b64 s[18:19], s[4:5]
	s_cbranch_execz .LBB11_954
; %bb.949:                              ;   in Loop: Header=BB11_893 Depth=1
	global_load_dwordx2 v[26:27], v28, s[6:7] offset:24 glc
	s_waitcnt vmcnt(0)
	buffer_wbinvl1_vol
	global_load_dwordx2 v[4:5], v28, s[6:7] offset:40
	global_load_dwordx2 v[8:9], v28, s[6:7]
	s_waitcnt vmcnt(1)
	v_and_b32_e32 v4, v4, v26
	v_and_b32_e32 v5, v5, v27
	v_mul_lo_u32 v5, v5, 24
	v_mul_hi_u32 v24, v4, 24
	v_mul_lo_u32 v4, v4, 24
	v_add_u32_e32 v5, v24, v5
	s_waitcnt vmcnt(0)
	v_add_co_u32_e32 v4, vcc, v8, v4
	v_addc_co_u32_e32 v5, vcc, v9, v5, vcc
	global_load_dwordx2 v[24:25], v[4:5], off glc
	s_waitcnt vmcnt(0)
	global_atomic_cmpswap_x2 v[4:5], v28, v[24:27], s[6:7] offset:24 glc
	s_waitcnt vmcnt(0)
	buffer_wbinvl1_vol
	v_cmp_ne_u64_e32 vcc, v[4:5], v[26:27]
	s_and_saveexec_b64 s[20:21], vcc
	s_cbranch_execz .LBB11_953
; %bb.950:                              ;   in Loop: Header=BB11_893 Depth=1
	s_mov_b64 s[22:23], 0
.LBB11_951:                             ;   Parent Loop BB11_893 Depth=1
                                        ; =>  This Inner Loop Header: Depth=2
	s_sleep 1
	global_load_dwordx2 v[8:9], v28, s[6:7] offset:40
	global_load_dwordx2 v[24:25], v28, s[6:7]
	v_mov_b32_e32 v27, v5
	v_mov_b32_e32 v26, v4
	s_waitcnt vmcnt(1)
	v_and_b32_e32 v4, v8, v26
	s_waitcnt vmcnt(0)
	v_mad_u64_u32 v[4:5], s[24:25], v4, 24, v[24:25]
	v_and_b32_e32 v8, v9, v27
	v_mad_u64_u32 v[8:9], s[24:25], v8, 24, v[5:6]
	v_mov_b32_e32 v5, v8
	global_load_dwordx2 v[24:25], v[4:5], off glc
	s_waitcnt vmcnt(0)
	global_atomic_cmpswap_x2 v[4:5], v28, v[24:27], s[6:7] offset:24 glc
	s_waitcnt vmcnt(0)
	buffer_wbinvl1_vol
	v_cmp_eq_u64_e32 vcc, v[4:5], v[26:27]
	s_or_b64 s[22:23], vcc, s[22:23]
	s_andn2_b64 exec, exec, s[22:23]
	s_cbranch_execnz .LBB11_951
; %bb.952:                              ;   in Loop: Header=BB11_893 Depth=1
	s_or_b64 exec, exec, s[22:23]
.LBB11_953:                             ;   in Loop: Header=BB11_893 Depth=1
	s_or_b64 exec, exec, s[20:21]
.LBB11_954:                             ;   in Loop: Header=BB11_893 Depth=1
	s_or_b64 exec, exec, s[18:19]
	global_load_dwordx2 v[8:9], v28, s[6:7] offset:40
	global_load_dwordx4 v[24:27], v28, s[6:7]
	v_readfirstlane_b32 s18, v4
	v_readfirstlane_b32 s19, v5
	s_mov_b64 s[20:21], exec
	s_waitcnt vmcnt(1)
	v_readfirstlane_b32 s22, v8
	v_readfirstlane_b32 s23, v9
	s_and_b64 s[22:23], s[18:19], s[22:23]
	s_mul_i32 s24, s23, 24
	s_mul_hi_u32 s25, s22, 24
	s_mul_i32 s26, s22, 24
	s_add_i32 s24, s25, s24
	v_mov_b32_e32 v4, s24
	s_waitcnt vmcnt(0)
	v_add_co_u32_e32 v29, vcc, s26, v24
	v_addc_co_u32_e32 v30, vcc, v25, v4, vcc
	s_and_saveexec_b64 s[24:25], s[4:5]
	s_cbranch_execz .LBB11_956
; %bb.955:                              ;   in Loop: Header=BB11_893 Depth=1
	v_mov_b32_e32 v4, s20
	v_mov_b32_e32 v5, s21
	global_store_dwordx4 v[29:30], v[4:7], off offset:8
.LBB11_956:                             ;   in Loop: Header=BB11_893 Depth=1
	s_or_b64 exec, exec, s[24:25]
	s_lshl_b64 s[20:21], s[22:23], 12
	v_mov_b32_e32 v4, s21
	v_add_co_u32_e32 v26, vcc, s20, v26
	v_addc_co_u32_e32 v34, vcc, v27, v4, vcc
	v_cmp_gt_u64_e64 vcc, s[14:15], 56
	v_or_b32_e32 v5, v2, v33
	s_lshl_b32 s20, s16, 2
	v_cndmask_b32_e32 v2, v5, v2, vcc
	s_add_i32 s20, s20, 28
	v_or_b32_e32 v4, 0, v3
	s_and_b32 s20, s20, 0x1e0
	v_and_b32_e32 v2, 0xffffff1f, v2
	v_cndmask_b32_e32 v9, v4, v3, vcc
	v_or_b32_e32 v8, s20, v2
	v_readfirstlane_b32 s20, v26
	v_readfirstlane_b32 s21, v34
	s_nop 4
	global_store_dwordx4 v31, v[8:11], s[20:21]
	global_store_dwordx4 v31, v[12:15], s[20:21] offset:16
	global_store_dwordx4 v31, v[16:19], s[20:21] offset:32
	;; [unrolled: 1-line block ×3, first 2 shown]
	s_and_saveexec_b64 s[20:21], s[4:5]
	s_cbranch_execz .LBB11_964
; %bb.957:                              ;   in Loop: Header=BB11_893 Depth=1
	global_load_dwordx2 v[12:13], v28, s[6:7] offset:32 glc
	global_load_dwordx2 v[2:3], v28, s[6:7] offset:40
	v_mov_b32_e32 v10, s18
	v_mov_b32_e32 v11, s19
	s_waitcnt vmcnt(0)
	v_readfirstlane_b32 s22, v2
	v_readfirstlane_b32 s23, v3
	s_and_b64 s[22:23], s[22:23], s[18:19]
	s_mul_i32 s23, s23, 24
	s_mul_hi_u32 s24, s22, 24
	s_mul_i32 s22, s22, 24
	s_add_i32 s23, s24, s23
	v_mov_b32_e32 v2, s23
	v_add_co_u32_e32 v8, vcc, s22, v24
	v_addc_co_u32_e32 v9, vcc, v25, v2, vcc
	global_store_dwordx2 v[8:9], v[12:13], off
	s_waitcnt vmcnt(0)
	global_atomic_cmpswap_x2 v[4:5], v28, v[10:13], s[6:7] offset:32 glc
	s_waitcnt vmcnt(0)
	v_cmp_ne_u64_e32 vcc, v[4:5], v[12:13]
	s_and_saveexec_b64 s[22:23], vcc
	s_cbranch_execz .LBB11_960
; %bb.958:                              ;   in Loop: Header=BB11_893 Depth=1
	s_mov_b64 s[24:25], 0
.LBB11_959:                             ;   Parent Loop BB11_893 Depth=1
                                        ; =>  This Inner Loop Header: Depth=2
	s_sleep 1
	global_store_dwordx2 v[8:9], v[4:5], off
	v_mov_b32_e32 v2, s18
	v_mov_b32_e32 v3, s19
	s_waitcnt vmcnt(0)
	global_atomic_cmpswap_x2 v[2:3], v28, v[2:5], s[6:7] offset:32 glc
	s_waitcnt vmcnt(0)
	v_cmp_eq_u64_e32 vcc, v[2:3], v[4:5]
	v_mov_b32_e32 v5, v3
	s_or_b64 s[24:25], vcc, s[24:25]
	v_mov_b32_e32 v4, v2
	s_andn2_b64 exec, exec, s[24:25]
	s_cbranch_execnz .LBB11_959
.LBB11_960:                             ;   in Loop: Header=BB11_893 Depth=1
	s_or_b64 exec, exec, s[22:23]
	global_load_dwordx2 v[2:3], v28, s[6:7] offset:16
	s_mov_b64 s[24:25], exec
	v_mbcnt_lo_u32_b32 v4, s24, 0
	v_mbcnt_hi_u32_b32 v4, s25, v4
	v_cmp_eq_u32_e32 vcc, 0, v4
	s_and_saveexec_b64 s[22:23], vcc
	s_cbranch_execz .LBB11_962
; %bb.961:                              ;   in Loop: Header=BB11_893 Depth=1
	s_bcnt1_i32_b64 s24, s[24:25]
	v_mov_b32_e32 v27, s24
	s_waitcnt vmcnt(0)
	global_atomic_add_x2 v[2:3], v[27:28], off offset:8
.LBB11_962:                             ;   in Loop: Header=BB11_893 Depth=1
	s_or_b64 exec, exec, s[22:23]
	s_waitcnt vmcnt(0)
	global_load_dwordx2 v[4:5], v[2:3], off offset:16
	s_waitcnt vmcnt(0)
	v_cmp_eq_u64_e32 vcc, 0, v[4:5]
	s_cbranch_vccnz .LBB11_964
; %bb.963:                              ;   in Loop: Header=BB11_893 Depth=1
	global_load_dword v27, v[2:3], off offset:24
	s_waitcnt vmcnt(0)
	v_and_b32_e32 v2, 0xffffff, v27
	v_readfirstlane_b32 m0, v2
	global_store_dwordx2 v[4:5], v[27:28], off
	s_sendmsg sendmsg(MSG_INTERRUPT)
.LBB11_964:                             ;   in Loop: Header=BB11_893 Depth=1
	s_or_b64 exec, exec, s[20:21]
	v_add_co_u32_e32 v2, vcc, v26, v31
	v_addc_co_u32_e32 v3, vcc, 0, v34, vcc
	s_branch .LBB11_968
.LBB11_965:                             ;   in Loop: Header=BB11_968 Depth=2
	s_or_b64 exec, exec, s[20:21]
	v_readfirstlane_b32 s20, v4
	s_cmp_eq_u32 s20, 0
	s_cbranch_scc1 .LBB11_967
; %bb.966:                              ;   in Loop: Header=BB11_968 Depth=2
	s_sleep 1
	s_cbranch_execnz .LBB11_968
	s_branch .LBB11_970
.LBB11_967:                             ;   in Loop: Header=BB11_893 Depth=1
	s_branch .LBB11_970
.LBB11_968:                             ;   Parent Loop BB11_893 Depth=1
                                        ; =>  This Inner Loop Header: Depth=2
	v_mov_b32_e32 v4, 1
	s_and_saveexec_b64 s[20:21], s[4:5]
	s_cbranch_execz .LBB11_965
; %bb.969:                              ;   in Loop: Header=BB11_968 Depth=2
	global_load_dword v4, v[29:30], off offset:20 glc
	s_waitcnt vmcnt(0)
	buffer_wbinvl1_vol
	v_and_b32_e32 v4, 1, v4
	s_branch .LBB11_965
.LBB11_970:                             ;   in Loop: Header=BB11_893 Depth=1
	global_load_dwordx4 v[2:5], v[2:3], off
	s_and_saveexec_b64 s[20:21], s[4:5]
	s_cbranch_execz .LBB11_892
; %bb.971:                              ;   in Loop: Header=BB11_893 Depth=1
	global_load_dwordx2 v[4:5], v28, s[6:7] offset:40
	global_load_dwordx2 v[12:13], v28, s[6:7] offset:24 glc
	global_load_dwordx2 v[14:15], v28, s[6:7]
	v_mov_b32_e32 v9, s19
	s_waitcnt vmcnt(2)
	v_add_co_u32_e32 v10, vcc, 1, v4
	v_addc_co_u32_e32 v11, vcc, 0, v5, vcc
	v_add_co_u32_e32 v8, vcc, s18, v10
	v_addc_co_u32_e32 v9, vcc, v11, v9, vcc
	v_cmp_eq_u64_e32 vcc, 0, v[8:9]
	v_cndmask_b32_e32 v9, v9, v11, vcc
	v_cndmask_b32_e32 v8, v8, v10, vcc
	v_and_b32_e32 v5, v9, v5
	v_and_b32_e32 v4, v8, v4
	v_mul_lo_u32 v5, v5, 24
	v_mul_hi_u32 v11, v4, 24
	v_mul_lo_u32 v4, v4, 24
	s_waitcnt vmcnt(1)
	v_mov_b32_e32 v10, v12
	v_add_u32_e32 v5, v11, v5
	s_waitcnt vmcnt(0)
	v_add_co_u32_e32 v4, vcc, v14, v4
	v_addc_co_u32_e32 v5, vcc, v15, v5, vcc
	global_store_dwordx2 v[4:5], v[12:13], off
	v_mov_b32_e32 v11, v13
	s_waitcnt vmcnt(0)
	global_atomic_cmpswap_x2 v[10:11], v28, v[8:11], s[6:7] offset:24 glc
	s_waitcnt vmcnt(0)
	v_cmp_ne_u64_e32 vcc, v[10:11], v[12:13]
	s_and_b64 exec, exec, vcc
	s_cbranch_execz .LBB11_892
; %bb.972:                              ;   in Loop: Header=BB11_893 Depth=1
	s_mov_b64 s[4:5], 0
.LBB11_973:                             ;   Parent Loop BB11_893 Depth=1
                                        ; =>  This Inner Loop Header: Depth=2
	s_sleep 1
	global_store_dwordx2 v[4:5], v[10:11], off
	s_waitcnt vmcnt(0)
	global_atomic_cmpswap_x2 v[12:13], v28, v[8:11], s[6:7] offset:24 glc
	s_waitcnt vmcnt(0)
	v_cmp_eq_u64_e32 vcc, v[12:13], v[10:11]
	v_mov_b32_e32 v10, v12
	s_or_b64 s[4:5], vcc, s[4:5]
	v_mov_b32_e32 v11, v13
	s_andn2_b64 exec, exec, s[4:5]
	s_cbranch_execnz .LBB11_973
	s_branch .LBB11_892
.LBB11_974:
	s_mov_b64 s[4:5], 0
	s_branch .LBB11_976
.LBB11_975:
	s_mov_b64 s[4:5], -1
                                        ; implicit-def: $vgpr2_vgpr3
.LBB11_976:
	s_and_b64 vcc, exec, s[4:5]
	s_cbranch_vccz .LBB11_1003
; %bb.977:
	v_readfirstlane_b32 s4, v32
	v_mov_b32_e32 v8, 0
	v_mov_b32_e32 v9, 0
	v_cmp_eq_u32_e64 s[4:5], s4, v32
	s_and_saveexec_b64 s[12:13], s[4:5]
	s_cbranch_execz .LBB11_983
; %bb.978:
	s_waitcnt vmcnt(0)
	v_mov_b32_e32 v2, 0
	global_load_dwordx2 v[5:6], v2, s[6:7] offset:24 glc
	s_waitcnt vmcnt(0)
	buffer_wbinvl1_vol
	global_load_dwordx2 v[3:4], v2, s[6:7] offset:40
	global_load_dwordx2 v[7:8], v2, s[6:7]
	s_waitcnt vmcnt(1)
	v_and_b32_e32 v3, v3, v5
	v_and_b32_e32 v4, v4, v6
	v_mul_lo_u32 v4, v4, 24
	v_mul_hi_u32 v9, v3, 24
	v_mul_lo_u32 v3, v3, 24
	v_add_u32_e32 v4, v9, v4
	s_waitcnt vmcnt(0)
	v_add_co_u32_e32 v3, vcc, v7, v3
	v_addc_co_u32_e32 v4, vcc, v8, v4, vcc
	global_load_dwordx2 v[3:4], v[3:4], off glc
	s_waitcnt vmcnt(0)
	global_atomic_cmpswap_x2 v[8:9], v2, v[3:6], s[6:7] offset:24 glc
	s_waitcnt vmcnt(0)
	buffer_wbinvl1_vol
	v_cmp_ne_u64_e32 vcc, v[8:9], v[5:6]
	s_and_saveexec_b64 s[14:15], vcc
	s_cbranch_execz .LBB11_982
; %bb.979:
	s_mov_b64 s[16:17], 0
.LBB11_980:                             ; =>This Inner Loop Header: Depth=1
	s_sleep 1
	global_load_dwordx2 v[3:4], v2, s[6:7] offset:40
	global_load_dwordx2 v[10:11], v2, s[6:7]
	v_mov_b32_e32 v5, v8
	v_mov_b32_e32 v6, v9
	s_waitcnt vmcnt(1)
	v_and_b32_e32 v3, v3, v5
	s_waitcnt vmcnt(0)
	v_mad_u64_u32 v[7:8], s[18:19], v3, 24, v[10:11]
	v_and_b32_e32 v4, v4, v6
	v_mov_b32_e32 v3, v8
	v_mad_u64_u32 v[3:4], s[18:19], v4, 24, v[3:4]
	v_mov_b32_e32 v8, v3
	global_load_dwordx2 v[3:4], v[7:8], off glc
	s_waitcnt vmcnt(0)
	global_atomic_cmpswap_x2 v[8:9], v2, v[3:6], s[6:7] offset:24 glc
	s_waitcnt vmcnt(0)
	buffer_wbinvl1_vol
	v_cmp_eq_u64_e32 vcc, v[8:9], v[5:6]
	s_or_b64 s[16:17], vcc, s[16:17]
	s_andn2_b64 exec, exec, s[16:17]
	s_cbranch_execnz .LBB11_980
; %bb.981:
	s_or_b64 exec, exec, s[16:17]
.LBB11_982:
	s_or_b64 exec, exec, s[14:15]
.LBB11_983:
	s_or_b64 exec, exec, s[12:13]
	s_waitcnt vmcnt(0)
	v_mov_b32_e32 v2, 0
	global_load_dwordx2 v[10:11], v2, s[6:7] offset:40
	global_load_dwordx4 v[4:7], v2, s[6:7]
	v_readfirstlane_b32 s12, v8
	v_readfirstlane_b32 s13, v9
	s_mov_b64 s[14:15], exec
	s_waitcnt vmcnt(1)
	v_readfirstlane_b32 s16, v10
	v_readfirstlane_b32 s17, v11
	s_and_b64 s[16:17], s[12:13], s[16:17]
	s_mul_i32 s18, s17, 24
	s_mul_hi_u32 s19, s16, 24
	s_mul_i32 s20, s16, 24
	s_add_i32 s18, s19, s18
	v_mov_b32_e32 v3, s18
	s_waitcnt vmcnt(0)
	v_add_co_u32_e32 v8, vcc, s20, v4
	v_addc_co_u32_e32 v9, vcc, v5, v3, vcc
	s_and_saveexec_b64 s[18:19], s[4:5]
	s_cbranch_execz .LBB11_985
; %bb.984:
	v_mov_b32_e32 v10, s14
	v_mov_b32_e32 v11, s15
	;; [unrolled: 1-line block ×4, first 2 shown]
	global_store_dwordx4 v[8:9], v[10:13], off offset:8
.LBB11_985:
	s_or_b64 exec, exec, s[18:19]
	s_lshl_b64 s[14:15], s[16:17], 12
	v_mov_b32_e32 v3, s15
	v_add_co_u32_e32 v10, vcc, s14, v6
	v_addc_co_u32_e32 v11, vcc, v7, v3, vcc
	s_movk_i32 s14, 0xff1f
	v_and_or_b32 v0, v0, s14, 32
	s_mov_b32 s16, 0
	v_mov_b32_e32 v3, v2
	v_readfirstlane_b32 s14, v10
	v_readfirstlane_b32 s15, v11
	v_add_co_u32_e32 v6, vcc, v10, v31
	s_mov_b32 s17, s16
	s_mov_b32 s18, s16
	;; [unrolled: 1-line block ×3, first 2 shown]
	s_nop 0
	global_store_dwordx4 v31, v[0:3], s[14:15]
	v_addc_co_u32_e32 v7, vcc, 0, v11, vcc
	v_mov_b32_e32 v0, s16
	v_mov_b32_e32 v1, s17
	;; [unrolled: 1-line block ×4, first 2 shown]
	global_store_dwordx4 v31, v[0:3], s[14:15] offset:16
	global_store_dwordx4 v31, v[0:3], s[14:15] offset:32
	;; [unrolled: 1-line block ×3, first 2 shown]
	s_and_saveexec_b64 s[14:15], s[4:5]
	s_cbranch_execz .LBB11_993
; %bb.986:
	v_mov_b32_e32 v10, 0
	global_load_dwordx2 v[13:14], v10, s[6:7] offset:32 glc
	global_load_dwordx2 v[0:1], v10, s[6:7] offset:40
	v_mov_b32_e32 v11, s12
	v_mov_b32_e32 v12, s13
	s_waitcnt vmcnt(0)
	v_readfirstlane_b32 s16, v0
	v_readfirstlane_b32 s17, v1
	s_and_b64 s[16:17], s[16:17], s[12:13]
	s_mul_i32 s17, s17, 24
	s_mul_hi_u32 s18, s16, 24
	s_mul_i32 s16, s16, 24
	s_add_i32 s17, s18, s17
	v_mov_b32_e32 v0, s17
	v_add_co_u32_e32 v4, vcc, s16, v4
	v_addc_co_u32_e32 v5, vcc, v5, v0, vcc
	global_store_dwordx2 v[4:5], v[13:14], off
	s_waitcnt vmcnt(0)
	global_atomic_cmpswap_x2 v[2:3], v10, v[11:14], s[6:7] offset:32 glc
	s_waitcnt vmcnt(0)
	v_cmp_ne_u64_e32 vcc, v[2:3], v[13:14]
	s_and_saveexec_b64 s[16:17], vcc
	s_cbranch_execz .LBB11_989
; %bb.987:
	s_mov_b64 s[18:19], 0
.LBB11_988:                             ; =>This Inner Loop Header: Depth=1
	s_sleep 1
	global_store_dwordx2 v[4:5], v[2:3], off
	v_mov_b32_e32 v0, s12
	v_mov_b32_e32 v1, s13
	s_waitcnt vmcnt(0)
	global_atomic_cmpswap_x2 v[0:1], v10, v[0:3], s[6:7] offset:32 glc
	s_waitcnt vmcnt(0)
	v_cmp_eq_u64_e32 vcc, v[0:1], v[2:3]
	v_mov_b32_e32 v3, v1
	s_or_b64 s[18:19], vcc, s[18:19]
	v_mov_b32_e32 v2, v0
	s_andn2_b64 exec, exec, s[18:19]
	s_cbranch_execnz .LBB11_988
.LBB11_989:
	s_or_b64 exec, exec, s[16:17]
	v_mov_b32_e32 v3, 0
	global_load_dwordx2 v[0:1], v3, s[6:7] offset:16
	s_mov_b64 s[16:17], exec
	v_mbcnt_lo_u32_b32 v2, s16, 0
	v_mbcnt_hi_u32_b32 v2, s17, v2
	v_cmp_eq_u32_e32 vcc, 0, v2
	s_and_saveexec_b64 s[18:19], vcc
	s_cbranch_execz .LBB11_991
; %bb.990:
	s_bcnt1_i32_b64 s16, s[16:17]
	v_mov_b32_e32 v2, s16
	s_waitcnt vmcnt(0)
	global_atomic_add_x2 v[0:1], v[2:3], off offset:8
.LBB11_991:
	s_or_b64 exec, exec, s[18:19]
	s_waitcnt vmcnt(0)
	global_load_dwordx2 v[2:3], v[0:1], off offset:16
	s_waitcnt vmcnt(0)
	v_cmp_eq_u64_e32 vcc, 0, v[2:3]
	s_cbranch_vccnz .LBB11_993
; %bb.992:
	global_load_dword v0, v[0:1], off offset:24
	v_mov_b32_e32 v1, 0
	s_waitcnt vmcnt(0)
	global_store_dwordx2 v[2:3], v[0:1], off
	v_and_b32_e32 v0, 0xffffff, v0
	v_readfirstlane_b32 m0, v0
	s_sendmsg sendmsg(MSG_INTERRUPT)
.LBB11_993:
	s_or_b64 exec, exec, s[14:15]
	s_branch .LBB11_997
.LBB11_994:                             ;   in Loop: Header=BB11_997 Depth=1
	s_or_b64 exec, exec, s[14:15]
	v_readfirstlane_b32 s14, v0
	s_cmp_eq_u32 s14, 0
	s_cbranch_scc1 .LBB11_996
; %bb.995:                              ;   in Loop: Header=BB11_997 Depth=1
	s_sleep 1
	s_cbranch_execnz .LBB11_997
	s_branch .LBB11_999
.LBB11_996:
	s_branch .LBB11_999
.LBB11_997:                             ; =>This Inner Loop Header: Depth=1
	v_mov_b32_e32 v0, 1
	s_and_saveexec_b64 s[14:15], s[4:5]
	s_cbranch_execz .LBB11_994
; %bb.998:                              ;   in Loop: Header=BB11_997 Depth=1
	global_load_dword v0, v[8:9], off offset:20 glc
	s_waitcnt vmcnt(0)
	buffer_wbinvl1_vol
	v_and_b32_e32 v0, 1, v0
	s_branch .LBB11_994
.LBB11_999:
	global_load_dwordx2 v[2:3], v[6:7], off
	s_and_saveexec_b64 s[14:15], s[4:5]
	s_cbranch_execz .LBB11_1002
; %bb.1000:
	v_mov_b32_e32 v8, 0
	global_load_dwordx2 v[0:1], v8, s[6:7] offset:40
	global_load_dwordx2 v[9:10], v8, s[6:7] offset:24 glc
	global_load_dwordx2 v[11:12], v8, s[6:7]
	v_mov_b32_e32 v5, s13
	s_mov_b64 s[4:5], 0
	s_waitcnt vmcnt(2)
	v_add_co_u32_e32 v6, vcc, 1, v0
	v_addc_co_u32_e32 v7, vcc, 0, v1, vcc
	v_add_co_u32_e32 v4, vcc, s12, v6
	v_addc_co_u32_e32 v5, vcc, v7, v5, vcc
	v_cmp_eq_u64_e32 vcc, 0, v[4:5]
	v_cndmask_b32_e32 v5, v5, v7, vcc
	v_cndmask_b32_e32 v4, v4, v6, vcc
	v_and_b32_e32 v1, v5, v1
	v_and_b32_e32 v0, v4, v0
	v_mul_lo_u32 v1, v1, 24
	v_mul_hi_u32 v7, v0, 24
	v_mul_lo_u32 v0, v0, 24
	s_waitcnt vmcnt(1)
	v_mov_b32_e32 v6, v9
	v_add_u32_e32 v1, v7, v1
	s_waitcnt vmcnt(0)
	v_add_co_u32_e32 v0, vcc, v11, v0
	v_addc_co_u32_e32 v1, vcc, v12, v1, vcc
	global_store_dwordx2 v[0:1], v[9:10], off
	v_mov_b32_e32 v7, v10
	s_waitcnt vmcnt(0)
	global_atomic_cmpswap_x2 v[6:7], v8, v[4:7], s[6:7] offset:24 glc
	s_waitcnt vmcnt(0)
	v_cmp_ne_u64_e32 vcc, v[6:7], v[9:10]
	s_and_b64 exec, exec, vcc
	s_cbranch_execz .LBB11_1002
.LBB11_1001:                            ; =>This Inner Loop Header: Depth=1
	s_sleep 1
	global_store_dwordx2 v[0:1], v[6:7], off
	s_waitcnt vmcnt(0)
	global_atomic_cmpswap_x2 v[9:10], v8, v[4:7], s[6:7] offset:24 glc
	s_waitcnt vmcnt(0)
	v_cmp_eq_u64_e32 vcc, v[9:10], v[6:7]
	v_mov_b32_e32 v6, v9
	s_or_b64 s[4:5], vcc, s[4:5]
	v_mov_b32_e32 v7, v10
	s_andn2_b64 exec, exec, s[4:5]
	s_cbranch_execnz .LBB11_1001
.LBB11_1002:
	s_or_b64 exec, exec, s[14:15]
.LBB11_1003:
	v_readfirstlane_b32 s4, v32
	s_waitcnt vmcnt(0)
	v_mov_b32_e32 v0, 0
	v_mov_b32_e32 v1, 0
	v_cmp_eq_u32_e64 s[4:5], s4, v32
	s_and_saveexec_b64 s[12:13], s[4:5]
	s_cbranch_execz .LBB11_1009
; %bb.1004:
	v_mov_b32_e32 v4, 0
	global_load_dwordx2 v[7:8], v4, s[6:7] offset:24 glc
	s_waitcnt vmcnt(0)
	buffer_wbinvl1_vol
	global_load_dwordx2 v[0:1], v4, s[6:7] offset:40
	global_load_dwordx2 v[5:6], v4, s[6:7]
	s_waitcnt vmcnt(1)
	v_and_b32_e32 v0, v0, v7
	v_and_b32_e32 v1, v1, v8
	v_mul_lo_u32 v1, v1, 24
	v_mul_hi_u32 v9, v0, 24
	v_mul_lo_u32 v0, v0, 24
	v_add_u32_e32 v1, v9, v1
	s_waitcnt vmcnt(0)
	v_add_co_u32_e32 v0, vcc, v5, v0
	v_addc_co_u32_e32 v1, vcc, v6, v1, vcc
	global_load_dwordx2 v[5:6], v[0:1], off glc
	s_waitcnt vmcnt(0)
	global_atomic_cmpswap_x2 v[0:1], v4, v[5:8], s[6:7] offset:24 glc
	s_waitcnt vmcnt(0)
	buffer_wbinvl1_vol
	v_cmp_ne_u64_e32 vcc, v[0:1], v[7:8]
	s_and_saveexec_b64 s[14:15], vcc
	s_cbranch_execz .LBB11_1008
; %bb.1005:
	s_mov_b64 s[16:17], 0
.LBB11_1006:                            ; =>This Inner Loop Header: Depth=1
	s_sleep 1
	global_load_dwordx2 v[5:6], v4, s[6:7] offset:40
	global_load_dwordx2 v[9:10], v4, s[6:7]
	v_mov_b32_e32 v8, v1
	v_mov_b32_e32 v7, v0
	s_waitcnt vmcnt(1)
	v_and_b32_e32 v0, v5, v7
	s_waitcnt vmcnt(0)
	v_mad_u64_u32 v[0:1], s[18:19], v0, 24, v[9:10]
	v_and_b32_e32 v5, v6, v8
	v_mad_u64_u32 v[5:6], s[18:19], v5, 24, v[1:2]
	v_mov_b32_e32 v1, v5
	global_load_dwordx2 v[5:6], v[0:1], off glc
	s_waitcnt vmcnt(0)
	global_atomic_cmpswap_x2 v[0:1], v4, v[5:8], s[6:7] offset:24 glc
	s_waitcnt vmcnt(0)
	buffer_wbinvl1_vol
	v_cmp_eq_u64_e32 vcc, v[0:1], v[7:8]
	s_or_b64 s[16:17], vcc, s[16:17]
	s_andn2_b64 exec, exec, s[16:17]
	s_cbranch_execnz .LBB11_1006
; %bb.1007:
	s_or_b64 exec, exec, s[16:17]
.LBB11_1008:
	s_or_b64 exec, exec, s[14:15]
.LBB11_1009:
	s_or_b64 exec, exec, s[12:13]
	v_mov_b32_e32 v5, 0
	global_load_dwordx2 v[10:11], v5, s[6:7] offset:40
	global_load_dwordx4 v[6:9], v5, s[6:7]
	v_readfirstlane_b32 s12, v0
	v_readfirstlane_b32 s13, v1
	s_mov_b64 s[14:15], exec
	s_waitcnt vmcnt(1)
	v_readfirstlane_b32 s16, v10
	v_readfirstlane_b32 s17, v11
	s_and_b64 s[16:17], s[12:13], s[16:17]
	s_mul_i32 s18, s17, 24
	s_mul_hi_u32 s19, s16, 24
	s_mul_i32 s20, s16, 24
	s_add_i32 s18, s19, s18
	v_mov_b32_e32 v0, s18
	s_waitcnt vmcnt(0)
	v_add_co_u32_e32 v10, vcc, s20, v6
	v_addc_co_u32_e32 v11, vcc, v7, v0, vcc
	s_and_saveexec_b64 s[18:19], s[4:5]
	s_cbranch_execz .LBB11_1011
; %bb.1010:
	v_mov_b32_e32 v12, s14
	v_mov_b32_e32 v13, s15
	;; [unrolled: 1-line block ×4, first 2 shown]
	global_store_dwordx4 v[10:11], v[12:15], off offset:8
.LBB11_1011:
	s_or_b64 exec, exec, s[18:19]
	s_lshl_b64 s[14:15], s[16:17], 12
	v_mov_b32_e32 v0, s15
	v_add_co_u32_e32 v1, vcc, s14, v8
	v_addc_co_u32_e32 v0, vcc, v9, v0, vcc
	s_movk_i32 s14, 0xff1d
	v_and_or_b32 v2, v2, s14, 34
	s_mov_b32 s16, 0
	v_mov_b32_e32 v4, 0x446
	v_readfirstlane_b32 s14, v1
	v_readfirstlane_b32 s15, v0
	s_mov_b32 s17, s16
	s_mov_b32 s18, s16
	;; [unrolled: 1-line block ×3, first 2 shown]
	s_nop 1
	global_store_dwordx4 v31, v[2:5], s[14:15]
	v_mov_b32_e32 v0, s16
	v_mov_b32_e32 v1, s17
	v_mov_b32_e32 v2, s18
	v_mov_b32_e32 v3, s19
	global_store_dwordx4 v31, v[0:3], s[14:15] offset:16
	global_store_dwordx4 v31, v[0:3], s[14:15] offset:32
	global_store_dwordx4 v31, v[0:3], s[14:15] offset:48
	s_and_saveexec_b64 s[14:15], s[4:5]
	s_cbranch_execz .LBB11_1019
; %bb.1012:
	v_mov_b32_e32 v8, 0
	global_load_dwordx2 v[14:15], v8, s[6:7] offset:32 glc
	global_load_dwordx2 v[0:1], v8, s[6:7] offset:40
	v_mov_b32_e32 v12, s12
	v_mov_b32_e32 v13, s13
	s_waitcnt vmcnt(0)
	v_readfirstlane_b32 s16, v0
	v_readfirstlane_b32 s17, v1
	s_and_b64 s[16:17], s[16:17], s[12:13]
	s_mul_i32 s17, s17, 24
	s_mul_hi_u32 s18, s16, 24
	s_mul_i32 s16, s16, 24
	s_add_i32 s17, s18, s17
	v_mov_b32_e32 v0, s17
	v_add_co_u32_e32 v4, vcc, s16, v6
	v_addc_co_u32_e32 v5, vcc, v7, v0, vcc
	global_store_dwordx2 v[4:5], v[14:15], off
	s_waitcnt vmcnt(0)
	global_atomic_cmpswap_x2 v[2:3], v8, v[12:15], s[6:7] offset:32 glc
	s_waitcnt vmcnt(0)
	v_cmp_ne_u64_e32 vcc, v[2:3], v[14:15]
	s_and_saveexec_b64 s[16:17], vcc
	s_cbranch_execz .LBB11_1015
; %bb.1013:
	s_mov_b64 s[18:19], 0
.LBB11_1014:                            ; =>This Inner Loop Header: Depth=1
	s_sleep 1
	global_store_dwordx2 v[4:5], v[2:3], off
	v_mov_b32_e32 v0, s12
	v_mov_b32_e32 v1, s13
	s_waitcnt vmcnt(0)
	global_atomic_cmpswap_x2 v[0:1], v8, v[0:3], s[6:7] offset:32 glc
	s_waitcnt vmcnt(0)
	v_cmp_eq_u64_e32 vcc, v[0:1], v[2:3]
	v_mov_b32_e32 v3, v1
	s_or_b64 s[18:19], vcc, s[18:19]
	v_mov_b32_e32 v2, v0
	s_andn2_b64 exec, exec, s[18:19]
	s_cbranch_execnz .LBB11_1014
.LBB11_1015:
	s_or_b64 exec, exec, s[16:17]
	v_mov_b32_e32 v3, 0
	global_load_dwordx2 v[0:1], v3, s[6:7] offset:16
	s_mov_b64 s[16:17], exec
	v_mbcnt_lo_u32_b32 v2, s16, 0
	v_mbcnt_hi_u32_b32 v2, s17, v2
	v_cmp_eq_u32_e32 vcc, 0, v2
	s_and_saveexec_b64 s[18:19], vcc
	s_cbranch_execz .LBB11_1017
; %bb.1016:
	s_bcnt1_i32_b64 s16, s[16:17]
	v_mov_b32_e32 v2, s16
	s_waitcnt vmcnt(0)
	global_atomic_add_x2 v[0:1], v[2:3], off offset:8
.LBB11_1017:
	s_or_b64 exec, exec, s[18:19]
	s_waitcnt vmcnt(0)
	global_load_dwordx2 v[2:3], v[0:1], off offset:16
	s_waitcnt vmcnt(0)
	v_cmp_eq_u64_e32 vcc, 0, v[2:3]
	s_cbranch_vccnz .LBB11_1019
; %bb.1018:
	global_load_dword v0, v[0:1], off offset:24
	v_mov_b32_e32 v1, 0
	s_waitcnt vmcnt(0)
	global_store_dwordx2 v[2:3], v[0:1], off
	v_and_b32_e32 v0, 0xffffff, v0
	v_readfirstlane_b32 m0, v0
	s_sendmsg sendmsg(MSG_INTERRUPT)
.LBB11_1019:
	s_or_b64 exec, exec, s[14:15]
	s_branch .LBB11_1023
.LBB11_1020:                            ;   in Loop: Header=BB11_1023 Depth=1
	s_or_b64 exec, exec, s[14:15]
	v_readfirstlane_b32 s14, v0
	s_cmp_eq_u32 s14, 0
	s_cbranch_scc1 .LBB11_1022
; %bb.1021:                             ;   in Loop: Header=BB11_1023 Depth=1
	s_sleep 1
	s_cbranch_execnz .LBB11_1023
	s_branch .LBB11_1025
.LBB11_1022:
	s_branch .LBB11_1025
.LBB11_1023:                            ; =>This Inner Loop Header: Depth=1
	v_mov_b32_e32 v0, 1
	s_and_saveexec_b64 s[14:15], s[4:5]
	s_cbranch_execz .LBB11_1020
; %bb.1024:                             ;   in Loop: Header=BB11_1023 Depth=1
	global_load_dword v0, v[10:11], off offset:20 glc
	s_waitcnt vmcnt(0)
	buffer_wbinvl1_vol
	v_and_b32_e32 v0, 1, v0
	s_branch .LBB11_1020
.LBB11_1025:
	s_and_saveexec_b64 s[14:15], s[4:5]
	s_cbranch_execz .LBB11_1028
; %bb.1026:
	v_mov_b32_e32 v6, 0
	global_load_dwordx2 v[2:3], v6, s[6:7] offset:40
	global_load_dwordx2 v[7:8], v6, s[6:7] offset:24 glc
	global_load_dwordx2 v[4:5], v6, s[6:7]
	v_mov_b32_e32 v1, s13
	s_mov_b64 s[4:5], 0
	s_waitcnt vmcnt(2)
	v_add_co_u32_e32 v9, vcc, 1, v2
	v_addc_co_u32_e32 v10, vcc, 0, v3, vcc
	v_add_co_u32_e32 v0, vcc, s12, v9
	v_addc_co_u32_e32 v1, vcc, v10, v1, vcc
	v_cmp_eq_u64_e32 vcc, 0, v[0:1]
	v_cndmask_b32_e32 v1, v1, v10, vcc
	v_cndmask_b32_e32 v0, v0, v9, vcc
	v_and_b32_e32 v3, v1, v3
	v_and_b32_e32 v2, v0, v2
	v_mul_lo_u32 v3, v3, 24
	v_mul_hi_u32 v9, v2, 24
	v_mul_lo_u32 v10, v2, 24
	s_waitcnt vmcnt(1)
	v_mov_b32_e32 v2, v7
	v_add_u32_e32 v3, v9, v3
	s_waitcnt vmcnt(0)
	v_add_co_u32_e32 v4, vcc, v4, v10
	v_addc_co_u32_e32 v5, vcc, v5, v3, vcc
	global_store_dwordx2 v[4:5], v[7:8], off
	v_mov_b32_e32 v3, v8
	s_waitcnt vmcnt(0)
	global_atomic_cmpswap_x2 v[2:3], v6, v[0:3], s[6:7] offset:24 glc
	s_waitcnt vmcnt(0)
	v_cmp_ne_u64_e32 vcc, v[2:3], v[7:8]
	s_and_b64 exec, exec, vcc
	s_cbranch_execz .LBB11_1028
.LBB11_1027:                            ; =>This Inner Loop Header: Depth=1
	s_sleep 1
	global_store_dwordx2 v[4:5], v[2:3], off
	s_waitcnt vmcnt(0)
	global_atomic_cmpswap_x2 v[7:8], v6, v[0:3], s[6:7] offset:24 glc
	s_waitcnt vmcnt(0)
	v_cmp_eq_u64_e32 vcc, v[7:8], v[2:3]
	v_mov_b32_e32 v2, v7
	s_or_b64 s[4:5], vcc, s[4:5]
	v_mov_b32_e32 v3, v8
	s_andn2_b64 exec, exec, s[4:5]
	s_cbranch_execnz .LBB11_1027
.LBB11_1028:
	s_or_b64 exec, exec, s[14:15]
	v_readfirstlane_b32 s4, v32
	v_mov_b32_e32 v5, 0
	v_mov_b32_e32 v6, 0
	v_cmp_eq_u32_e64 s[4:5], s4, v32
	s_and_saveexec_b64 s[12:13], s[4:5]
	s_cbranch_execz .LBB11_1034
; %bb.1029:
	v_mov_b32_e32 v0, 0
	global_load_dwordx2 v[3:4], v0, s[6:7] offset:24 glc
	s_waitcnt vmcnt(0)
	buffer_wbinvl1_vol
	global_load_dwordx2 v[1:2], v0, s[6:7] offset:40
	global_load_dwordx2 v[5:6], v0, s[6:7]
	s_waitcnt vmcnt(1)
	v_and_b32_e32 v1, v1, v3
	v_and_b32_e32 v2, v2, v4
	v_mul_lo_u32 v2, v2, 24
	v_mul_hi_u32 v7, v1, 24
	v_mul_lo_u32 v1, v1, 24
	v_add_u32_e32 v2, v7, v2
	s_waitcnt vmcnt(0)
	v_add_co_u32_e32 v1, vcc, v5, v1
	v_addc_co_u32_e32 v2, vcc, v6, v2, vcc
	global_load_dwordx2 v[1:2], v[1:2], off glc
	s_waitcnt vmcnt(0)
	global_atomic_cmpswap_x2 v[5:6], v0, v[1:4], s[6:7] offset:24 glc
	s_waitcnt vmcnt(0)
	buffer_wbinvl1_vol
	v_cmp_ne_u64_e32 vcc, v[5:6], v[3:4]
	s_and_saveexec_b64 s[14:15], vcc
	s_cbranch_execz .LBB11_1033
; %bb.1030:
	s_mov_b64 s[16:17], 0
.LBB11_1031:                            ; =>This Inner Loop Header: Depth=1
	s_sleep 1
	global_load_dwordx2 v[1:2], v0, s[6:7] offset:40
	global_load_dwordx2 v[7:8], v0, s[6:7]
	v_mov_b32_e32 v3, v5
	v_mov_b32_e32 v4, v6
	s_waitcnt vmcnt(1)
	v_and_b32_e32 v1, v1, v3
	s_waitcnt vmcnt(0)
	v_mad_u64_u32 v[5:6], s[18:19], v1, 24, v[7:8]
	v_and_b32_e32 v2, v2, v4
	v_mov_b32_e32 v1, v6
	v_mad_u64_u32 v[1:2], s[18:19], v2, 24, v[1:2]
	v_mov_b32_e32 v6, v1
	global_load_dwordx2 v[1:2], v[5:6], off glc
	s_waitcnt vmcnt(0)
	global_atomic_cmpswap_x2 v[5:6], v0, v[1:4], s[6:7] offset:24 glc
	s_waitcnt vmcnt(0)
	buffer_wbinvl1_vol
	v_cmp_eq_u64_e32 vcc, v[5:6], v[3:4]
	s_or_b64 s[16:17], vcc, s[16:17]
	s_andn2_b64 exec, exec, s[16:17]
	s_cbranch_execnz .LBB11_1031
; %bb.1032:
	s_or_b64 exec, exec, s[16:17]
.LBB11_1033:
	s_or_b64 exec, exec, s[14:15]
.LBB11_1034:
	s_or_b64 exec, exec, s[12:13]
	v_mov_b32_e32 v4, 0
	global_load_dwordx2 v[7:8], v4, s[6:7] offset:40
	global_load_dwordx4 v[0:3], v4, s[6:7]
	v_readfirstlane_b32 s12, v5
	v_readfirstlane_b32 s13, v6
	s_mov_b64 s[14:15], exec
	s_waitcnt vmcnt(1)
	v_readfirstlane_b32 s16, v7
	v_readfirstlane_b32 s17, v8
	s_and_b64 s[16:17], s[12:13], s[16:17]
	s_mul_i32 s18, s17, 24
	s_mul_hi_u32 s19, s16, 24
	s_mul_i32 s20, s16, 24
	s_add_i32 s18, s19, s18
	v_mov_b32_e32 v5, s18
	s_waitcnt vmcnt(0)
	v_add_co_u32_e32 v7, vcc, s20, v0
	v_addc_co_u32_e32 v8, vcc, v1, v5, vcc
	s_and_saveexec_b64 s[18:19], s[4:5]
	s_cbranch_execz .LBB11_1036
; %bb.1035:
	v_mov_b32_e32 v9, s14
	v_mov_b32_e32 v10, s15
	;; [unrolled: 1-line block ×4, first 2 shown]
	global_store_dwordx4 v[7:8], v[9:12], off offset:8
.LBB11_1036:
	s_or_b64 exec, exec, s[18:19]
	s_lshl_b64 s[14:15], s[16:17], 12
	v_mov_b32_e32 v5, s15
	v_add_co_u32_e32 v2, vcc, s14, v2
	v_addc_co_u32_e32 v11, vcc, v3, v5, vcc
	s_mov_b32 s16, 0
	v_mov_b32_e32 v3, 33
	v_mov_b32_e32 v5, v4
	;; [unrolled: 1-line block ×3, first 2 shown]
	v_readfirstlane_b32 s14, v2
	v_readfirstlane_b32 s15, v11
	v_add_co_u32_e32 v9, vcc, v2, v31
	s_mov_b32 s17, s16
	s_mov_b32 s18, s16
	;; [unrolled: 1-line block ×3, first 2 shown]
	s_nop 0
	global_store_dwordx4 v31, v[3:6], s[14:15]
	v_mov_b32_e32 v2, s16
	v_addc_co_u32_e32 v10, vcc, 0, v11, vcc
	v_mov_b32_e32 v3, s17
	v_mov_b32_e32 v4, s18
	;; [unrolled: 1-line block ×3, first 2 shown]
	global_store_dwordx4 v31, v[2:5], s[14:15] offset:16
	global_store_dwordx4 v31, v[2:5], s[14:15] offset:32
	;; [unrolled: 1-line block ×3, first 2 shown]
	s_and_saveexec_b64 s[14:15], s[4:5]
	s_cbranch_execz .LBB11_1044
; %bb.1037:
	v_mov_b32_e32 v6, 0
	global_load_dwordx2 v[13:14], v6, s[6:7] offset:32 glc
	global_load_dwordx2 v[2:3], v6, s[6:7] offset:40
	v_mov_b32_e32 v11, s12
	v_mov_b32_e32 v12, s13
	s_waitcnt vmcnt(0)
	v_readfirstlane_b32 s16, v2
	v_readfirstlane_b32 s17, v3
	s_and_b64 s[16:17], s[16:17], s[12:13]
	s_mul_i32 s17, s17, 24
	s_mul_hi_u32 s18, s16, 24
	s_mul_i32 s16, s16, 24
	s_add_i32 s17, s18, s17
	v_mov_b32_e32 v2, s17
	v_add_co_u32_e32 v4, vcc, s16, v0
	v_addc_co_u32_e32 v5, vcc, v1, v2, vcc
	global_store_dwordx2 v[4:5], v[13:14], off
	s_waitcnt vmcnt(0)
	global_atomic_cmpswap_x2 v[2:3], v6, v[11:14], s[6:7] offset:32 glc
	s_waitcnt vmcnt(0)
	v_cmp_ne_u64_e32 vcc, v[2:3], v[13:14]
	s_and_saveexec_b64 s[16:17], vcc
	s_cbranch_execz .LBB11_1040
; %bb.1038:
	s_mov_b64 s[18:19], 0
.LBB11_1039:                            ; =>This Inner Loop Header: Depth=1
	s_sleep 1
	global_store_dwordx2 v[4:5], v[2:3], off
	v_mov_b32_e32 v0, s12
	v_mov_b32_e32 v1, s13
	s_waitcnt vmcnt(0)
	global_atomic_cmpswap_x2 v[0:1], v6, v[0:3], s[6:7] offset:32 glc
	s_waitcnt vmcnt(0)
	v_cmp_eq_u64_e32 vcc, v[0:1], v[2:3]
	v_mov_b32_e32 v3, v1
	s_or_b64 s[18:19], vcc, s[18:19]
	v_mov_b32_e32 v2, v0
	s_andn2_b64 exec, exec, s[18:19]
	s_cbranch_execnz .LBB11_1039
.LBB11_1040:
	s_or_b64 exec, exec, s[16:17]
	v_mov_b32_e32 v3, 0
	global_load_dwordx2 v[0:1], v3, s[6:7] offset:16
	s_mov_b64 s[16:17], exec
	v_mbcnt_lo_u32_b32 v2, s16, 0
	v_mbcnt_hi_u32_b32 v2, s17, v2
	v_cmp_eq_u32_e32 vcc, 0, v2
	s_and_saveexec_b64 s[18:19], vcc
	s_cbranch_execz .LBB11_1042
; %bb.1041:
	s_bcnt1_i32_b64 s16, s[16:17]
	v_mov_b32_e32 v2, s16
	s_waitcnt vmcnt(0)
	global_atomic_add_x2 v[0:1], v[2:3], off offset:8
.LBB11_1042:
	s_or_b64 exec, exec, s[18:19]
	s_waitcnt vmcnt(0)
	global_load_dwordx2 v[2:3], v[0:1], off offset:16
	s_waitcnt vmcnt(0)
	v_cmp_eq_u64_e32 vcc, 0, v[2:3]
	s_cbranch_vccnz .LBB11_1044
; %bb.1043:
	global_load_dword v0, v[0:1], off offset:24
	v_mov_b32_e32 v1, 0
	s_waitcnt vmcnt(0)
	global_store_dwordx2 v[2:3], v[0:1], off
	v_and_b32_e32 v0, 0xffffff, v0
	v_readfirstlane_b32 m0, v0
	s_sendmsg sendmsg(MSG_INTERRUPT)
.LBB11_1044:
	s_or_b64 exec, exec, s[14:15]
	s_branch .LBB11_1048
.LBB11_1045:                            ;   in Loop: Header=BB11_1048 Depth=1
	s_or_b64 exec, exec, s[14:15]
	v_readfirstlane_b32 s14, v0
	s_cmp_eq_u32 s14, 0
	s_cbranch_scc1 .LBB11_1047
; %bb.1046:                             ;   in Loop: Header=BB11_1048 Depth=1
	s_sleep 1
	s_cbranch_execnz .LBB11_1048
	s_branch .LBB11_1050
.LBB11_1047:
	s_branch .LBB11_1050
.LBB11_1048:                            ; =>This Inner Loop Header: Depth=1
	v_mov_b32_e32 v0, 1
	s_and_saveexec_b64 s[14:15], s[4:5]
	s_cbranch_execz .LBB11_1045
; %bb.1049:                             ;   in Loop: Header=BB11_1048 Depth=1
	global_load_dword v0, v[7:8], off offset:20 glc
	s_waitcnt vmcnt(0)
	buffer_wbinvl1_vol
	v_and_b32_e32 v0, 1, v0
	s_branch .LBB11_1045
.LBB11_1050:
	global_load_dwordx2 v[0:1], v[9:10], off
	s_and_saveexec_b64 s[14:15], s[4:5]
	s_cbranch_execz .LBB11_1053
; %bb.1051:
	v_mov_b32_e32 v8, 0
	global_load_dwordx2 v[4:5], v8, s[6:7] offset:40
	global_load_dwordx2 v[9:10], v8, s[6:7] offset:24 glc
	global_load_dwordx2 v[6:7], v8, s[6:7]
	v_mov_b32_e32 v3, s13
	s_mov_b64 s[4:5], 0
	s_waitcnt vmcnt(2)
	v_add_co_u32_e32 v11, vcc, 1, v4
	v_addc_co_u32_e32 v12, vcc, 0, v5, vcc
	v_add_co_u32_e32 v2, vcc, s12, v11
	v_addc_co_u32_e32 v3, vcc, v12, v3, vcc
	v_cmp_eq_u64_e32 vcc, 0, v[2:3]
	v_cndmask_b32_e32 v3, v3, v12, vcc
	v_cndmask_b32_e32 v2, v2, v11, vcc
	v_and_b32_e32 v5, v3, v5
	v_and_b32_e32 v4, v2, v4
	v_mul_lo_u32 v5, v5, 24
	v_mul_hi_u32 v11, v4, 24
	v_mul_lo_u32 v12, v4, 24
	s_waitcnt vmcnt(1)
	v_mov_b32_e32 v4, v9
	v_add_u32_e32 v5, v11, v5
	s_waitcnt vmcnt(0)
	v_add_co_u32_e32 v6, vcc, v6, v12
	v_addc_co_u32_e32 v7, vcc, v7, v5, vcc
	global_store_dwordx2 v[6:7], v[9:10], off
	v_mov_b32_e32 v5, v10
	s_waitcnt vmcnt(0)
	global_atomic_cmpswap_x2 v[4:5], v8, v[2:5], s[6:7] offset:24 glc
	s_waitcnt vmcnt(0)
	v_cmp_ne_u64_e32 vcc, v[4:5], v[9:10]
	s_and_b64 exec, exec, vcc
	s_cbranch_execz .LBB11_1053
.LBB11_1052:                            ; =>This Inner Loop Header: Depth=1
	s_sleep 1
	global_store_dwordx2 v[6:7], v[4:5], off
	s_waitcnt vmcnt(0)
	global_atomic_cmpswap_x2 v[9:10], v8, v[2:5], s[6:7] offset:24 glc
	s_waitcnt vmcnt(0)
	v_cmp_eq_u64_e32 vcc, v[9:10], v[4:5]
	v_mov_b32_e32 v4, v9
	s_or_b64 s[4:5], vcc, s[4:5]
	v_mov_b32_e32 v5, v10
	s_andn2_b64 exec, exec, s[4:5]
	s_cbranch_execnz .LBB11_1052
.LBB11_1053:
	s_or_b64 exec, exec, s[14:15]
	s_and_b64 vcc, exec, s[10:11]
	s_cbranch_vccz .LBB11_1138
; %bb.1054:
	s_waitcnt vmcnt(0)
	v_and_b32_e32 v33, 2, v0
	v_mov_b32_e32 v28, 0
	v_and_b32_e32 v2, -3, v0
	v_mov_b32_e32 v3, v1
	s_mov_b64 s[14:15], 3
	v_mov_b32_e32 v6, 2
	v_mov_b32_e32 v7, 1
	s_getpc_b64 s[12:13]
	s_add_u32 s12, s12, .str.6@rel32@lo+4
	s_addc_u32 s13, s13, .str.6@rel32@hi+12
	s_branch .LBB11_1056
.LBB11_1055:                            ;   in Loop: Header=BB11_1056 Depth=1
	s_or_b64 exec, exec, s[20:21]
	s_sub_u32 s14, s14, s16
	s_subb_u32 s15, s15, s17
	s_add_u32 s12, s12, s16
	s_addc_u32 s13, s13, s17
	s_cmp_lg_u64 s[14:15], 0
	s_cbranch_scc0 .LBB11_1137
.LBB11_1056:                            ; =>This Loop Header: Depth=1
                                        ;     Child Loop BB11_1059 Depth 2
                                        ;     Child Loop BB11_1066 Depth 2
	;; [unrolled: 1-line block ×11, first 2 shown]
	v_cmp_lt_u64_e64 s[4:5], s[14:15], 56
	v_cmp_gt_u64_e64 s[18:19], s[14:15], 7
	s_and_b64 s[4:5], s[4:5], exec
	s_cselect_b32 s17, s15, 0
	s_cselect_b32 s16, s14, 56
	s_and_b64 vcc, exec, s[18:19]
	s_cbranch_vccnz .LBB11_1061
; %bb.1057:                             ;   in Loop: Header=BB11_1056 Depth=1
	v_mov_b32_e32 v10, 0
	s_cmp_eq_u64 s[14:15], 0
	v_mov_b32_e32 v11, 0
	s_mov_b64 s[4:5], 0
	s_cbranch_scc1 .LBB11_1060
; %bb.1058:                             ;   in Loop: Header=BB11_1056 Depth=1
	v_mov_b32_e32 v10, 0
	s_lshl_b64 s[18:19], s[16:17], 3
	s_mov_b64 s[20:21], 0
	v_mov_b32_e32 v11, 0
	s_mov_b64 s[22:23], s[12:13]
.LBB11_1059:                            ;   Parent Loop BB11_1056 Depth=1
                                        ; =>  This Inner Loop Header: Depth=2
	global_load_ubyte v4, v28, s[22:23]
	s_waitcnt vmcnt(0)
	v_and_b32_e32 v27, 0xffff, v4
	v_lshlrev_b64 v[4:5], s20, v[27:28]
	s_add_u32 s20, s20, 8
	s_addc_u32 s21, s21, 0
	s_add_u32 s22, s22, 1
	s_addc_u32 s23, s23, 0
	v_or_b32_e32 v10, v4, v10
	s_cmp_lg_u32 s18, s20
	v_or_b32_e32 v11, v5, v11
	s_cbranch_scc1 .LBB11_1059
.LBB11_1060:                            ;   in Loop: Header=BB11_1056 Depth=1
	s_mov_b32 s22, 0
	s_andn2_b64 vcc, exec, s[4:5]
	s_mov_b64 s[4:5], s[12:13]
	s_cbranch_vccz .LBB11_1062
	s_branch .LBB11_1063
.LBB11_1061:                            ;   in Loop: Header=BB11_1056 Depth=1
                                        ; implicit-def: $vgpr10_vgpr11
                                        ; implicit-def: $sgpr22
	s_mov_b64 s[4:5], s[12:13]
.LBB11_1062:                            ;   in Loop: Header=BB11_1056 Depth=1
	global_load_dwordx2 v[10:11], v28, s[12:13]
	s_add_i32 s22, s16, -8
	s_add_u32 s4, s12, 8
	s_addc_u32 s5, s13, 0
.LBB11_1063:                            ;   in Loop: Header=BB11_1056 Depth=1
	s_cmp_gt_u32 s22, 7
	s_cbranch_scc1 .LBB11_1067
; %bb.1064:                             ;   in Loop: Header=BB11_1056 Depth=1
	s_cmp_eq_u32 s22, 0
	s_cbranch_scc1 .LBB11_1068
; %bb.1065:                             ;   in Loop: Header=BB11_1056 Depth=1
	v_mov_b32_e32 v12, 0
	s_mov_b64 s[18:19], 0
	v_mov_b32_e32 v13, 0
	s_mov_b64 s[20:21], 0
.LBB11_1066:                            ;   Parent Loop BB11_1056 Depth=1
                                        ; =>  This Inner Loop Header: Depth=2
	s_add_u32 s24, s4, s20
	s_addc_u32 s25, s5, s21
	global_load_ubyte v4, v28, s[24:25]
	s_add_u32 s20, s20, 1
	s_addc_u32 s21, s21, 0
	s_waitcnt vmcnt(0)
	v_and_b32_e32 v27, 0xffff, v4
	v_lshlrev_b64 v[4:5], s18, v[27:28]
	s_add_u32 s18, s18, 8
	s_addc_u32 s19, s19, 0
	v_or_b32_e32 v12, v4, v12
	s_cmp_lg_u32 s22, s20
	v_or_b32_e32 v13, v5, v13
	s_cbranch_scc1 .LBB11_1066
	s_branch .LBB11_1069
.LBB11_1067:                            ;   in Loop: Header=BB11_1056 Depth=1
                                        ; implicit-def: $vgpr12_vgpr13
                                        ; implicit-def: $sgpr23
	s_branch .LBB11_1070
.LBB11_1068:                            ;   in Loop: Header=BB11_1056 Depth=1
	v_mov_b32_e32 v12, 0
	v_mov_b32_e32 v13, 0
.LBB11_1069:                            ;   in Loop: Header=BB11_1056 Depth=1
	s_mov_b32 s23, 0
	s_cbranch_execnz .LBB11_1071
.LBB11_1070:                            ;   in Loop: Header=BB11_1056 Depth=1
	global_load_dwordx2 v[12:13], v28, s[4:5]
	s_add_i32 s23, s22, -8
	s_add_u32 s4, s4, 8
	s_addc_u32 s5, s5, 0
.LBB11_1071:                            ;   in Loop: Header=BB11_1056 Depth=1
	s_cmp_gt_u32 s23, 7
	s_cbranch_scc1 .LBB11_1075
; %bb.1072:                             ;   in Loop: Header=BB11_1056 Depth=1
	s_cmp_eq_u32 s23, 0
	s_cbranch_scc1 .LBB11_1076
; %bb.1073:                             ;   in Loop: Header=BB11_1056 Depth=1
	v_mov_b32_e32 v14, 0
	s_mov_b64 s[18:19], 0
	v_mov_b32_e32 v15, 0
	s_mov_b64 s[20:21], 0
.LBB11_1074:                            ;   Parent Loop BB11_1056 Depth=1
                                        ; =>  This Inner Loop Header: Depth=2
	s_add_u32 s24, s4, s20
	s_addc_u32 s25, s5, s21
	global_load_ubyte v4, v28, s[24:25]
	s_add_u32 s20, s20, 1
	s_addc_u32 s21, s21, 0
	s_waitcnt vmcnt(0)
	v_and_b32_e32 v27, 0xffff, v4
	v_lshlrev_b64 v[4:5], s18, v[27:28]
	s_add_u32 s18, s18, 8
	s_addc_u32 s19, s19, 0
	v_or_b32_e32 v14, v4, v14
	s_cmp_lg_u32 s23, s20
	v_or_b32_e32 v15, v5, v15
	s_cbranch_scc1 .LBB11_1074
	s_branch .LBB11_1077
.LBB11_1075:                            ;   in Loop: Header=BB11_1056 Depth=1
                                        ; implicit-def: $sgpr22
	s_branch .LBB11_1078
.LBB11_1076:                            ;   in Loop: Header=BB11_1056 Depth=1
	v_mov_b32_e32 v14, 0
	v_mov_b32_e32 v15, 0
.LBB11_1077:                            ;   in Loop: Header=BB11_1056 Depth=1
	s_mov_b32 s22, 0
	s_cbranch_execnz .LBB11_1079
.LBB11_1078:                            ;   in Loop: Header=BB11_1056 Depth=1
	global_load_dwordx2 v[14:15], v28, s[4:5]
	s_add_i32 s22, s23, -8
	s_add_u32 s4, s4, 8
	s_addc_u32 s5, s5, 0
.LBB11_1079:                            ;   in Loop: Header=BB11_1056 Depth=1
	s_cmp_gt_u32 s22, 7
	s_cbranch_scc1 .LBB11_1083
; %bb.1080:                             ;   in Loop: Header=BB11_1056 Depth=1
	s_cmp_eq_u32 s22, 0
	s_cbranch_scc1 .LBB11_1084
; %bb.1081:                             ;   in Loop: Header=BB11_1056 Depth=1
	v_mov_b32_e32 v16, 0
	s_mov_b64 s[18:19], 0
	v_mov_b32_e32 v17, 0
	s_mov_b64 s[20:21], 0
.LBB11_1082:                            ;   Parent Loop BB11_1056 Depth=1
                                        ; =>  This Inner Loop Header: Depth=2
	s_add_u32 s24, s4, s20
	s_addc_u32 s25, s5, s21
	global_load_ubyte v4, v28, s[24:25]
	s_add_u32 s20, s20, 1
	s_addc_u32 s21, s21, 0
	s_waitcnt vmcnt(0)
	v_and_b32_e32 v27, 0xffff, v4
	v_lshlrev_b64 v[4:5], s18, v[27:28]
	s_add_u32 s18, s18, 8
	s_addc_u32 s19, s19, 0
	v_or_b32_e32 v16, v4, v16
	s_cmp_lg_u32 s22, s20
	v_or_b32_e32 v17, v5, v17
	s_cbranch_scc1 .LBB11_1082
	s_branch .LBB11_1085
.LBB11_1083:                            ;   in Loop: Header=BB11_1056 Depth=1
                                        ; implicit-def: $vgpr16_vgpr17
                                        ; implicit-def: $sgpr23
	s_branch .LBB11_1086
.LBB11_1084:                            ;   in Loop: Header=BB11_1056 Depth=1
	v_mov_b32_e32 v16, 0
	v_mov_b32_e32 v17, 0
.LBB11_1085:                            ;   in Loop: Header=BB11_1056 Depth=1
	s_mov_b32 s23, 0
	s_cbranch_execnz .LBB11_1087
.LBB11_1086:                            ;   in Loop: Header=BB11_1056 Depth=1
	global_load_dwordx2 v[16:17], v28, s[4:5]
	s_add_i32 s23, s22, -8
	s_add_u32 s4, s4, 8
	s_addc_u32 s5, s5, 0
.LBB11_1087:                            ;   in Loop: Header=BB11_1056 Depth=1
	s_cmp_gt_u32 s23, 7
	s_cbranch_scc1 .LBB11_1091
; %bb.1088:                             ;   in Loop: Header=BB11_1056 Depth=1
	s_cmp_eq_u32 s23, 0
	s_cbranch_scc1 .LBB11_1092
; %bb.1089:                             ;   in Loop: Header=BB11_1056 Depth=1
	v_mov_b32_e32 v18, 0
	s_mov_b64 s[18:19], 0
	v_mov_b32_e32 v19, 0
	s_mov_b64 s[20:21], 0
.LBB11_1090:                            ;   Parent Loop BB11_1056 Depth=1
                                        ; =>  This Inner Loop Header: Depth=2
	s_add_u32 s24, s4, s20
	s_addc_u32 s25, s5, s21
	global_load_ubyte v4, v28, s[24:25]
	s_add_u32 s20, s20, 1
	s_addc_u32 s21, s21, 0
	s_waitcnt vmcnt(0)
	v_and_b32_e32 v27, 0xffff, v4
	v_lshlrev_b64 v[4:5], s18, v[27:28]
	s_add_u32 s18, s18, 8
	s_addc_u32 s19, s19, 0
	v_or_b32_e32 v18, v4, v18
	s_cmp_lg_u32 s23, s20
	v_or_b32_e32 v19, v5, v19
	s_cbranch_scc1 .LBB11_1090
	s_branch .LBB11_1093
.LBB11_1091:                            ;   in Loop: Header=BB11_1056 Depth=1
                                        ; implicit-def: $sgpr22
	s_branch .LBB11_1094
.LBB11_1092:                            ;   in Loop: Header=BB11_1056 Depth=1
	v_mov_b32_e32 v18, 0
	v_mov_b32_e32 v19, 0
.LBB11_1093:                            ;   in Loop: Header=BB11_1056 Depth=1
	s_mov_b32 s22, 0
	s_cbranch_execnz .LBB11_1095
.LBB11_1094:                            ;   in Loop: Header=BB11_1056 Depth=1
	global_load_dwordx2 v[18:19], v28, s[4:5]
	s_add_i32 s22, s23, -8
	s_add_u32 s4, s4, 8
	s_addc_u32 s5, s5, 0
.LBB11_1095:                            ;   in Loop: Header=BB11_1056 Depth=1
	s_cmp_gt_u32 s22, 7
	s_cbranch_scc1 .LBB11_1099
; %bb.1096:                             ;   in Loop: Header=BB11_1056 Depth=1
	s_cmp_eq_u32 s22, 0
	s_cbranch_scc1 .LBB11_1100
; %bb.1097:                             ;   in Loop: Header=BB11_1056 Depth=1
	v_mov_b32_e32 v20, 0
	s_mov_b64 s[18:19], 0
	v_mov_b32_e32 v21, 0
	s_mov_b64 s[20:21], 0
.LBB11_1098:                            ;   Parent Loop BB11_1056 Depth=1
                                        ; =>  This Inner Loop Header: Depth=2
	s_add_u32 s24, s4, s20
	s_addc_u32 s25, s5, s21
	global_load_ubyte v4, v28, s[24:25]
	s_add_u32 s20, s20, 1
	s_addc_u32 s21, s21, 0
	s_waitcnt vmcnt(0)
	v_and_b32_e32 v27, 0xffff, v4
	v_lshlrev_b64 v[4:5], s18, v[27:28]
	s_add_u32 s18, s18, 8
	s_addc_u32 s19, s19, 0
	v_or_b32_e32 v20, v4, v20
	s_cmp_lg_u32 s22, s20
	v_or_b32_e32 v21, v5, v21
	s_cbranch_scc1 .LBB11_1098
	s_branch .LBB11_1101
.LBB11_1099:                            ;   in Loop: Header=BB11_1056 Depth=1
                                        ; implicit-def: $vgpr20_vgpr21
                                        ; implicit-def: $sgpr23
	s_branch .LBB11_1102
.LBB11_1100:                            ;   in Loop: Header=BB11_1056 Depth=1
	v_mov_b32_e32 v20, 0
	v_mov_b32_e32 v21, 0
.LBB11_1101:                            ;   in Loop: Header=BB11_1056 Depth=1
	s_mov_b32 s23, 0
	s_cbranch_execnz .LBB11_1103
.LBB11_1102:                            ;   in Loop: Header=BB11_1056 Depth=1
	global_load_dwordx2 v[20:21], v28, s[4:5]
	s_add_i32 s23, s22, -8
	s_add_u32 s4, s4, 8
	s_addc_u32 s5, s5, 0
.LBB11_1103:                            ;   in Loop: Header=BB11_1056 Depth=1
	s_cmp_gt_u32 s23, 7
	s_cbranch_scc1 .LBB11_1107
; %bb.1104:                             ;   in Loop: Header=BB11_1056 Depth=1
	s_cmp_eq_u32 s23, 0
	s_cbranch_scc1 .LBB11_1108
; %bb.1105:                             ;   in Loop: Header=BB11_1056 Depth=1
	v_mov_b32_e32 v22, 0
	s_mov_b64 s[18:19], 0
	v_mov_b32_e32 v23, 0
	s_mov_b64 s[20:21], s[4:5]
.LBB11_1106:                            ;   Parent Loop BB11_1056 Depth=1
                                        ; =>  This Inner Loop Header: Depth=2
	global_load_ubyte v4, v28, s[20:21]
	s_add_i32 s23, s23, -1
	s_waitcnt vmcnt(0)
	v_and_b32_e32 v27, 0xffff, v4
	v_lshlrev_b64 v[4:5], s18, v[27:28]
	s_add_u32 s18, s18, 8
	s_addc_u32 s19, s19, 0
	s_add_u32 s20, s20, 1
	s_addc_u32 s21, s21, 0
	v_or_b32_e32 v22, v4, v22
	s_cmp_lg_u32 s23, 0
	v_or_b32_e32 v23, v5, v23
	s_cbranch_scc1 .LBB11_1106
	s_branch .LBB11_1109
.LBB11_1107:                            ;   in Loop: Header=BB11_1056 Depth=1
	s_branch .LBB11_1110
.LBB11_1108:                            ;   in Loop: Header=BB11_1056 Depth=1
	v_mov_b32_e32 v22, 0
	v_mov_b32_e32 v23, 0
.LBB11_1109:                            ;   in Loop: Header=BB11_1056 Depth=1
	s_cbranch_execnz .LBB11_1111
.LBB11_1110:                            ;   in Loop: Header=BB11_1056 Depth=1
	global_load_dwordx2 v[22:23], v28, s[4:5]
.LBB11_1111:                            ;   in Loop: Header=BB11_1056 Depth=1
	v_readfirstlane_b32 s4, v32
	s_waitcnt vmcnt(0)
	v_mov_b32_e32 v4, 0
	v_mov_b32_e32 v5, 0
	v_cmp_eq_u32_e64 s[4:5], s4, v32
	s_and_saveexec_b64 s[18:19], s[4:5]
	s_cbranch_execz .LBB11_1117
; %bb.1112:                             ;   in Loop: Header=BB11_1056 Depth=1
	global_load_dwordx2 v[26:27], v28, s[6:7] offset:24 glc
	s_waitcnt vmcnt(0)
	buffer_wbinvl1_vol
	global_load_dwordx2 v[4:5], v28, s[6:7] offset:40
	global_load_dwordx2 v[8:9], v28, s[6:7]
	s_waitcnt vmcnt(1)
	v_and_b32_e32 v4, v4, v26
	v_and_b32_e32 v5, v5, v27
	v_mul_lo_u32 v5, v5, 24
	v_mul_hi_u32 v24, v4, 24
	v_mul_lo_u32 v4, v4, 24
	v_add_u32_e32 v5, v24, v5
	s_waitcnt vmcnt(0)
	v_add_co_u32_e32 v4, vcc, v8, v4
	v_addc_co_u32_e32 v5, vcc, v9, v5, vcc
	global_load_dwordx2 v[24:25], v[4:5], off glc
	s_waitcnt vmcnt(0)
	global_atomic_cmpswap_x2 v[4:5], v28, v[24:27], s[6:7] offset:24 glc
	s_waitcnt vmcnt(0)
	buffer_wbinvl1_vol
	v_cmp_ne_u64_e32 vcc, v[4:5], v[26:27]
	s_and_saveexec_b64 s[20:21], vcc
	s_cbranch_execz .LBB11_1116
; %bb.1113:                             ;   in Loop: Header=BB11_1056 Depth=1
	s_mov_b64 s[22:23], 0
.LBB11_1114:                            ;   Parent Loop BB11_1056 Depth=1
                                        ; =>  This Inner Loop Header: Depth=2
	s_sleep 1
	global_load_dwordx2 v[8:9], v28, s[6:7] offset:40
	global_load_dwordx2 v[24:25], v28, s[6:7]
	v_mov_b32_e32 v27, v5
	v_mov_b32_e32 v26, v4
	s_waitcnt vmcnt(1)
	v_and_b32_e32 v4, v8, v26
	s_waitcnt vmcnt(0)
	v_mad_u64_u32 v[4:5], s[24:25], v4, 24, v[24:25]
	v_and_b32_e32 v8, v9, v27
	v_mad_u64_u32 v[8:9], s[24:25], v8, 24, v[5:6]
	v_mov_b32_e32 v5, v8
	global_load_dwordx2 v[24:25], v[4:5], off glc
	s_waitcnt vmcnt(0)
	global_atomic_cmpswap_x2 v[4:5], v28, v[24:27], s[6:7] offset:24 glc
	s_waitcnt vmcnt(0)
	buffer_wbinvl1_vol
	v_cmp_eq_u64_e32 vcc, v[4:5], v[26:27]
	s_or_b64 s[22:23], vcc, s[22:23]
	s_andn2_b64 exec, exec, s[22:23]
	s_cbranch_execnz .LBB11_1114
; %bb.1115:                             ;   in Loop: Header=BB11_1056 Depth=1
	s_or_b64 exec, exec, s[22:23]
.LBB11_1116:                            ;   in Loop: Header=BB11_1056 Depth=1
	s_or_b64 exec, exec, s[20:21]
.LBB11_1117:                            ;   in Loop: Header=BB11_1056 Depth=1
	s_or_b64 exec, exec, s[18:19]
	global_load_dwordx2 v[8:9], v28, s[6:7] offset:40
	global_load_dwordx4 v[24:27], v28, s[6:7]
	v_readfirstlane_b32 s18, v4
	v_readfirstlane_b32 s19, v5
	s_mov_b64 s[20:21], exec
	s_waitcnt vmcnt(1)
	v_readfirstlane_b32 s22, v8
	v_readfirstlane_b32 s23, v9
	s_and_b64 s[22:23], s[18:19], s[22:23]
	s_mul_i32 s24, s23, 24
	s_mul_hi_u32 s25, s22, 24
	s_mul_i32 s26, s22, 24
	s_add_i32 s24, s25, s24
	v_mov_b32_e32 v4, s24
	s_waitcnt vmcnt(0)
	v_add_co_u32_e32 v29, vcc, s26, v24
	v_addc_co_u32_e32 v30, vcc, v25, v4, vcc
	s_and_saveexec_b64 s[24:25], s[4:5]
	s_cbranch_execz .LBB11_1119
; %bb.1118:                             ;   in Loop: Header=BB11_1056 Depth=1
	v_mov_b32_e32 v4, s20
	v_mov_b32_e32 v5, s21
	global_store_dwordx4 v[29:30], v[4:7], off offset:8
.LBB11_1119:                            ;   in Loop: Header=BB11_1056 Depth=1
	s_or_b64 exec, exec, s[24:25]
	s_lshl_b64 s[20:21], s[22:23], 12
	v_mov_b32_e32 v4, s21
	v_add_co_u32_e32 v26, vcc, s20, v26
	v_addc_co_u32_e32 v34, vcc, v27, v4, vcc
	v_cmp_gt_u64_e64 vcc, s[14:15], 56
	v_or_b32_e32 v5, v2, v33
	s_lshl_b32 s20, s16, 2
	v_cndmask_b32_e32 v2, v5, v2, vcc
	s_add_i32 s20, s20, 28
	v_or_b32_e32 v4, 0, v3
	s_and_b32 s20, s20, 0x1e0
	v_and_b32_e32 v2, 0xffffff1f, v2
	v_cndmask_b32_e32 v9, v4, v3, vcc
	v_or_b32_e32 v8, s20, v2
	v_readfirstlane_b32 s20, v26
	v_readfirstlane_b32 s21, v34
	s_nop 4
	global_store_dwordx4 v31, v[8:11], s[20:21]
	global_store_dwordx4 v31, v[12:15], s[20:21] offset:16
	global_store_dwordx4 v31, v[16:19], s[20:21] offset:32
	;; [unrolled: 1-line block ×3, first 2 shown]
	s_and_saveexec_b64 s[20:21], s[4:5]
	s_cbranch_execz .LBB11_1127
; %bb.1120:                             ;   in Loop: Header=BB11_1056 Depth=1
	global_load_dwordx2 v[12:13], v28, s[6:7] offset:32 glc
	global_load_dwordx2 v[2:3], v28, s[6:7] offset:40
	v_mov_b32_e32 v10, s18
	v_mov_b32_e32 v11, s19
	s_waitcnt vmcnt(0)
	v_readfirstlane_b32 s22, v2
	v_readfirstlane_b32 s23, v3
	s_and_b64 s[22:23], s[22:23], s[18:19]
	s_mul_i32 s23, s23, 24
	s_mul_hi_u32 s24, s22, 24
	s_mul_i32 s22, s22, 24
	s_add_i32 s23, s24, s23
	v_mov_b32_e32 v2, s23
	v_add_co_u32_e32 v8, vcc, s22, v24
	v_addc_co_u32_e32 v9, vcc, v25, v2, vcc
	global_store_dwordx2 v[8:9], v[12:13], off
	s_waitcnt vmcnt(0)
	global_atomic_cmpswap_x2 v[4:5], v28, v[10:13], s[6:7] offset:32 glc
	s_waitcnt vmcnt(0)
	v_cmp_ne_u64_e32 vcc, v[4:5], v[12:13]
	s_and_saveexec_b64 s[22:23], vcc
	s_cbranch_execz .LBB11_1123
; %bb.1121:                             ;   in Loop: Header=BB11_1056 Depth=1
	s_mov_b64 s[24:25], 0
.LBB11_1122:                            ;   Parent Loop BB11_1056 Depth=1
                                        ; =>  This Inner Loop Header: Depth=2
	s_sleep 1
	global_store_dwordx2 v[8:9], v[4:5], off
	v_mov_b32_e32 v2, s18
	v_mov_b32_e32 v3, s19
	s_waitcnt vmcnt(0)
	global_atomic_cmpswap_x2 v[2:3], v28, v[2:5], s[6:7] offset:32 glc
	s_waitcnt vmcnt(0)
	v_cmp_eq_u64_e32 vcc, v[2:3], v[4:5]
	v_mov_b32_e32 v5, v3
	s_or_b64 s[24:25], vcc, s[24:25]
	v_mov_b32_e32 v4, v2
	s_andn2_b64 exec, exec, s[24:25]
	s_cbranch_execnz .LBB11_1122
.LBB11_1123:                            ;   in Loop: Header=BB11_1056 Depth=1
	s_or_b64 exec, exec, s[22:23]
	global_load_dwordx2 v[2:3], v28, s[6:7] offset:16
	s_mov_b64 s[24:25], exec
	v_mbcnt_lo_u32_b32 v4, s24, 0
	v_mbcnt_hi_u32_b32 v4, s25, v4
	v_cmp_eq_u32_e32 vcc, 0, v4
	s_and_saveexec_b64 s[22:23], vcc
	s_cbranch_execz .LBB11_1125
; %bb.1124:                             ;   in Loop: Header=BB11_1056 Depth=1
	s_bcnt1_i32_b64 s24, s[24:25]
	v_mov_b32_e32 v27, s24
	s_waitcnt vmcnt(0)
	global_atomic_add_x2 v[2:3], v[27:28], off offset:8
.LBB11_1125:                            ;   in Loop: Header=BB11_1056 Depth=1
	s_or_b64 exec, exec, s[22:23]
	s_waitcnt vmcnt(0)
	global_load_dwordx2 v[4:5], v[2:3], off offset:16
	s_waitcnt vmcnt(0)
	v_cmp_eq_u64_e32 vcc, 0, v[4:5]
	s_cbranch_vccnz .LBB11_1127
; %bb.1126:                             ;   in Loop: Header=BB11_1056 Depth=1
	global_load_dword v27, v[2:3], off offset:24
	s_waitcnt vmcnt(0)
	v_and_b32_e32 v2, 0xffffff, v27
	v_readfirstlane_b32 m0, v2
	global_store_dwordx2 v[4:5], v[27:28], off
	s_sendmsg sendmsg(MSG_INTERRUPT)
.LBB11_1127:                            ;   in Loop: Header=BB11_1056 Depth=1
	s_or_b64 exec, exec, s[20:21]
	v_add_co_u32_e32 v2, vcc, v26, v31
	v_addc_co_u32_e32 v3, vcc, 0, v34, vcc
	s_branch .LBB11_1131
.LBB11_1128:                            ;   in Loop: Header=BB11_1131 Depth=2
	s_or_b64 exec, exec, s[20:21]
	v_readfirstlane_b32 s20, v4
	s_cmp_eq_u32 s20, 0
	s_cbranch_scc1 .LBB11_1130
; %bb.1129:                             ;   in Loop: Header=BB11_1131 Depth=2
	s_sleep 1
	s_cbranch_execnz .LBB11_1131
	s_branch .LBB11_1133
.LBB11_1130:                            ;   in Loop: Header=BB11_1056 Depth=1
	s_branch .LBB11_1133
.LBB11_1131:                            ;   Parent Loop BB11_1056 Depth=1
                                        ; =>  This Inner Loop Header: Depth=2
	v_mov_b32_e32 v4, 1
	s_and_saveexec_b64 s[20:21], s[4:5]
	s_cbranch_execz .LBB11_1128
; %bb.1132:                             ;   in Loop: Header=BB11_1131 Depth=2
	global_load_dword v4, v[29:30], off offset:20 glc
	s_waitcnt vmcnt(0)
	buffer_wbinvl1_vol
	v_and_b32_e32 v4, 1, v4
	s_branch .LBB11_1128
.LBB11_1133:                            ;   in Loop: Header=BB11_1056 Depth=1
	global_load_dwordx4 v[2:5], v[2:3], off
	s_and_saveexec_b64 s[20:21], s[4:5]
	s_cbranch_execz .LBB11_1055
; %bb.1134:                             ;   in Loop: Header=BB11_1056 Depth=1
	global_load_dwordx2 v[4:5], v28, s[6:7] offset:40
	global_load_dwordx2 v[12:13], v28, s[6:7] offset:24 glc
	global_load_dwordx2 v[14:15], v28, s[6:7]
	v_mov_b32_e32 v9, s19
	s_waitcnt vmcnt(2)
	v_add_co_u32_e32 v10, vcc, 1, v4
	v_addc_co_u32_e32 v11, vcc, 0, v5, vcc
	v_add_co_u32_e32 v8, vcc, s18, v10
	v_addc_co_u32_e32 v9, vcc, v11, v9, vcc
	v_cmp_eq_u64_e32 vcc, 0, v[8:9]
	v_cndmask_b32_e32 v9, v9, v11, vcc
	v_cndmask_b32_e32 v8, v8, v10, vcc
	v_and_b32_e32 v5, v9, v5
	v_and_b32_e32 v4, v8, v4
	v_mul_lo_u32 v5, v5, 24
	v_mul_hi_u32 v11, v4, 24
	v_mul_lo_u32 v4, v4, 24
	s_waitcnt vmcnt(1)
	v_mov_b32_e32 v10, v12
	v_add_u32_e32 v5, v11, v5
	s_waitcnt vmcnt(0)
	v_add_co_u32_e32 v4, vcc, v14, v4
	v_addc_co_u32_e32 v5, vcc, v15, v5, vcc
	global_store_dwordx2 v[4:5], v[12:13], off
	v_mov_b32_e32 v11, v13
	s_waitcnt vmcnt(0)
	global_atomic_cmpswap_x2 v[10:11], v28, v[8:11], s[6:7] offset:24 glc
	s_waitcnt vmcnt(0)
	v_cmp_ne_u64_e32 vcc, v[10:11], v[12:13]
	s_and_b64 exec, exec, vcc
	s_cbranch_execz .LBB11_1055
; %bb.1135:                             ;   in Loop: Header=BB11_1056 Depth=1
	s_mov_b64 s[4:5], 0
.LBB11_1136:                            ;   Parent Loop BB11_1056 Depth=1
                                        ; =>  This Inner Loop Header: Depth=2
	s_sleep 1
	global_store_dwordx2 v[4:5], v[10:11], off
	s_waitcnt vmcnt(0)
	global_atomic_cmpswap_x2 v[12:13], v28, v[8:11], s[6:7] offset:24 glc
	s_waitcnt vmcnt(0)
	v_cmp_eq_u64_e32 vcc, v[12:13], v[10:11]
	v_mov_b32_e32 v10, v12
	s_or_b64 s[4:5], vcc, s[4:5]
	v_mov_b32_e32 v11, v13
	s_andn2_b64 exec, exec, s[4:5]
	s_cbranch_execnz .LBB11_1136
	s_branch .LBB11_1055
.LBB11_1137:
	s_mov_b64 s[4:5], 0
	s_branch .LBB11_1139
.LBB11_1138:
	s_mov_b64 s[4:5], -1
                                        ; implicit-def: $vgpr2_vgpr3
.LBB11_1139:
	s_and_b64 vcc, exec, s[4:5]
	s_cbranch_vccz .LBB11_1166
; %bb.1140:
	v_readfirstlane_b32 s4, v32
	v_mov_b32_e32 v8, 0
	v_mov_b32_e32 v9, 0
	v_cmp_eq_u32_e64 s[4:5], s4, v32
	s_and_saveexec_b64 s[12:13], s[4:5]
	s_cbranch_execz .LBB11_1146
; %bb.1141:
	s_waitcnt vmcnt(0)
	v_mov_b32_e32 v2, 0
	global_load_dwordx2 v[5:6], v2, s[6:7] offset:24 glc
	s_waitcnt vmcnt(0)
	buffer_wbinvl1_vol
	global_load_dwordx2 v[3:4], v2, s[6:7] offset:40
	global_load_dwordx2 v[7:8], v2, s[6:7]
	s_waitcnt vmcnt(1)
	v_and_b32_e32 v3, v3, v5
	v_and_b32_e32 v4, v4, v6
	v_mul_lo_u32 v4, v4, 24
	v_mul_hi_u32 v9, v3, 24
	v_mul_lo_u32 v3, v3, 24
	v_add_u32_e32 v4, v9, v4
	s_waitcnt vmcnt(0)
	v_add_co_u32_e32 v3, vcc, v7, v3
	v_addc_co_u32_e32 v4, vcc, v8, v4, vcc
	global_load_dwordx2 v[3:4], v[3:4], off glc
	s_waitcnt vmcnt(0)
	global_atomic_cmpswap_x2 v[8:9], v2, v[3:6], s[6:7] offset:24 glc
	s_waitcnt vmcnt(0)
	buffer_wbinvl1_vol
	v_cmp_ne_u64_e32 vcc, v[8:9], v[5:6]
	s_and_saveexec_b64 s[14:15], vcc
	s_cbranch_execz .LBB11_1145
; %bb.1142:
	s_mov_b64 s[16:17], 0
.LBB11_1143:                            ; =>This Inner Loop Header: Depth=1
	s_sleep 1
	global_load_dwordx2 v[3:4], v2, s[6:7] offset:40
	global_load_dwordx2 v[10:11], v2, s[6:7]
	v_mov_b32_e32 v5, v8
	v_mov_b32_e32 v6, v9
	s_waitcnt vmcnt(1)
	v_and_b32_e32 v3, v3, v5
	s_waitcnt vmcnt(0)
	v_mad_u64_u32 v[7:8], s[18:19], v3, 24, v[10:11]
	v_and_b32_e32 v4, v4, v6
	v_mov_b32_e32 v3, v8
	v_mad_u64_u32 v[3:4], s[18:19], v4, 24, v[3:4]
	v_mov_b32_e32 v8, v3
	global_load_dwordx2 v[3:4], v[7:8], off glc
	s_waitcnt vmcnt(0)
	global_atomic_cmpswap_x2 v[8:9], v2, v[3:6], s[6:7] offset:24 glc
	s_waitcnt vmcnt(0)
	buffer_wbinvl1_vol
	v_cmp_eq_u64_e32 vcc, v[8:9], v[5:6]
	s_or_b64 s[16:17], vcc, s[16:17]
	s_andn2_b64 exec, exec, s[16:17]
	s_cbranch_execnz .LBB11_1143
; %bb.1144:
	s_or_b64 exec, exec, s[16:17]
.LBB11_1145:
	s_or_b64 exec, exec, s[14:15]
.LBB11_1146:
	s_or_b64 exec, exec, s[12:13]
	s_waitcnt vmcnt(0)
	v_mov_b32_e32 v2, 0
	global_load_dwordx2 v[10:11], v2, s[6:7] offset:40
	global_load_dwordx4 v[4:7], v2, s[6:7]
	v_readfirstlane_b32 s12, v8
	v_readfirstlane_b32 s13, v9
	s_mov_b64 s[14:15], exec
	s_waitcnt vmcnt(1)
	v_readfirstlane_b32 s16, v10
	v_readfirstlane_b32 s17, v11
	s_and_b64 s[16:17], s[12:13], s[16:17]
	s_mul_i32 s18, s17, 24
	s_mul_hi_u32 s19, s16, 24
	s_mul_i32 s20, s16, 24
	s_add_i32 s18, s19, s18
	v_mov_b32_e32 v3, s18
	s_waitcnt vmcnt(0)
	v_add_co_u32_e32 v8, vcc, s20, v4
	v_addc_co_u32_e32 v9, vcc, v5, v3, vcc
	s_and_saveexec_b64 s[18:19], s[4:5]
	s_cbranch_execz .LBB11_1148
; %bb.1147:
	v_mov_b32_e32 v10, s14
	v_mov_b32_e32 v11, s15
	;; [unrolled: 1-line block ×4, first 2 shown]
	global_store_dwordx4 v[8:9], v[10:13], off offset:8
.LBB11_1148:
	s_or_b64 exec, exec, s[18:19]
	s_lshl_b64 s[14:15], s[16:17], 12
	v_mov_b32_e32 v3, s15
	v_add_co_u32_e32 v10, vcc, s14, v6
	v_addc_co_u32_e32 v11, vcc, v7, v3, vcc
	s_movk_i32 s14, 0xff1f
	v_and_or_b32 v0, v0, s14, 32
	s_mov_b32 s16, 0
	v_mov_b32_e32 v3, v2
	v_readfirstlane_b32 s14, v10
	v_readfirstlane_b32 s15, v11
	v_add_co_u32_e32 v6, vcc, v10, v31
	s_mov_b32 s17, s16
	s_mov_b32 s18, s16
	;; [unrolled: 1-line block ×3, first 2 shown]
	s_nop 0
	global_store_dwordx4 v31, v[0:3], s[14:15]
	v_addc_co_u32_e32 v7, vcc, 0, v11, vcc
	v_mov_b32_e32 v0, s16
	v_mov_b32_e32 v1, s17
	;; [unrolled: 1-line block ×4, first 2 shown]
	global_store_dwordx4 v31, v[0:3], s[14:15] offset:16
	global_store_dwordx4 v31, v[0:3], s[14:15] offset:32
	;; [unrolled: 1-line block ×3, first 2 shown]
	s_and_saveexec_b64 s[14:15], s[4:5]
	s_cbranch_execz .LBB11_1156
; %bb.1149:
	v_mov_b32_e32 v10, 0
	global_load_dwordx2 v[13:14], v10, s[6:7] offset:32 glc
	global_load_dwordx2 v[0:1], v10, s[6:7] offset:40
	v_mov_b32_e32 v11, s12
	v_mov_b32_e32 v12, s13
	s_waitcnt vmcnt(0)
	v_readfirstlane_b32 s16, v0
	v_readfirstlane_b32 s17, v1
	s_and_b64 s[16:17], s[16:17], s[12:13]
	s_mul_i32 s17, s17, 24
	s_mul_hi_u32 s18, s16, 24
	s_mul_i32 s16, s16, 24
	s_add_i32 s17, s18, s17
	v_mov_b32_e32 v0, s17
	v_add_co_u32_e32 v4, vcc, s16, v4
	v_addc_co_u32_e32 v5, vcc, v5, v0, vcc
	global_store_dwordx2 v[4:5], v[13:14], off
	s_waitcnt vmcnt(0)
	global_atomic_cmpswap_x2 v[2:3], v10, v[11:14], s[6:7] offset:32 glc
	s_waitcnt vmcnt(0)
	v_cmp_ne_u64_e32 vcc, v[2:3], v[13:14]
	s_and_saveexec_b64 s[16:17], vcc
	s_cbranch_execz .LBB11_1152
; %bb.1150:
	s_mov_b64 s[18:19], 0
.LBB11_1151:                            ; =>This Inner Loop Header: Depth=1
	s_sleep 1
	global_store_dwordx2 v[4:5], v[2:3], off
	v_mov_b32_e32 v0, s12
	v_mov_b32_e32 v1, s13
	s_waitcnt vmcnt(0)
	global_atomic_cmpswap_x2 v[0:1], v10, v[0:3], s[6:7] offset:32 glc
	s_waitcnt vmcnt(0)
	v_cmp_eq_u64_e32 vcc, v[0:1], v[2:3]
	v_mov_b32_e32 v3, v1
	s_or_b64 s[18:19], vcc, s[18:19]
	v_mov_b32_e32 v2, v0
	s_andn2_b64 exec, exec, s[18:19]
	s_cbranch_execnz .LBB11_1151
.LBB11_1152:
	s_or_b64 exec, exec, s[16:17]
	v_mov_b32_e32 v3, 0
	global_load_dwordx2 v[0:1], v3, s[6:7] offset:16
	s_mov_b64 s[16:17], exec
	v_mbcnt_lo_u32_b32 v2, s16, 0
	v_mbcnt_hi_u32_b32 v2, s17, v2
	v_cmp_eq_u32_e32 vcc, 0, v2
	s_and_saveexec_b64 s[18:19], vcc
	s_cbranch_execz .LBB11_1154
; %bb.1153:
	s_bcnt1_i32_b64 s16, s[16:17]
	v_mov_b32_e32 v2, s16
	s_waitcnt vmcnt(0)
	global_atomic_add_x2 v[0:1], v[2:3], off offset:8
.LBB11_1154:
	s_or_b64 exec, exec, s[18:19]
	s_waitcnt vmcnt(0)
	global_load_dwordx2 v[2:3], v[0:1], off offset:16
	s_waitcnt vmcnt(0)
	v_cmp_eq_u64_e32 vcc, 0, v[2:3]
	s_cbranch_vccnz .LBB11_1156
; %bb.1155:
	global_load_dword v0, v[0:1], off offset:24
	v_mov_b32_e32 v1, 0
	s_waitcnt vmcnt(0)
	global_store_dwordx2 v[2:3], v[0:1], off
	v_and_b32_e32 v0, 0xffffff, v0
	v_readfirstlane_b32 m0, v0
	s_sendmsg sendmsg(MSG_INTERRUPT)
.LBB11_1156:
	s_or_b64 exec, exec, s[14:15]
	s_branch .LBB11_1160
.LBB11_1157:                            ;   in Loop: Header=BB11_1160 Depth=1
	s_or_b64 exec, exec, s[14:15]
	v_readfirstlane_b32 s14, v0
	s_cmp_eq_u32 s14, 0
	s_cbranch_scc1 .LBB11_1159
; %bb.1158:                             ;   in Loop: Header=BB11_1160 Depth=1
	s_sleep 1
	s_cbranch_execnz .LBB11_1160
	s_branch .LBB11_1162
.LBB11_1159:
	s_branch .LBB11_1162
.LBB11_1160:                            ; =>This Inner Loop Header: Depth=1
	v_mov_b32_e32 v0, 1
	s_and_saveexec_b64 s[14:15], s[4:5]
	s_cbranch_execz .LBB11_1157
; %bb.1161:                             ;   in Loop: Header=BB11_1160 Depth=1
	global_load_dword v0, v[8:9], off offset:20 glc
	s_waitcnt vmcnt(0)
	buffer_wbinvl1_vol
	v_and_b32_e32 v0, 1, v0
	s_branch .LBB11_1157
.LBB11_1162:
	global_load_dwordx2 v[2:3], v[6:7], off
	s_and_saveexec_b64 s[14:15], s[4:5]
	s_cbranch_execz .LBB11_1165
; %bb.1163:
	v_mov_b32_e32 v8, 0
	global_load_dwordx2 v[0:1], v8, s[6:7] offset:40
	global_load_dwordx2 v[9:10], v8, s[6:7] offset:24 glc
	global_load_dwordx2 v[11:12], v8, s[6:7]
	v_mov_b32_e32 v5, s13
	s_mov_b64 s[4:5], 0
	s_waitcnt vmcnt(2)
	v_add_co_u32_e32 v6, vcc, 1, v0
	v_addc_co_u32_e32 v7, vcc, 0, v1, vcc
	v_add_co_u32_e32 v4, vcc, s12, v6
	v_addc_co_u32_e32 v5, vcc, v7, v5, vcc
	v_cmp_eq_u64_e32 vcc, 0, v[4:5]
	v_cndmask_b32_e32 v5, v5, v7, vcc
	v_cndmask_b32_e32 v4, v4, v6, vcc
	v_and_b32_e32 v1, v5, v1
	v_and_b32_e32 v0, v4, v0
	v_mul_lo_u32 v1, v1, 24
	v_mul_hi_u32 v7, v0, 24
	v_mul_lo_u32 v0, v0, 24
	s_waitcnt vmcnt(1)
	v_mov_b32_e32 v6, v9
	v_add_u32_e32 v1, v7, v1
	s_waitcnt vmcnt(0)
	v_add_co_u32_e32 v0, vcc, v11, v0
	v_addc_co_u32_e32 v1, vcc, v12, v1, vcc
	global_store_dwordx2 v[0:1], v[9:10], off
	v_mov_b32_e32 v7, v10
	s_waitcnt vmcnt(0)
	global_atomic_cmpswap_x2 v[6:7], v8, v[4:7], s[6:7] offset:24 glc
	s_waitcnt vmcnt(0)
	v_cmp_ne_u64_e32 vcc, v[6:7], v[9:10]
	s_and_b64 exec, exec, vcc
	s_cbranch_execz .LBB11_1165
.LBB11_1164:                            ; =>This Inner Loop Header: Depth=1
	s_sleep 1
	global_store_dwordx2 v[0:1], v[6:7], off
	s_waitcnt vmcnt(0)
	global_atomic_cmpswap_x2 v[9:10], v8, v[4:7], s[6:7] offset:24 glc
	s_waitcnt vmcnt(0)
	v_cmp_eq_u64_e32 vcc, v[9:10], v[6:7]
	v_mov_b32_e32 v6, v9
	s_or_b64 s[4:5], vcc, s[4:5]
	v_mov_b32_e32 v7, v10
	s_andn2_b64 exec, exec, s[4:5]
	s_cbranch_execnz .LBB11_1164
.LBB11_1165:
	s_or_b64 exec, exec, s[14:15]
.LBB11_1166:
	v_readfirstlane_b32 s4, v32
	s_waitcnt vmcnt(0)
	v_mov_b32_e32 v0, 0
	v_mov_b32_e32 v1, 0
	v_cmp_eq_u32_e64 s[4:5], s4, v32
	s_and_saveexec_b64 s[12:13], s[4:5]
	s_cbranch_execz .LBB11_1172
; %bb.1167:
	v_mov_b32_e32 v4, 0
	global_load_dwordx2 v[7:8], v4, s[6:7] offset:24 glc
	s_waitcnt vmcnt(0)
	buffer_wbinvl1_vol
	global_load_dwordx2 v[0:1], v4, s[6:7] offset:40
	global_load_dwordx2 v[5:6], v4, s[6:7]
	s_waitcnt vmcnt(1)
	v_and_b32_e32 v0, v0, v7
	v_and_b32_e32 v1, v1, v8
	v_mul_lo_u32 v1, v1, 24
	v_mul_hi_u32 v9, v0, 24
	v_mul_lo_u32 v0, v0, 24
	v_add_u32_e32 v1, v9, v1
	s_waitcnt vmcnt(0)
	v_add_co_u32_e32 v0, vcc, v5, v0
	v_addc_co_u32_e32 v1, vcc, v6, v1, vcc
	global_load_dwordx2 v[5:6], v[0:1], off glc
	s_waitcnt vmcnt(0)
	global_atomic_cmpswap_x2 v[0:1], v4, v[5:8], s[6:7] offset:24 glc
	s_waitcnt vmcnt(0)
	buffer_wbinvl1_vol
	v_cmp_ne_u64_e32 vcc, v[0:1], v[7:8]
	s_and_saveexec_b64 s[14:15], vcc
	s_cbranch_execz .LBB11_1171
; %bb.1168:
	s_mov_b64 s[16:17], 0
.LBB11_1169:                            ; =>This Inner Loop Header: Depth=1
	s_sleep 1
	global_load_dwordx2 v[5:6], v4, s[6:7] offset:40
	global_load_dwordx2 v[9:10], v4, s[6:7]
	v_mov_b32_e32 v8, v1
	v_mov_b32_e32 v7, v0
	s_waitcnt vmcnt(1)
	v_and_b32_e32 v0, v5, v7
	s_waitcnt vmcnt(0)
	v_mad_u64_u32 v[0:1], s[18:19], v0, 24, v[9:10]
	v_and_b32_e32 v5, v6, v8
	v_mad_u64_u32 v[5:6], s[18:19], v5, 24, v[1:2]
	v_mov_b32_e32 v1, v5
	global_load_dwordx2 v[5:6], v[0:1], off glc
	s_waitcnt vmcnt(0)
	global_atomic_cmpswap_x2 v[0:1], v4, v[5:8], s[6:7] offset:24 glc
	s_waitcnt vmcnt(0)
	buffer_wbinvl1_vol
	v_cmp_eq_u64_e32 vcc, v[0:1], v[7:8]
	s_or_b64 s[16:17], vcc, s[16:17]
	s_andn2_b64 exec, exec, s[16:17]
	s_cbranch_execnz .LBB11_1169
; %bb.1170:
	s_or_b64 exec, exec, s[16:17]
.LBB11_1171:
	s_or_b64 exec, exec, s[14:15]
.LBB11_1172:
	s_or_b64 exec, exec, s[12:13]
	v_mov_b32_e32 v5, 0
	global_load_dwordx2 v[10:11], v5, s[6:7] offset:40
	global_load_dwordx4 v[6:9], v5, s[6:7]
	v_readfirstlane_b32 s12, v0
	v_readfirstlane_b32 s13, v1
	s_mov_b64 s[14:15], exec
	s_waitcnt vmcnt(1)
	v_readfirstlane_b32 s16, v10
	v_readfirstlane_b32 s17, v11
	s_and_b64 s[16:17], s[12:13], s[16:17]
	s_mul_i32 s18, s17, 24
	s_mul_hi_u32 s19, s16, 24
	s_mul_i32 s20, s16, 24
	s_add_i32 s18, s19, s18
	v_mov_b32_e32 v0, s18
	s_waitcnt vmcnt(0)
	v_add_co_u32_e32 v10, vcc, s20, v6
	v_addc_co_u32_e32 v11, vcc, v7, v0, vcc
	s_and_saveexec_b64 s[18:19], s[4:5]
	s_cbranch_execz .LBB11_1174
; %bb.1173:
	v_mov_b32_e32 v12, s14
	v_mov_b32_e32 v13, s15
	v_mov_b32_e32 v14, 2
	v_mov_b32_e32 v15, 1
	global_store_dwordx4 v[10:11], v[12:15], off offset:8
.LBB11_1174:
	s_or_b64 exec, exec, s[18:19]
	s_lshl_b64 s[14:15], s[16:17], 12
	v_mov_b32_e32 v0, s15
	v_add_co_u32_e32 v1, vcc, s14, v8
	v_addc_co_u32_e32 v0, vcc, v9, v0, vcc
	s_movk_i32 s14, 0xff1d
	v_and_or_b32 v2, v2, s14, 34
	s_mov_b32 s16, 0
	v_mov_b32_e32 v4, 58
	v_readfirstlane_b32 s14, v1
	v_readfirstlane_b32 s15, v0
	s_mov_b32 s17, s16
	s_mov_b32 s18, s16
	;; [unrolled: 1-line block ×3, first 2 shown]
	s_nop 1
	global_store_dwordx4 v31, v[2:5], s[14:15]
	v_mov_b32_e32 v0, s16
	v_mov_b32_e32 v1, s17
	;; [unrolled: 1-line block ×4, first 2 shown]
	global_store_dwordx4 v31, v[0:3], s[14:15] offset:16
	global_store_dwordx4 v31, v[0:3], s[14:15] offset:32
	;; [unrolled: 1-line block ×3, first 2 shown]
	s_and_saveexec_b64 s[14:15], s[4:5]
	s_cbranch_execz .LBB11_1182
; %bb.1175:
	v_mov_b32_e32 v8, 0
	global_load_dwordx2 v[14:15], v8, s[6:7] offset:32 glc
	global_load_dwordx2 v[0:1], v8, s[6:7] offset:40
	v_mov_b32_e32 v12, s12
	v_mov_b32_e32 v13, s13
	s_waitcnt vmcnt(0)
	v_readfirstlane_b32 s16, v0
	v_readfirstlane_b32 s17, v1
	s_and_b64 s[16:17], s[16:17], s[12:13]
	s_mul_i32 s17, s17, 24
	s_mul_hi_u32 s18, s16, 24
	s_mul_i32 s16, s16, 24
	s_add_i32 s17, s18, s17
	v_mov_b32_e32 v0, s17
	v_add_co_u32_e32 v4, vcc, s16, v6
	v_addc_co_u32_e32 v5, vcc, v7, v0, vcc
	global_store_dwordx2 v[4:5], v[14:15], off
	s_waitcnt vmcnt(0)
	global_atomic_cmpswap_x2 v[2:3], v8, v[12:15], s[6:7] offset:32 glc
	s_waitcnt vmcnt(0)
	v_cmp_ne_u64_e32 vcc, v[2:3], v[14:15]
	s_and_saveexec_b64 s[16:17], vcc
	s_cbranch_execz .LBB11_1178
; %bb.1176:
	s_mov_b64 s[18:19], 0
.LBB11_1177:                            ; =>This Inner Loop Header: Depth=1
	s_sleep 1
	global_store_dwordx2 v[4:5], v[2:3], off
	v_mov_b32_e32 v0, s12
	v_mov_b32_e32 v1, s13
	s_waitcnt vmcnt(0)
	global_atomic_cmpswap_x2 v[0:1], v8, v[0:3], s[6:7] offset:32 glc
	s_waitcnt vmcnt(0)
	v_cmp_eq_u64_e32 vcc, v[0:1], v[2:3]
	v_mov_b32_e32 v3, v1
	s_or_b64 s[18:19], vcc, s[18:19]
	v_mov_b32_e32 v2, v0
	s_andn2_b64 exec, exec, s[18:19]
	s_cbranch_execnz .LBB11_1177
.LBB11_1178:
	s_or_b64 exec, exec, s[16:17]
	v_mov_b32_e32 v3, 0
	global_load_dwordx2 v[0:1], v3, s[6:7] offset:16
	s_mov_b64 s[16:17], exec
	v_mbcnt_lo_u32_b32 v2, s16, 0
	v_mbcnt_hi_u32_b32 v2, s17, v2
	v_cmp_eq_u32_e32 vcc, 0, v2
	s_and_saveexec_b64 s[18:19], vcc
	s_cbranch_execz .LBB11_1180
; %bb.1179:
	s_bcnt1_i32_b64 s16, s[16:17]
	v_mov_b32_e32 v2, s16
	s_waitcnt vmcnt(0)
	global_atomic_add_x2 v[0:1], v[2:3], off offset:8
.LBB11_1180:
	s_or_b64 exec, exec, s[18:19]
	s_waitcnt vmcnt(0)
	global_load_dwordx2 v[2:3], v[0:1], off offset:16
	s_waitcnt vmcnt(0)
	v_cmp_eq_u64_e32 vcc, 0, v[2:3]
	s_cbranch_vccnz .LBB11_1182
; %bb.1181:
	global_load_dword v0, v[0:1], off offset:24
	v_mov_b32_e32 v1, 0
	s_waitcnt vmcnt(0)
	global_store_dwordx2 v[2:3], v[0:1], off
	v_and_b32_e32 v0, 0xffffff, v0
	v_readfirstlane_b32 m0, v0
	s_sendmsg sendmsg(MSG_INTERRUPT)
.LBB11_1182:
	s_or_b64 exec, exec, s[14:15]
	s_branch .LBB11_1186
.LBB11_1183:                            ;   in Loop: Header=BB11_1186 Depth=1
	s_or_b64 exec, exec, s[14:15]
	v_readfirstlane_b32 s14, v0
	s_cmp_eq_u32 s14, 0
	s_cbranch_scc1 .LBB11_1185
; %bb.1184:                             ;   in Loop: Header=BB11_1186 Depth=1
	s_sleep 1
	s_cbranch_execnz .LBB11_1186
	s_branch .LBB11_1188
.LBB11_1185:
	s_branch .LBB11_1188
.LBB11_1186:                            ; =>This Inner Loop Header: Depth=1
	v_mov_b32_e32 v0, 1
	s_and_saveexec_b64 s[14:15], s[4:5]
	s_cbranch_execz .LBB11_1183
; %bb.1187:                             ;   in Loop: Header=BB11_1186 Depth=1
	global_load_dword v0, v[10:11], off offset:20 glc
	s_waitcnt vmcnt(0)
	buffer_wbinvl1_vol
	v_and_b32_e32 v0, 1, v0
	s_branch .LBB11_1183
.LBB11_1188:
	s_and_saveexec_b64 s[14:15], s[4:5]
	s_cbranch_execz .LBB11_1191
; %bb.1189:
	v_mov_b32_e32 v6, 0
	global_load_dwordx2 v[2:3], v6, s[6:7] offset:40
	global_load_dwordx2 v[7:8], v6, s[6:7] offset:24 glc
	global_load_dwordx2 v[4:5], v6, s[6:7]
	v_mov_b32_e32 v1, s13
	s_mov_b64 s[4:5], 0
	s_waitcnt vmcnt(2)
	v_add_co_u32_e32 v9, vcc, 1, v2
	v_addc_co_u32_e32 v10, vcc, 0, v3, vcc
	v_add_co_u32_e32 v0, vcc, s12, v9
	v_addc_co_u32_e32 v1, vcc, v10, v1, vcc
	v_cmp_eq_u64_e32 vcc, 0, v[0:1]
	v_cndmask_b32_e32 v1, v1, v10, vcc
	v_cndmask_b32_e32 v0, v0, v9, vcc
	v_and_b32_e32 v3, v1, v3
	v_and_b32_e32 v2, v0, v2
	v_mul_lo_u32 v3, v3, 24
	v_mul_hi_u32 v9, v2, 24
	v_mul_lo_u32 v10, v2, 24
	s_waitcnt vmcnt(1)
	v_mov_b32_e32 v2, v7
	v_add_u32_e32 v3, v9, v3
	s_waitcnt vmcnt(0)
	v_add_co_u32_e32 v4, vcc, v4, v10
	v_addc_co_u32_e32 v5, vcc, v5, v3, vcc
	global_store_dwordx2 v[4:5], v[7:8], off
	v_mov_b32_e32 v3, v8
	s_waitcnt vmcnt(0)
	global_atomic_cmpswap_x2 v[2:3], v6, v[0:3], s[6:7] offset:24 glc
	s_waitcnt vmcnt(0)
	v_cmp_ne_u64_e32 vcc, v[2:3], v[7:8]
	s_and_b64 exec, exec, vcc
	s_cbranch_execz .LBB11_1191
.LBB11_1190:                            ; =>This Inner Loop Header: Depth=1
	s_sleep 1
	global_store_dwordx2 v[4:5], v[2:3], off
	s_waitcnt vmcnt(0)
	global_atomic_cmpswap_x2 v[7:8], v6, v[0:3], s[6:7] offset:24 glc
	s_waitcnt vmcnt(0)
	v_cmp_eq_u64_e32 vcc, v[7:8], v[2:3]
	v_mov_b32_e32 v2, v7
	s_or_b64 s[4:5], vcc, s[4:5]
	v_mov_b32_e32 v3, v8
	s_andn2_b64 exec, exec, s[4:5]
	s_cbranch_execnz .LBB11_1190
.LBB11_1191:
	s_or_b64 exec, exec, s[14:15]
	v_readfirstlane_b32 s4, v32
	v_mov_b32_e32 v5, 0
	v_mov_b32_e32 v6, 0
	v_cmp_eq_u32_e64 s[4:5], s4, v32
	s_and_saveexec_b64 s[12:13], s[4:5]
	s_cbranch_execz .LBB11_1197
; %bb.1192:
	v_mov_b32_e32 v0, 0
	global_load_dwordx2 v[3:4], v0, s[6:7] offset:24 glc
	s_waitcnt vmcnt(0)
	buffer_wbinvl1_vol
	global_load_dwordx2 v[1:2], v0, s[6:7] offset:40
	global_load_dwordx2 v[5:6], v0, s[6:7]
	s_waitcnt vmcnt(1)
	v_and_b32_e32 v1, v1, v3
	v_and_b32_e32 v2, v2, v4
	v_mul_lo_u32 v2, v2, 24
	v_mul_hi_u32 v7, v1, 24
	v_mul_lo_u32 v1, v1, 24
	v_add_u32_e32 v2, v7, v2
	s_waitcnt vmcnt(0)
	v_add_co_u32_e32 v1, vcc, v5, v1
	v_addc_co_u32_e32 v2, vcc, v6, v2, vcc
	global_load_dwordx2 v[1:2], v[1:2], off glc
	s_waitcnt vmcnt(0)
	global_atomic_cmpswap_x2 v[5:6], v0, v[1:4], s[6:7] offset:24 glc
	s_waitcnt vmcnt(0)
	buffer_wbinvl1_vol
	v_cmp_ne_u64_e32 vcc, v[5:6], v[3:4]
	s_and_saveexec_b64 s[14:15], vcc
	s_cbranch_execz .LBB11_1196
; %bb.1193:
	s_mov_b64 s[16:17], 0
.LBB11_1194:                            ; =>This Inner Loop Header: Depth=1
	s_sleep 1
	global_load_dwordx2 v[1:2], v0, s[6:7] offset:40
	global_load_dwordx2 v[7:8], v0, s[6:7]
	v_mov_b32_e32 v3, v5
	v_mov_b32_e32 v4, v6
	s_waitcnt vmcnt(1)
	v_and_b32_e32 v1, v1, v3
	s_waitcnt vmcnt(0)
	v_mad_u64_u32 v[5:6], s[18:19], v1, 24, v[7:8]
	v_and_b32_e32 v2, v2, v4
	v_mov_b32_e32 v1, v6
	v_mad_u64_u32 v[1:2], s[18:19], v2, 24, v[1:2]
	v_mov_b32_e32 v6, v1
	global_load_dwordx2 v[1:2], v[5:6], off glc
	s_waitcnt vmcnt(0)
	global_atomic_cmpswap_x2 v[5:6], v0, v[1:4], s[6:7] offset:24 glc
	s_waitcnt vmcnt(0)
	buffer_wbinvl1_vol
	v_cmp_eq_u64_e32 vcc, v[5:6], v[3:4]
	s_or_b64 s[16:17], vcc, s[16:17]
	s_andn2_b64 exec, exec, s[16:17]
	s_cbranch_execnz .LBB11_1194
; %bb.1195:
	s_or_b64 exec, exec, s[16:17]
.LBB11_1196:
	s_or_b64 exec, exec, s[14:15]
.LBB11_1197:
	s_or_b64 exec, exec, s[12:13]
	v_mov_b32_e32 v4, 0
	global_load_dwordx2 v[7:8], v4, s[6:7] offset:40
	global_load_dwordx4 v[0:3], v4, s[6:7]
	v_readfirstlane_b32 s12, v5
	v_readfirstlane_b32 s13, v6
	s_mov_b64 s[14:15], exec
	s_waitcnt vmcnt(1)
	v_readfirstlane_b32 s16, v7
	v_readfirstlane_b32 s17, v8
	s_and_b64 s[16:17], s[12:13], s[16:17]
	s_mul_i32 s18, s17, 24
	s_mul_hi_u32 s19, s16, 24
	s_mul_i32 s20, s16, 24
	s_add_i32 s18, s19, s18
	v_mov_b32_e32 v5, s18
	s_waitcnt vmcnt(0)
	v_add_co_u32_e32 v7, vcc, s20, v0
	v_addc_co_u32_e32 v8, vcc, v1, v5, vcc
	s_and_saveexec_b64 s[18:19], s[4:5]
	s_cbranch_execz .LBB11_1199
; %bb.1198:
	v_mov_b32_e32 v9, s14
	v_mov_b32_e32 v10, s15
	;; [unrolled: 1-line block ×4, first 2 shown]
	global_store_dwordx4 v[7:8], v[9:12], off offset:8
.LBB11_1199:
	s_or_b64 exec, exec, s[18:19]
	s_lshl_b64 s[14:15], s[16:17], 12
	v_mov_b32_e32 v5, s15
	v_add_co_u32_e32 v2, vcc, s14, v2
	v_addc_co_u32_e32 v11, vcc, v3, v5, vcc
	s_mov_b32 s16, 0
	v_mov_b32_e32 v3, 33
	v_mov_b32_e32 v5, v4
	;; [unrolled: 1-line block ×3, first 2 shown]
	v_readfirstlane_b32 s14, v2
	v_readfirstlane_b32 s15, v11
	v_add_co_u32_e32 v9, vcc, v2, v31
	s_mov_b32 s17, s16
	s_mov_b32 s18, s16
	;; [unrolled: 1-line block ×3, first 2 shown]
	s_nop 0
	global_store_dwordx4 v31, v[3:6], s[14:15]
	v_mov_b32_e32 v2, s16
	v_addc_co_u32_e32 v10, vcc, 0, v11, vcc
	v_mov_b32_e32 v3, s17
	v_mov_b32_e32 v4, s18
	;; [unrolled: 1-line block ×3, first 2 shown]
	global_store_dwordx4 v31, v[2:5], s[14:15] offset:16
	global_store_dwordx4 v31, v[2:5], s[14:15] offset:32
	;; [unrolled: 1-line block ×3, first 2 shown]
	s_and_saveexec_b64 s[14:15], s[4:5]
	s_cbranch_execz .LBB11_1207
; %bb.1200:
	v_mov_b32_e32 v6, 0
	global_load_dwordx2 v[13:14], v6, s[6:7] offset:32 glc
	global_load_dwordx2 v[2:3], v6, s[6:7] offset:40
	v_mov_b32_e32 v11, s12
	v_mov_b32_e32 v12, s13
	s_waitcnt vmcnt(0)
	v_readfirstlane_b32 s16, v2
	v_readfirstlane_b32 s17, v3
	s_and_b64 s[16:17], s[16:17], s[12:13]
	s_mul_i32 s17, s17, 24
	s_mul_hi_u32 s18, s16, 24
	s_mul_i32 s16, s16, 24
	s_add_i32 s17, s18, s17
	v_mov_b32_e32 v2, s17
	v_add_co_u32_e32 v4, vcc, s16, v0
	v_addc_co_u32_e32 v5, vcc, v1, v2, vcc
	global_store_dwordx2 v[4:5], v[13:14], off
	s_waitcnt vmcnt(0)
	global_atomic_cmpswap_x2 v[2:3], v6, v[11:14], s[6:7] offset:32 glc
	s_waitcnt vmcnt(0)
	v_cmp_ne_u64_e32 vcc, v[2:3], v[13:14]
	s_and_saveexec_b64 s[16:17], vcc
	s_cbranch_execz .LBB11_1203
; %bb.1201:
	s_mov_b64 s[18:19], 0
.LBB11_1202:                            ; =>This Inner Loop Header: Depth=1
	s_sleep 1
	global_store_dwordx2 v[4:5], v[2:3], off
	v_mov_b32_e32 v0, s12
	v_mov_b32_e32 v1, s13
	s_waitcnt vmcnt(0)
	global_atomic_cmpswap_x2 v[0:1], v6, v[0:3], s[6:7] offset:32 glc
	s_waitcnt vmcnt(0)
	v_cmp_eq_u64_e32 vcc, v[0:1], v[2:3]
	v_mov_b32_e32 v3, v1
	s_or_b64 s[18:19], vcc, s[18:19]
	v_mov_b32_e32 v2, v0
	s_andn2_b64 exec, exec, s[18:19]
	s_cbranch_execnz .LBB11_1202
.LBB11_1203:
	s_or_b64 exec, exec, s[16:17]
	v_mov_b32_e32 v3, 0
	global_load_dwordx2 v[0:1], v3, s[6:7] offset:16
	s_mov_b64 s[16:17], exec
	v_mbcnt_lo_u32_b32 v2, s16, 0
	v_mbcnt_hi_u32_b32 v2, s17, v2
	v_cmp_eq_u32_e32 vcc, 0, v2
	s_and_saveexec_b64 s[18:19], vcc
	s_cbranch_execz .LBB11_1205
; %bb.1204:
	s_bcnt1_i32_b64 s16, s[16:17]
	v_mov_b32_e32 v2, s16
	s_waitcnt vmcnt(0)
	global_atomic_add_x2 v[0:1], v[2:3], off offset:8
.LBB11_1205:
	s_or_b64 exec, exec, s[18:19]
	s_waitcnt vmcnt(0)
	global_load_dwordx2 v[2:3], v[0:1], off offset:16
	s_waitcnt vmcnt(0)
	v_cmp_eq_u64_e32 vcc, 0, v[2:3]
	s_cbranch_vccnz .LBB11_1207
; %bb.1206:
	global_load_dword v0, v[0:1], off offset:24
	v_mov_b32_e32 v1, 0
	s_waitcnt vmcnt(0)
	global_store_dwordx2 v[2:3], v[0:1], off
	v_and_b32_e32 v0, 0xffffff, v0
	v_readfirstlane_b32 m0, v0
	s_sendmsg sendmsg(MSG_INTERRUPT)
.LBB11_1207:
	s_or_b64 exec, exec, s[14:15]
	s_branch .LBB11_1211
.LBB11_1208:                            ;   in Loop: Header=BB11_1211 Depth=1
	s_or_b64 exec, exec, s[14:15]
	v_readfirstlane_b32 s14, v0
	s_cmp_eq_u32 s14, 0
	s_cbranch_scc1 .LBB11_1210
; %bb.1209:                             ;   in Loop: Header=BB11_1211 Depth=1
	s_sleep 1
	s_cbranch_execnz .LBB11_1211
	s_branch .LBB11_1213
.LBB11_1210:
	s_branch .LBB11_1213
.LBB11_1211:                            ; =>This Inner Loop Header: Depth=1
	v_mov_b32_e32 v0, 1
	s_and_saveexec_b64 s[14:15], s[4:5]
	s_cbranch_execz .LBB11_1208
; %bb.1212:                             ;   in Loop: Header=BB11_1211 Depth=1
	global_load_dword v0, v[7:8], off offset:20 glc
	s_waitcnt vmcnt(0)
	buffer_wbinvl1_vol
	v_and_b32_e32 v0, 1, v0
	s_branch .LBB11_1208
.LBB11_1213:
	global_load_dwordx2 v[0:1], v[9:10], off
	s_and_saveexec_b64 s[14:15], s[4:5]
	s_cbranch_execz .LBB11_1216
; %bb.1214:
	v_mov_b32_e32 v8, 0
	global_load_dwordx2 v[4:5], v8, s[6:7] offset:40
	global_load_dwordx2 v[9:10], v8, s[6:7] offset:24 glc
	global_load_dwordx2 v[6:7], v8, s[6:7]
	v_mov_b32_e32 v3, s13
	s_mov_b64 s[4:5], 0
	s_waitcnt vmcnt(2)
	v_add_co_u32_e32 v11, vcc, 1, v4
	v_addc_co_u32_e32 v12, vcc, 0, v5, vcc
	v_add_co_u32_e32 v2, vcc, s12, v11
	v_addc_co_u32_e32 v3, vcc, v12, v3, vcc
	v_cmp_eq_u64_e32 vcc, 0, v[2:3]
	v_cndmask_b32_e32 v3, v3, v12, vcc
	v_cndmask_b32_e32 v2, v2, v11, vcc
	v_and_b32_e32 v5, v3, v5
	v_and_b32_e32 v4, v2, v4
	v_mul_lo_u32 v5, v5, 24
	v_mul_hi_u32 v11, v4, 24
	v_mul_lo_u32 v12, v4, 24
	s_waitcnt vmcnt(1)
	v_mov_b32_e32 v4, v9
	v_add_u32_e32 v5, v11, v5
	s_waitcnt vmcnt(0)
	v_add_co_u32_e32 v6, vcc, v6, v12
	v_addc_co_u32_e32 v7, vcc, v7, v5, vcc
	global_store_dwordx2 v[6:7], v[9:10], off
	v_mov_b32_e32 v5, v10
	s_waitcnt vmcnt(0)
	global_atomic_cmpswap_x2 v[4:5], v8, v[2:5], s[6:7] offset:24 glc
	s_waitcnt vmcnt(0)
	v_cmp_ne_u64_e32 vcc, v[4:5], v[9:10]
	s_and_b64 exec, exec, vcc
	s_cbranch_execz .LBB11_1216
.LBB11_1215:                            ; =>This Inner Loop Header: Depth=1
	s_sleep 1
	global_store_dwordx2 v[6:7], v[4:5], off
	s_waitcnt vmcnt(0)
	global_atomic_cmpswap_x2 v[9:10], v8, v[2:5], s[6:7] offset:24 glc
	s_waitcnt vmcnt(0)
	v_cmp_eq_u64_e32 vcc, v[9:10], v[4:5]
	v_mov_b32_e32 v4, v9
	s_or_b64 s[4:5], vcc, s[4:5]
	v_mov_b32_e32 v5, v10
	s_andn2_b64 exec, exec, s[4:5]
	s_cbranch_execnz .LBB11_1215
.LBB11_1216:
	s_or_b64 exec, exec, s[14:15]
	s_and_b64 vcc, exec, s[10:11]
	s_cbranch_vccz .LBB11_1301
; %bb.1217:
	s_waitcnt vmcnt(0)
	v_and_b32_e32 v33, 2, v0
	v_mov_b32_e32 v28, 0
	v_and_b32_e32 v2, -3, v0
	v_mov_b32_e32 v3, v1
	s_mov_b64 s[12:13], 3
	v_mov_b32_e32 v6, 2
	v_mov_b32_e32 v7, 1
	s_getpc_b64 s[10:11]
	s_add_u32 s10, s10, .str.6@rel32@lo+4
	s_addc_u32 s11, s11, .str.6@rel32@hi+12
	s_branch .LBB11_1219
.LBB11_1218:                            ;   in Loop: Header=BB11_1219 Depth=1
	s_or_b64 exec, exec, s[18:19]
	s_sub_u32 s12, s12, s14
	s_subb_u32 s13, s13, s15
	s_add_u32 s10, s10, s14
	s_addc_u32 s11, s11, s15
	s_cmp_lg_u64 s[12:13], 0
	s_cbranch_scc0 .LBB11_1300
.LBB11_1219:                            ; =>This Loop Header: Depth=1
                                        ;     Child Loop BB11_1222 Depth 2
                                        ;     Child Loop BB11_1229 Depth 2
	;; [unrolled: 1-line block ×11, first 2 shown]
	v_cmp_lt_u64_e64 s[4:5], s[12:13], 56
	v_cmp_gt_u64_e64 s[16:17], s[12:13], 7
	s_and_b64 s[4:5], s[4:5], exec
	s_cselect_b32 s15, s13, 0
	s_cselect_b32 s14, s12, 56
	s_and_b64 vcc, exec, s[16:17]
	s_cbranch_vccnz .LBB11_1224
; %bb.1220:                             ;   in Loop: Header=BB11_1219 Depth=1
	v_mov_b32_e32 v10, 0
	s_cmp_eq_u64 s[12:13], 0
	v_mov_b32_e32 v11, 0
	s_mov_b64 s[4:5], 0
	s_cbranch_scc1 .LBB11_1223
; %bb.1221:                             ;   in Loop: Header=BB11_1219 Depth=1
	v_mov_b32_e32 v10, 0
	s_lshl_b64 s[16:17], s[14:15], 3
	s_mov_b64 s[18:19], 0
	v_mov_b32_e32 v11, 0
	s_mov_b64 s[20:21], s[10:11]
.LBB11_1222:                            ;   Parent Loop BB11_1219 Depth=1
                                        ; =>  This Inner Loop Header: Depth=2
	global_load_ubyte v4, v28, s[20:21]
	s_waitcnt vmcnt(0)
	v_and_b32_e32 v27, 0xffff, v4
	v_lshlrev_b64 v[4:5], s18, v[27:28]
	s_add_u32 s18, s18, 8
	s_addc_u32 s19, s19, 0
	s_add_u32 s20, s20, 1
	s_addc_u32 s21, s21, 0
	v_or_b32_e32 v10, v4, v10
	s_cmp_lg_u32 s16, s18
	v_or_b32_e32 v11, v5, v11
	s_cbranch_scc1 .LBB11_1222
.LBB11_1223:                            ;   in Loop: Header=BB11_1219 Depth=1
	s_mov_b32 s20, 0
	s_andn2_b64 vcc, exec, s[4:5]
	s_mov_b64 s[4:5], s[10:11]
	s_cbranch_vccz .LBB11_1225
	s_branch .LBB11_1226
.LBB11_1224:                            ;   in Loop: Header=BB11_1219 Depth=1
                                        ; implicit-def: $vgpr10_vgpr11
                                        ; implicit-def: $sgpr20
	s_mov_b64 s[4:5], s[10:11]
.LBB11_1225:                            ;   in Loop: Header=BB11_1219 Depth=1
	global_load_dwordx2 v[10:11], v28, s[10:11]
	s_add_i32 s20, s14, -8
	s_add_u32 s4, s10, 8
	s_addc_u32 s5, s11, 0
.LBB11_1226:                            ;   in Loop: Header=BB11_1219 Depth=1
	s_cmp_gt_u32 s20, 7
	s_cbranch_scc1 .LBB11_1230
; %bb.1227:                             ;   in Loop: Header=BB11_1219 Depth=1
	s_cmp_eq_u32 s20, 0
	s_cbranch_scc1 .LBB11_1231
; %bb.1228:                             ;   in Loop: Header=BB11_1219 Depth=1
	v_mov_b32_e32 v12, 0
	s_mov_b64 s[16:17], 0
	v_mov_b32_e32 v13, 0
	s_mov_b64 s[18:19], 0
.LBB11_1229:                            ;   Parent Loop BB11_1219 Depth=1
                                        ; =>  This Inner Loop Header: Depth=2
	s_add_u32 s22, s4, s18
	s_addc_u32 s23, s5, s19
	global_load_ubyte v4, v28, s[22:23]
	s_add_u32 s18, s18, 1
	s_addc_u32 s19, s19, 0
	s_waitcnt vmcnt(0)
	v_and_b32_e32 v27, 0xffff, v4
	v_lshlrev_b64 v[4:5], s16, v[27:28]
	s_add_u32 s16, s16, 8
	s_addc_u32 s17, s17, 0
	v_or_b32_e32 v12, v4, v12
	s_cmp_lg_u32 s20, s18
	v_or_b32_e32 v13, v5, v13
	s_cbranch_scc1 .LBB11_1229
	s_branch .LBB11_1232
.LBB11_1230:                            ;   in Loop: Header=BB11_1219 Depth=1
                                        ; implicit-def: $vgpr12_vgpr13
                                        ; implicit-def: $sgpr21
	s_branch .LBB11_1233
.LBB11_1231:                            ;   in Loop: Header=BB11_1219 Depth=1
	v_mov_b32_e32 v12, 0
	v_mov_b32_e32 v13, 0
.LBB11_1232:                            ;   in Loop: Header=BB11_1219 Depth=1
	s_mov_b32 s21, 0
	s_cbranch_execnz .LBB11_1234
.LBB11_1233:                            ;   in Loop: Header=BB11_1219 Depth=1
	global_load_dwordx2 v[12:13], v28, s[4:5]
	s_add_i32 s21, s20, -8
	s_add_u32 s4, s4, 8
	s_addc_u32 s5, s5, 0
.LBB11_1234:                            ;   in Loop: Header=BB11_1219 Depth=1
	s_cmp_gt_u32 s21, 7
	s_cbranch_scc1 .LBB11_1238
; %bb.1235:                             ;   in Loop: Header=BB11_1219 Depth=1
	s_cmp_eq_u32 s21, 0
	s_cbranch_scc1 .LBB11_1239
; %bb.1236:                             ;   in Loop: Header=BB11_1219 Depth=1
	v_mov_b32_e32 v14, 0
	s_mov_b64 s[16:17], 0
	v_mov_b32_e32 v15, 0
	s_mov_b64 s[18:19], 0
.LBB11_1237:                            ;   Parent Loop BB11_1219 Depth=1
                                        ; =>  This Inner Loop Header: Depth=2
	s_add_u32 s22, s4, s18
	s_addc_u32 s23, s5, s19
	global_load_ubyte v4, v28, s[22:23]
	s_add_u32 s18, s18, 1
	s_addc_u32 s19, s19, 0
	s_waitcnt vmcnt(0)
	v_and_b32_e32 v27, 0xffff, v4
	v_lshlrev_b64 v[4:5], s16, v[27:28]
	s_add_u32 s16, s16, 8
	s_addc_u32 s17, s17, 0
	v_or_b32_e32 v14, v4, v14
	s_cmp_lg_u32 s21, s18
	v_or_b32_e32 v15, v5, v15
	s_cbranch_scc1 .LBB11_1237
	s_branch .LBB11_1240
.LBB11_1238:                            ;   in Loop: Header=BB11_1219 Depth=1
                                        ; implicit-def: $sgpr20
	s_branch .LBB11_1241
.LBB11_1239:                            ;   in Loop: Header=BB11_1219 Depth=1
	v_mov_b32_e32 v14, 0
	v_mov_b32_e32 v15, 0
.LBB11_1240:                            ;   in Loop: Header=BB11_1219 Depth=1
	s_mov_b32 s20, 0
	s_cbranch_execnz .LBB11_1242
.LBB11_1241:                            ;   in Loop: Header=BB11_1219 Depth=1
	global_load_dwordx2 v[14:15], v28, s[4:5]
	s_add_i32 s20, s21, -8
	s_add_u32 s4, s4, 8
	s_addc_u32 s5, s5, 0
.LBB11_1242:                            ;   in Loop: Header=BB11_1219 Depth=1
	s_cmp_gt_u32 s20, 7
	s_cbranch_scc1 .LBB11_1246
; %bb.1243:                             ;   in Loop: Header=BB11_1219 Depth=1
	s_cmp_eq_u32 s20, 0
	s_cbranch_scc1 .LBB11_1247
; %bb.1244:                             ;   in Loop: Header=BB11_1219 Depth=1
	v_mov_b32_e32 v16, 0
	s_mov_b64 s[16:17], 0
	v_mov_b32_e32 v17, 0
	s_mov_b64 s[18:19], 0
.LBB11_1245:                            ;   Parent Loop BB11_1219 Depth=1
                                        ; =>  This Inner Loop Header: Depth=2
	s_add_u32 s22, s4, s18
	s_addc_u32 s23, s5, s19
	global_load_ubyte v4, v28, s[22:23]
	s_add_u32 s18, s18, 1
	s_addc_u32 s19, s19, 0
	s_waitcnt vmcnt(0)
	v_and_b32_e32 v27, 0xffff, v4
	v_lshlrev_b64 v[4:5], s16, v[27:28]
	s_add_u32 s16, s16, 8
	s_addc_u32 s17, s17, 0
	v_or_b32_e32 v16, v4, v16
	s_cmp_lg_u32 s20, s18
	v_or_b32_e32 v17, v5, v17
	s_cbranch_scc1 .LBB11_1245
	s_branch .LBB11_1248
.LBB11_1246:                            ;   in Loop: Header=BB11_1219 Depth=1
                                        ; implicit-def: $vgpr16_vgpr17
                                        ; implicit-def: $sgpr21
	s_branch .LBB11_1249
.LBB11_1247:                            ;   in Loop: Header=BB11_1219 Depth=1
	v_mov_b32_e32 v16, 0
	v_mov_b32_e32 v17, 0
.LBB11_1248:                            ;   in Loop: Header=BB11_1219 Depth=1
	s_mov_b32 s21, 0
	s_cbranch_execnz .LBB11_1250
.LBB11_1249:                            ;   in Loop: Header=BB11_1219 Depth=1
	global_load_dwordx2 v[16:17], v28, s[4:5]
	s_add_i32 s21, s20, -8
	s_add_u32 s4, s4, 8
	s_addc_u32 s5, s5, 0
.LBB11_1250:                            ;   in Loop: Header=BB11_1219 Depth=1
	s_cmp_gt_u32 s21, 7
	s_cbranch_scc1 .LBB11_1254
; %bb.1251:                             ;   in Loop: Header=BB11_1219 Depth=1
	s_cmp_eq_u32 s21, 0
	s_cbranch_scc1 .LBB11_1255
; %bb.1252:                             ;   in Loop: Header=BB11_1219 Depth=1
	v_mov_b32_e32 v18, 0
	s_mov_b64 s[16:17], 0
	v_mov_b32_e32 v19, 0
	s_mov_b64 s[18:19], 0
.LBB11_1253:                            ;   Parent Loop BB11_1219 Depth=1
                                        ; =>  This Inner Loop Header: Depth=2
	s_add_u32 s22, s4, s18
	s_addc_u32 s23, s5, s19
	global_load_ubyte v4, v28, s[22:23]
	s_add_u32 s18, s18, 1
	s_addc_u32 s19, s19, 0
	s_waitcnt vmcnt(0)
	v_and_b32_e32 v27, 0xffff, v4
	v_lshlrev_b64 v[4:5], s16, v[27:28]
	s_add_u32 s16, s16, 8
	s_addc_u32 s17, s17, 0
	v_or_b32_e32 v18, v4, v18
	s_cmp_lg_u32 s21, s18
	v_or_b32_e32 v19, v5, v19
	s_cbranch_scc1 .LBB11_1253
	s_branch .LBB11_1256
.LBB11_1254:                            ;   in Loop: Header=BB11_1219 Depth=1
                                        ; implicit-def: $sgpr20
	s_branch .LBB11_1257
.LBB11_1255:                            ;   in Loop: Header=BB11_1219 Depth=1
	v_mov_b32_e32 v18, 0
	v_mov_b32_e32 v19, 0
.LBB11_1256:                            ;   in Loop: Header=BB11_1219 Depth=1
	s_mov_b32 s20, 0
	s_cbranch_execnz .LBB11_1258
.LBB11_1257:                            ;   in Loop: Header=BB11_1219 Depth=1
	global_load_dwordx2 v[18:19], v28, s[4:5]
	s_add_i32 s20, s21, -8
	s_add_u32 s4, s4, 8
	s_addc_u32 s5, s5, 0
.LBB11_1258:                            ;   in Loop: Header=BB11_1219 Depth=1
	s_cmp_gt_u32 s20, 7
	s_cbranch_scc1 .LBB11_1262
; %bb.1259:                             ;   in Loop: Header=BB11_1219 Depth=1
	s_cmp_eq_u32 s20, 0
	s_cbranch_scc1 .LBB11_1263
; %bb.1260:                             ;   in Loop: Header=BB11_1219 Depth=1
	v_mov_b32_e32 v20, 0
	s_mov_b64 s[16:17], 0
	v_mov_b32_e32 v21, 0
	s_mov_b64 s[18:19], 0
.LBB11_1261:                            ;   Parent Loop BB11_1219 Depth=1
                                        ; =>  This Inner Loop Header: Depth=2
	s_add_u32 s22, s4, s18
	s_addc_u32 s23, s5, s19
	global_load_ubyte v4, v28, s[22:23]
	s_add_u32 s18, s18, 1
	s_addc_u32 s19, s19, 0
	s_waitcnt vmcnt(0)
	v_and_b32_e32 v27, 0xffff, v4
	v_lshlrev_b64 v[4:5], s16, v[27:28]
	s_add_u32 s16, s16, 8
	s_addc_u32 s17, s17, 0
	v_or_b32_e32 v20, v4, v20
	s_cmp_lg_u32 s20, s18
	v_or_b32_e32 v21, v5, v21
	s_cbranch_scc1 .LBB11_1261
	s_branch .LBB11_1264
.LBB11_1262:                            ;   in Loop: Header=BB11_1219 Depth=1
                                        ; implicit-def: $vgpr20_vgpr21
                                        ; implicit-def: $sgpr21
	s_branch .LBB11_1265
.LBB11_1263:                            ;   in Loop: Header=BB11_1219 Depth=1
	v_mov_b32_e32 v20, 0
	v_mov_b32_e32 v21, 0
.LBB11_1264:                            ;   in Loop: Header=BB11_1219 Depth=1
	s_mov_b32 s21, 0
	s_cbranch_execnz .LBB11_1266
.LBB11_1265:                            ;   in Loop: Header=BB11_1219 Depth=1
	global_load_dwordx2 v[20:21], v28, s[4:5]
	s_add_i32 s21, s20, -8
	s_add_u32 s4, s4, 8
	s_addc_u32 s5, s5, 0
.LBB11_1266:                            ;   in Loop: Header=BB11_1219 Depth=1
	s_cmp_gt_u32 s21, 7
	s_cbranch_scc1 .LBB11_1270
; %bb.1267:                             ;   in Loop: Header=BB11_1219 Depth=1
	s_cmp_eq_u32 s21, 0
	s_cbranch_scc1 .LBB11_1271
; %bb.1268:                             ;   in Loop: Header=BB11_1219 Depth=1
	v_mov_b32_e32 v22, 0
	s_mov_b64 s[16:17], 0
	v_mov_b32_e32 v23, 0
	s_mov_b64 s[18:19], s[4:5]
.LBB11_1269:                            ;   Parent Loop BB11_1219 Depth=1
                                        ; =>  This Inner Loop Header: Depth=2
	global_load_ubyte v4, v28, s[18:19]
	s_add_i32 s21, s21, -1
	s_waitcnt vmcnt(0)
	v_and_b32_e32 v27, 0xffff, v4
	v_lshlrev_b64 v[4:5], s16, v[27:28]
	s_add_u32 s16, s16, 8
	s_addc_u32 s17, s17, 0
	s_add_u32 s18, s18, 1
	s_addc_u32 s19, s19, 0
	v_or_b32_e32 v22, v4, v22
	s_cmp_lg_u32 s21, 0
	v_or_b32_e32 v23, v5, v23
	s_cbranch_scc1 .LBB11_1269
	s_branch .LBB11_1272
.LBB11_1270:                            ;   in Loop: Header=BB11_1219 Depth=1
	s_branch .LBB11_1273
.LBB11_1271:                            ;   in Loop: Header=BB11_1219 Depth=1
	v_mov_b32_e32 v22, 0
	v_mov_b32_e32 v23, 0
.LBB11_1272:                            ;   in Loop: Header=BB11_1219 Depth=1
	s_cbranch_execnz .LBB11_1274
.LBB11_1273:                            ;   in Loop: Header=BB11_1219 Depth=1
	global_load_dwordx2 v[22:23], v28, s[4:5]
.LBB11_1274:                            ;   in Loop: Header=BB11_1219 Depth=1
	v_readfirstlane_b32 s4, v32
	s_waitcnt vmcnt(0)
	v_mov_b32_e32 v4, 0
	v_mov_b32_e32 v5, 0
	v_cmp_eq_u32_e64 s[4:5], s4, v32
	s_and_saveexec_b64 s[16:17], s[4:5]
	s_cbranch_execz .LBB11_1280
; %bb.1275:                             ;   in Loop: Header=BB11_1219 Depth=1
	global_load_dwordx2 v[26:27], v28, s[6:7] offset:24 glc
	s_waitcnt vmcnt(0)
	buffer_wbinvl1_vol
	global_load_dwordx2 v[4:5], v28, s[6:7] offset:40
	global_load_dwordx2 v[8:9], v28, s[6:7]
	s_waitcnt vmcnt(1)
	v_and_b32_e32 v4, v4, v26
	v_and_b32_e32 v5, v5, v27
	v_mul_lo_u32 v5, v5, 24
	v_mul_hi_u32 v24, v4, 24
	v_mul_lo_u32 v4, v4, 24
	v_add_u32_e32 v5, v24, v5
	s_waitcnt vmcnt(0)
	v_add_co_u32_e32 v4, vcc, v8, v4
	v_addc_co_u32_e32 v5, vcc, v9, v5, vcc
	global_load_dwordx2 v[24:25], v[4:5], off glc
	s_waitcnt vmcnt(0)
	global_atomic_cmpswap_x2 v[4:5], v28, v[24:27], s[6:7] offset:24 glc
	s_waitcnt vmcnt(0)
	buffer_wbinvl1_vol
	v_cmp_ne_u64_e32 vcc, v[4:5], v[26:27]
	s_and_saveexec_b64 s[18:19], vcc
	s_cbranch_execz .LBB11_1279
; %bb.1276:                             ;   in Loop: Header=BB11_1219 Depth=1
	s_mov_b64 s[20:21], 0
.LBB11_1277:                            ;   Parent Loop BB11_1219 Depth=1
                                        ; =>  This Inner Loop Header: Depth=2
	s_sleep 1
	global_load_dwordx2 v[8:9], v28, s[6:7] offset:40
	global_load_dwordx2 v[24:25], v28, s[6:7]
	v_mov_b32_e32 v27, v5
	v_mov_b32_e32 v26, v4
	s_waitcnt vmcnt(1)
	v_and_b32_e32 v4, v8, v26
	s_waitcnt vmcnt(0)
	v_mad_u64_u32 v[4:5], s[22:23], v4, 24, v[24:25]
	v_and_b32_e32 v8, v9, v27
	v_mad_u64_u32 v[8:9], s[22:23], v8, 24, v[5:6]
	v_mov_b32_e32 v5, v8
	global_load_dwordx2 v[24:25], v[4:5], off glc
	s_waitcnt vmcnt(0)
	global_atomic_cmpswap_x2 v[4:5], v28, v[24:27], s[6:7] offset:24 glc
	s_waitcnt vmcnt(0)
	buffer_wbinvl1_vol
	v_cmp_eq_u64_e32 vcc, v[4:5], v[26:27]
	s_or_b64 s[20:21], vcc, s[20:21]
	s_andn2_b64 exec, exec, s[20:21]
	s_cbranch_execnz .LBB11_1277
; %bb.1278:                             ;   in Loop: Header=BB11_1219 Depth=1
	s_or_b64 exec, exec, s[20:21]
.LBB11_1279:                            ;   in Loop: Header=BB11_1219 Depth=1
	s_or_b64 exec, exec, s[18:19]
.LBB11_1280:                            ;   in Loop: Header=BB11_1219 Depth=1
	s_or_b64 exec, exec, s[16:17]
	global_load_dwordx2 v[8:9], v28, s[6:7] offset:40
	global_load_dwordx4 v[24:27], v28, s[6:7]
	v_readfirstlane_b32 s16, v4
	v_readfirstlane_b32 s17, v5
	s_mov_b64 s[18:19], exec
	s_waitcnt vmcnt(1)
	v_readfirstlane_b32 s20, v8
	v_readfirstlane_b32 s21, v9
	s_and_b64 s[20:21], s[16:17], s[20:21]
	s_mul_i32 s22, s21, 24
	s_mul_hi_u32 s23, s20, 24
	s_mul_i32 s24, s20, 24
	s_add_i32 s22, s23, s22
	v_mov_b32_e32 v4, s22
	s_waitcnt vmcnt(0)
	v_add_co_u32_e32 v29, vcc, s24, v24
	v_addc_co_u32_e32 v30, vcc, v25, v4, vcc
	s_and_saveexec_b64 s[22:23], s[4:5]
	s_cbranch_execz .LBB11_1282
; %bb.1281:                             ;   in Loop: Header=BB11_1219 Depth=1
	v_mov_b32_e32 v4, s18
	v_mov_b32_e32 v5, s19
	global_store_dwordx4 v[29:30], v[4:7], off offset:8
.LBB11_1282:                            ;   in Loop: Header=BB11_1219 Depth=1
	s_or_b64 exec, exec, s[22:23]
	s_lshl_b64 s[18:19], s[20:21], 12
	v_mov_b32_e32 v4, s19
	v_add_co_u32_e32 v26, vcc, s18, v26
	v_addc_co_u32_e32 v34, vcc, v27, v4, vcc
	v_cmp_gt_u64_e64 vcc, s[12:13], 56
	v_or_b32_e32 v5, v2, v33
	s_lshl_b32 s18, s14, 2
	v_cndmask_b32_e32 v2, v5, v2, vcc
	s_add_i32 s18, s18, 28
	v_or_b32_e32 v4, 0, v3
	s_and_b32 s18, s18, 0x1e0
	v_and_b32_e32 v2, 0xffffff1f, v2
	v_cndmask_b32_e32 v9, v4, v3, vcc
	v_or_b32_e32 v8, s18, v2
	v_readfirstlane_b32 s18, v26
	v_readfirstlane_b32 s19, v34
	s_nop 4
	global_store_dwordx4 v31, v[8:11], s[18:19]
	global_store_dwordx4 v31, v[12:15], s[18:19] offset:16
	global_store_dwordx4 v31, v[16:19], s[18:19] offset:32
	;; [unrolled: 1-line block ×3, first 2 shown]
	s_and_saveexec_b64 s[18:19], s[4:5]
	s_cbranch_execz .LBB11_1290
; %bb.1283:                             ;   in Loop: Header=BB11_1219 Depth=1
	global_load_dwordx2 v[12:13], v28, s[6:7] offset:32 glc
	global_load_dwordx2 v[2:3], v28, s[6:7] offset:40
	v_mov_b32_e32 v10, s16
	v_mov_b32_e32 v11, s17
	s_waitcnt vmcnt(0)
	v_readfirstlane_b32 s20, v2
	v_readfirstlane_b32 s21, v3
	s_and_b64 s[20:21], s[20:21], s[16:17]
	s_mul_i32 s21, s21, 24
	s_mul_hi_u32 s22, s20, 24
	s_mul_i32 s20, s20, 24
	s_add_i32 s21, s22, s21
	v_mov_b32_e32 v2, s21
	v_add_co_u32_e32 v8, vcc, s20, v24
	v_addc_co_u32_e32 v9, vcc, v25, v2, vcc
	global_store_dwordx2 v[8:9], v[12:13], off
	s_waitcnt vmcnt(0)
	global_atomic_cmpswap_x2 v[4:5], v28, v[10:13], s[6:7] offset:32 glc
	s_waitcnt vmcnt(0)
	v_cmp_ne_u64_e32 vcc, v[4:5], v[12:13]
	s_and_saveexec_b64 s[20:21], vcc
	s_cbranch_execz .LBB11_1286
; %bb.1284:                             ;   in Loop: Header=BB11_1219 Depth=1
	s_mov_b64 s[22:23], 0
.LBB11_1285:                            ;   Parent Loop BB11_1219 Depth=1
                                        ; =>  This Inner Loop Header: Depth=2
	s_sleep 1
	global_store_dwordx2 v[8:9], v[4:5], off
	v_mov_b32_e32 v2, s16
	v_mov_b32_e32 v3, s17
	s_waitcnt vmcnt(0)
	global_atomic_cmpswap_x2 v[2:3], v28, v[2:5], s[6:7] offset:32 glc
	s_waitcnt vmcnt(0)
	v_cmp_eq_u64_e32 vcc, v[2:3], v[4:5]
	v_mov_b32_e32 v5, v3
	s_or_b64 s[22:23], vcc, s[22:23]
	v_mov_b32_e32 v4, v2
	s_andn2_b64 exec, exec, s[22:23]
	s_cbranch_execnz .LBB11_1285
.LBB11_1286:                            ;   in Loop: Header=BB11_1219 Depth=1
	s_or_b64 exec, exec, s[20:21]
	global_load_dwordx2 v[2:3], v28, s[6:7] offset:16
	s_mov_b64 s[22:23], exec
	v_mbcnt_lo_u32_b32 v4, s22, 0
	v_mbcnt_hi_u32_b32 v4, s23, v4
	v_cmp_eq_u32_e32 vcc, 0, v4
	s_and_saveexec_b64 s[20:21], vcc
	s_cbranch_execz .LBB11_1288
; %bb.1287:                             ;   in Loop: Header=BB11_1219 Depth=1
	s_bcnt1_i32_b64 s22, s[22:23]
	v_mov_b32_e32 v27, s22
	s_waitcnt vmcnt(0)
	global_atomic_add_x2 v[2:3], v[27:28], off offset:8
.LBB11_1288:                            ;   in Loop: Header=BB11_1219 Depth=1
	s_or_b64 exec, exec, s[20:21]
	s_waitcnt vmcnt(0)
	global_load_dwordx2 v[4:5], v[2:3], off offset:16
	s_waitcnt vmcnt(0)
	v_cmp_eq_u64_e32 vcc, 0, v[4:5]
	s_cbranch_vccnz .LBB11_1290
; %bb.1289:                             ;   in Loop: Header=BB11_1219 Depth=1
	global_load_dword v27, v[2:3], off offset:24
	s_waitcnt vmcnt(0)
	v_and_b32_e32 v2, 0xffffff, v27
	v_readfirstlane_b32 m0, v2
	global_store_dwordx2 v[4:5], v[27:28], off
	s_sendmsg sendmsg(MSG_INTERRUPT)
.LBB11_1290:                            ;   in Loop: Header=BB11_1219 Depth=1
	s_or_b64 exec, exec, s[18:19]
	v_add_co_u32_e32 v2, vcc, v26, v31
	v_addc_co_u32_e32 v3, vcc, 0, v34, vcc
	s_branch .LBB11_1294
.LBB11_1291:                            ;   in Loop: Header=BB11_1294 Depth=2
	s_or_b64 exec, exec, s[18:19]
	v_readfirstlane_b32 s18, v4
	s_cmp_eq_u32 s18, 0
	s_cbranch_scc1 .LBB11_1293
; %bb.1292:                             ;   in Loop: Header=BB11_1294 Depth=2
	s_sleep 1
	s_cbranch_execnz .LBB11_1294
	s_branch .LBB11_1296
.LBB11_1293:                            ;   in Loop: Header=BB11_1219 Depth=1
	s_branch .LBB11_1296
.LBB11_1294:                            ;   Parent Loop BB11_1219 Depth=1
                                        ; =>  This Inner Loop Header: Depth=2
	v_mov_b32_e32 v4, 1
	s_and_saveexec_b64 s[18:19], s[4:5]
	s_cbranch_execz .LBB11_1291
; %bb.1295:                             ;   in Loop: Header=BB11_1294 Depth=2
	global_load_dword v4, v[29:30], off offset:20 glc
	s_waitcnt vmcnt(0)
	buffer_wbinvl1_vol
	v_and_b32_e32 v4, 1, v4
	s_branch .LBB11_1291
.LBB11_1296:                            ;   in Loop: Header=BB11_1219 Depth=1
	global_load_dwordx4 v[2:5], v[2:3], off
	s_and_saveexec_b64 s[18:19], s[4:5]
	s_cbranch_execz .LBB11_1218
; %bb.1297:                             ;   in Loop: Header=BB11_1219 Depth=1
	global_load_dwordx2 v[4:5], v28, s[6:7] offset:40
	global_load_dwordx2 v[12:13], v28, s[6:7] offset:24 glc
	global_load_dwordx2 v[14:15], v28, s[6:7]
	v_mov_b32_e32 v9, s17
	s_waitcnt vmcnt(2)
	v_add_co_u32_e32 v10, vcc, 1, v4
	v_addc_co_u32_e32 v11, vcc, 0, v5, vcc
	v_add_co_u32_e32 v8, vcc, s16, v10
	v_addc_co_u32_e32 v9, vcc, v11, v9, vcc
	v_cmp_eq_u64_e32 vcc, 0, v[8:9]
	v_cndmask_b32_e32 v9, v9, v11, vcc
	v_cndmask_b32_e32 v8, v8, v10, vcc
	v_and_b32_e32 v5, v9, v5
	v_and_b32_e32 v4, v8, v4
	v_mul_lo_u32 v5, v5, 24
	v_mul_hi_u32 v11, v4, 24
	v_mul_lo_u32 v4, v4, 24
	s_waitcnt vmcnt(1)
	v_mov_b32_e32 v10, v12
	v_add_u32_e32 v5, v11, v5
	s_waitcnt vmcnt(0)
	v_add_co_u32_e32 v4, vcc, v14, v4
	v_addc_co_u32_e32 v5, vcc, v15, v5, vcc
	global_store_dwordx2 v[4:5], v[12:13], off
	v_mov_b32_e32 v11, v13
	s_waitcnt vmcnt(0)
	global_atomic_cmpswap_x2 v[10:11], v28, v[8:11], s[6:7] offset:24 glc
	s_waitcnt vmcnt(0)
	v_cmp_ne_u64_e32 vcc, v[10:11], v[12:13]
	s_and_b64 exec, exec, vcc
	s_cbranch_execz .LBB11_1218
; %bb.1298:                             ;   in Loop: Header=BB11_1219 Depth=1
	s_mov_b64 s[4:5], 0
.LBB11_1299:                            ;   Parent Loop BB11_1219 Depth=1
                                        ; =>  This Inner Loop Header: Depth=2
	s_sleep 1
	global_store_dwordx2 v[4:5], v[10:11], off
	s_waitcnt vmcnt(0)
	global_atomic_cmpswap_x2 v[12:13], v28, v[8:11], s[6:7] offset:24 glc
	s_waitcnt vmcnt(0)
	v_cmp_eq_u64_e32 vcc, v[12:13], v[10:11]
	v_mov_b32_e32 v10, v12
	s_or_b64 s[4:5], vcc, s[4:5]
	v_mov_b32_e32 v11, v13
	s_andn2_b64 exec, exec, s[4:5]
	s_cbranch_execnz .LBB11_1299
	s_branch .LBB11_1218
.LBB11_1300:
	s_mov_b64 s[4:5], 0
	s_branch .LBB11_1302
.LBB11_1301:
	s_mov_b64 s[4:5], -1
                                        ; implicit-def: $vgpr2_vgpr3
.LBB11_1302:
	s_and_b64 vcc, exec, s[4:5]
	s_cbranch_vccz .LBB11_1329
; %bb.1303:
	v_readfirstlane_b32 s4, v32
	v_mov_b32_e32 v8, 0
	v_mov_b32_e32 v9, 0
	v_cmp_eq_u32_e64 s[4:5], s4, v32
	s_and_saveexec_b64 s[10:11], s[4:5]
	s_cbranch_execz .LBB11_1309
; %bb.1304:
	s_waitcnt vmcnt(0)
	v_mov_b32_e32 v2, 0
	global_load_dwordx2 v[5:6], v2, s[6:7] offset:24 glc
	s_waitcnt vmcnt(0)
	buffer_wbinvl1_vol
	global_load_dwordx2 v[3:4], v2, s[6:7] offset:40
	global_load_dwordx2 v[7:8], v2, s[6:7]
	s_waitcnt vmcnt(1)
	v_and_b32_e32 v3, v3, v5
	v_and_b32_e32 v4, v4, v6
	v_mul_lo_u32 v4, v4, 24
	v_mul_hi_u32 v9, v3, 24
	v_mul_lo_u32 v3, v3, 24
	v_add_u32_e32 v4, v9, v4
	s_waitcnt vmcnt(0)
	v_add_co_u32_e32 v3, vcc, v7, v3
	v_addc_co_u32_e32 v4, vcc, v8, v4, vcc
	global_load_dwordx2 v[3:4], v[3:4], off glc
	s_waitcnt vmcnt(0)
	global_atomic_cmpswap_x2 v[8:9], v2, v[3:6], s[6:7] offset:24 glc
	s_waitcnt vmcnt(0)
	buffer_wbinvl1_vol
	v_cmp_ne_u64_e32 vcc, v[8:9], v[5:6]
	s_and_saveexec_b64 s[12:13], vcc
	s_cbranch_execz .LBB11_1308
; %bb.1305:
	s_mov_b64 s[14:15], 0
.LBB11_1306:                            ; =>This Inner Loop Header: Depth=1
	s_sleep 1
	global_load_dwordx2 v[3:4], v2, s[6:7] offset:40
	global_load_dwordx2 v[10:11], v2, s[6:7]
	v_mov_b32_e32 v5, v8
	v_mov_b32_e32 v6, v9
	s_waitcnt vmcnt(1)
	v_and_b32_e32 v3, v3, v5
	s_waitcnt vmcnt(0)
	v_mad_u64_u32 v[7:8], s[16:17], v3, 24, v[10:11]
	v_and_b32_e32 v4, v4, v6
	v_mov_b32_e32 v3, v8
	v_mad_u64_u32 v[3:4], s[16:17], v4, 24, v[3:4]
	v_mov_b32_e32 v8, v3
	global_load_dwordx2 v[3:4], v[7:8], off glc
	s_waitcnt vmcnt(0)
	global_atomic_cmpswap_x2 v[8:9], v2, v[3:6], s[6:7] offset:24 glc
	s_waitcnt vmcnt(0)
	buffer_wbinvl1_vol
	v_cmp_eq_u64_e32 vcc, v[8:9], v[5:6]
	s_or_b64 s[14:15], vcc, s[14:15]
	s_andn2_b64 exec, exec, s[14:15]
	s_cbranch_execnz .LBB11_1306
; %bb.1307:
	s_or_b64 exec, exec, s[14:15]
.LBB11_1308:
	s_or_b64 exec, exec, s[12:13]
.LBB11_1309:
	s_or_b64 exec, exec, s[10:11]
	s_waitcnt vmcnt(0)
	v_mov_b32_e32 v2, 0
	global_load_dwordx2 v[10:11], v2, s[6:7] offset:40
	global_load_dwordx4 v[4:7], v2, s[6:7]
	v_readfirstlane_b32 s10, v8
	v_readfirstlane_b32 s11, v9
	s_mov_b64 s[12:13], exec
	s_waitcnt vmcnt(1)
	v_readfirstlane_b32 s14, v10
	v_readfirstlane_b32 s15, v11
	s_and_b64 s[14:15], s[10:11], s[14:15]
	s_mul_i32 s16, s15, 24
	s_mul_hi_u32 s17, s14, 24
	s_mul_i32 s18, s14, 24
	s_add_i32 s16, s17, s16
	v_mov_b32_e32 v3, s16
	s_waitcnt vmcnt(0)
	v_add_co_u32_e32 v8, vcc, s18, v4
	v_addc_co_u32_e32 v9, vcc, v5, v3, vcc
	s_and_saveexec_b64 s[16:17], s[4:5]
	s_cbranch_execz .LBB11_1311
; %bb.1310:
	v_mov_b32_e32 v10, s12
	v_mov_b32_e32 v11, s13
	;; [unrolled: 1-line block ×4, first 2 shown]
	global_store_dwordx4 v[8:9], v[10:13], off offset:8
.LBB11_1311:
	s_or_b64 exec, exec, s[16:17]
	s_lshl_b64 s[12:13], s[14:15], 12
	v_mov_b32_e32 v3, s13
	v_add_co_u32_e32 v10, vcc, s12, v6
	v_addc_co_u32_e32 v11, vcc, v7, v3, vcc
	s_movk_i32 s12, 0xff1f
	v_and_or_b32 v0, v0, s12, 32
	s_mov_b32 s12, 0
	v_mov_b32_e32 v3, v2
	v_readfirstlane_b32 s16, v10
	v_readfirstlane_b32 s17, v11
	v_add_co_u32_e32 v6, vcc, v10, v31
	s_mov_b32 s13, s12
	s_mov_b32 s14, s12
	;; [unrolled: 1-line block ×3, first 2 shown]
	s_nop 0
	global_store_dwordx4 v31, v[0:3], s[16:17]
	v_addc_co_u32_e32 v7, vcc, 0, v11, vcc
	v_mov_b32_e32 v0, s12
	v_mov_b32_e32 v1, s13
	;; [unrolled: 1-line block ×4, first 2 shown]
	global_store_dwordx4 v31, v[0:3], s[16:17] offset:16
	global_store_dwordx4 v31, v[0:3], s[16:17] offset:32
	;; [unrolled: 1-line block ×3, first 2 shown]
	s_and_saveexec_b64 s[12:13], s[4:5]
	s_cbranch_execz .LBB11_1319
; %bb.1312:
	v_mov_b32_e32 v10, 0
	global_load_dwordx2 v[13:14], v10, s[6:7] offset:32 glc
	global_load_dwordx2 v[0:1], v10, s[6:7] offset:40
	v_mov_b32_e32 v11, s10
	v_mov_b32_e32 v12, s11
	s_waitcnt vmcnt(0)
	v_readfirstlane_b32 s14, v0
	v_readfirstlane_b32 s15, v1
	s_and_b64 s[14:15], s[14:15], s[10:11]
	s_mul_i32 s15, s15, 24
	s_mul_hi_u32 s16, s14, 24
	s_mul_i32 s14, s14, 24
	s_add_i32 s15, s16, s15
	v_mov_b32_e32 v0, s15
	v_add_co_u32_e32 v4, vcc, s14, v4
	v_addc_co_u32_e32 v5, vcc, v5, v0, vcc
	global_store_dwordx2 v[4:5], v[13:14], off
	s_waitcnt vmcnt(0)
	global_atomic_cmpswap_x2 v[2:3], v10, v[11:14], s[6:7] offset:32 glc
	s_waitcnt vmcnt(0)
	v_cmp_ne_u64_e32 vcc, v[2:3], v[13:14]
	s_and_saveexec_b64 s[14:15], vcc
	s_cbranch_execz .LBB11_1315
; %bb.1313:
	s_mov_b64 s[16:17], 0
.LBB11_1314:                            ; =>This Inner Loop Header: Depth=1
	s_sleep 1
	global_store_dwordx2 v[4:5], v[2:3], off
	v_mov_b32_e32 v0, s10
	v_mov_b32_e32 v1, s11
	s_waitcnt vmcnt(0)
	global_atomic_cmpswap_x2 v[0:1], v10, v[0:3], s[6:7] offset:32 glc
	s_waitcnt vmcnt(0)
	v_cmp_eq_u64_e32 vcc, v[0:1], v[2:3]
	v_mov_b32_e32 v3, v1
	s_or_b64 s[16:17], vcc, s[16:17]
	v_mov_b32_e32 v2, v0
	s_andn2_b64 exec, exec, s[16:17]
	s_cbranch_execnz .LBB11_1314
.LBB11_1315:
	s_or_b64 exec, exec, s[14:15]
	v_mov_b32_e32 v3, 0
	global_load_dwordx2 v[0:1], v3, s[6:7] offset:16
	s_mov_b64 s[14:15], exec
	v_mbcnt_lo_u32_b32 v2, s14, 0
	v_mbcnt_hi_u32_b32 v2, s15, v2
	v_cmp_eq_u32_e32 vcc, 0, v2
	s_and_saveexec_b64 s[16:17], vcc
	s_cbranch_execz .LBB11_1317
; %bb.1316:
	s_bcnt1_i32_b64 s14, s[14:15]
	v_mov_b32_e32 v2, s14
	s_waitcnt vmcnt(0)
	global_atomic_add_x2 v[0:1], v[2:3], off offset:8
.LBB11_1317:
	s_or_b64 exec, exec, s[16:17]
	s_waitcnt vmcnt(0)
	global_load_dwordx2 v[2:3], v[0:1], off offset:16
	s_waitcnt vmcnt(0)
	v_cmp_eq_u64_e32 vcc, 0, v[2:3]
	s_cbranch_vccnz .LBB11_1319
; %bb.1318:
	global_load_dword v0, v[0:1], off offset:24
	v_mov_b32_e32 v1, 0
	s_waitcnt vmcnt(0)
	global_store_dwordx2 v[2:3], v[0:1], off
	v_and_b32_e32 v0, 0xffffff, v0
	v_readfirstlane_b32 m0, v0
	s_sendmsg sendmsg(MSG_INTERRUPT)
.LBB11_1319:
	s_or_b64 exec, exec, s[12:13]
	s_branch .LBB11_1323
.LBB11_1320:                            ;   in Loop: Header=BB11_1323 Depth=1
	s_or_b64 exec, exec, s[12:13]
	v_readfirstlane_b32 s12, v0
	s_cmp_eq_u32 s12, 0
	s_cbranch_scc1 .LBB11_1322
; %bb.1321:                             ;   in Loop: Header=BB11_1323 Depth=1
	s_sleep 1
	s_cbranch_execnz .LBB11_1323
	s_branch .LBB11_1325
.LBB11_1322:
	s_branch .LBB11_1325
.LBB11_1323:                            ; =>This Inner Loop Header: Depth=1
	v_mov_b32_e32 v0, 1
	s_and_saveexec_b64 s[12:13], s[4:5]
	s_cbranch_execz .LBB11_1320
; %bb.1324:                             ;   in Loop: Header=BB11_1323 Depth=1
	global_load_dword v0, v[8:9], off offset:20 glc
	s_waitcnt vmcnt(0)
	buffer_wbinvl1_vol
	v_and_b32_e32 v0, 1, v0
	s_branch .LBB11_1320
.LBB11_1325:
	global_load_dwordx2 v[2:3], v[6:7], off
	s_and_saveexec_b64 s[12:13], s[4:5]
	s_cbranch_execz .LBB11_1328
; %bb.1326:
	v_mov_b32_e32 v8, 0
	global_load_dwordx2 v[0:1], v8, s[6:7] offset:40
	global_load_dwordx2 v[9:10], v8, s[6:7] offset:24 glc
	global_load_dwordx2 v[11:12], v8, s[6:7]
	v_mov_b32_e32 v5, s11
	s_mov_b64 s[4:5], 0
	s_waitcnt vmcnt(2)
	v_add_co_u32_e32 v6, vcc, 1, v0
	v_addc_co_u32_e32 v7, vcc, 0, v1, vcc
	v_add_co_u32_e32 v4, vcc, s10, v6
	v_addc_co_u32_e32 v5, vcc, v7, v5, vcc
	v_cmp_eq_u64_e32 vcc, 0, v[4:5]
	v_cndmask_b32_e32 v5, v5, v7, vcc
	v_cndmask_b32_e32 v4, v4, v6, vcc
	v_and_b32_e32 v1, v5, v1
	v_and_b32_e32 v0, v4, v0
	v_mul_lo_u32 v1, v1, 24
	v_mul_hi_u32 v7, v0, 24
	v_mul_lo_u32 v0, v0, 24
	s_waitcnt vmcnt(1)
	v_mov_b32_e32 v6, v9
	v_add_u32_e32 v1, v7, v1
	s_waitcnt vmcnt(0)
	v_add_co_u32_e32 v0, vcc, v11, v0
	v_addc_co_u32_e32 v1, vcc, v12, v1, vcc
	global_store_dwordx2 v[0:1], v[9:10], off
	v_mov_b32_e32 v7, v10
	s_waitcnt vmcnt(0)
	global_atomic_cmpswap_x2 v[6:7], v8, v[4:7], s[6:7] offset:24 glc
	s_waitcnt vmcnt(0)
	v_cmp_ne_u64_e32 vcc, v[6:7], v[9:10]
	s_and_b64 exec, exec, vcc
	s_cbranch_execz .LBB11_1328
.LBB11_1327:                            ; =>This Inner Loop Header: Depth=1
	s_sleep 1
	global_store_dwordx2 v[0:1], v[6:7], off
	s_waitcnt vmcnt(0)
	global_atomic_cmpswap_x2 v[9:10], v8, v[4:7], s[6:7] offset:24 glc
	s_waitcnt vmcnt(0)
	v_cmp_eq_u64_e32 vcc, v[9:10], v[6:7]
	v_mov_b32_e32 v6, v9
	s_or_b64 s[4:5], vcc, s[4:5]
	v_mov_b32_e32 v7, v10
	s_andn2_b64 exec, exec, s[4:5]
	s_cbranch_execnz .LBB11_1327
.LBB11_1328:
	s_or_b64 exec, exec, s[12:13]
.LBB11_1329:
	v_readfirstlane_b32 s4, v32
	s_waitcnt vmcnt(0)
	v_mov_b32_e32 v0, 0
	v_mov_b32_e32 v1, 0
	v_cmp_eq_u32_e64 s[4:5], s4, v32
	s_and_saveexec_b64 s[10:11], s[4:5]
	s_cbranch_execz .LBB11_1335
; %bb.1330:
	v_mov_b32_e32 v4, 0
	global_load_dwordx2 v[7:8], v4, s[6:7] offset:24 glc
	s_waitcnt vmcnt(0)
	buffer_wbinvl1_vol
	global_load_dwordx2 v[0:1], v4, s[6:7] offset:40
	global_load_dwordx2 v[5:6], v4, s[6:7]
	s_waitcnt vmcnt(1)
	v_and_b32_e32 v0, v0, v7
	v_and_b32_e32 v1, v1, v8
	v_mul_lo_u32 v1, v1, 24
	v_mul_hi_u32 v9, v0, 24
	v_mul_lo_u32 v0, v0, 24
	v_add_u32_e32 v1, v9, v1
	s_waitcnt vmcnt(0)
	v_add_co_u32_e32 v0, vcc, v5, v0
	v_addc_co_u32_e32 v1, vcc, v6, v1, vcc
	global_load_dwordx2 v[5:6], v[0:1], off glc
	s_waitcnt vmcnt(0)
	global_atomic_cmpswap_x2 v[0:1], v4, v[5:8], s[6:7] offset:24 glc
	s_waitcnt vmcnt(0)
	buffer_wbinvl1_vol
	v_cmp_ne_u64_e32 vcc, v[0:1], v[7:8]
	s_and_saveexec_b64 s[12:13], vcc
	s_cbranch_execz .LBB11_1334
; %bb.1331:
	s_mov_b64 s[14:15], 0
.LBB11_1332:                            ; =>This Inner Loop Header: Depth=1
	s_sleep 1
	global_load_dwordx2 v[5:6], v4, s[6:7] offset:40
	global_load_dwordx2 v[9:10], v4, s[6:7]
	v_mov_b32_e32 v8, v1
	v_mov_b32_e32 v7, v0
	s_waitcnt vmcnt(1)
	v_and_b32_e32 v0, v5, v7
	s_waitcnt vmcnt(0)
	v_mad_u64_u32 v[0:1], s[16:17], v0, 24, v[9:10]
	v_and_b32_e32 v5, v6, v8
	v_mad_u64_u32 v[5:6], s[16:17], v5, 24, v[1:2]
	v_mov_b32_e32 v1, v5
	global_load_dwordx2 v[5:6], v[0:1], off glc
	s_waitcnt vmcnt(0)
	global_atomic_cmpswap_x2 v[0:1], v4, v[5:8], s[6:7] offset:24 glc
	s_waitcnt vmcnt(0)
	buffer_wbinvl1_vol
	v_cmp_eq_u64_e32 vcc, v[0:1], v[7:8]
	s_or_b64 s[14:15], vcc, s[14:15]
	s_andn2_b64 exec, exec, s[14:15]
	s_cbranch_execnz .LBB11_1332
; %bb.1333:
	s_or_b64 exec, exec, s[14:15]
.LBB11_1334:
	s_or_b64 exec, exec, s[12:13]
.LBB11_1335:
	s_or_b64 exec, exec, s[10:11]
	v_mov_b32_e32 v5, 0
	global_load_dwordx2 v[10:11], v5, s[6:7] offset:40
	global_load_dwordx4 v[6:9], v5, s[6:7]
	v_readfirstlane_b32 s10, v0
	v_readfirstlane_b32 s11, v1
	s_mov_b64 s[12:13], exec
	s_waitcnt vmcnt(1)
	v_readfirstlane_b32 s14, v10
	v_readfirstlane_b32 s15, v11
	s_and_b64 s[14:15], s[10:11], s[14:15]
	s_mul_i32 s16, s15, 24
	s_mul_hi_u32 s17, s14, 24
	s_mul_i32 s18, s14, 24
	s_add_i32 s16, s17, s16
	v_mov_b32_e32 v0, s16
	s_waitcnt vmcnt(0)
	v_add_co_u32_e32 v10, vcc, s18, v6
	v_addc_co_u32_e32 v11, vcc, v7, v0, vcc
	s_and_saveexec_b64 s[16:17], s[4:5]
	s_cbranch_execz .LBB11_1337
; %bb.1336:
	v_mov_b32_e32 v12, s12
	v_mov_b32_e32 v13, s13
	;; [unrolled: 1-line block ×4, first 2 shown]
	global_store_dwordx4 v[10:11], v[12:15], off offset:8
.LBB11_1337:
	s_or_b64 exec, exec, s[16:17]
	s_lshl_b64 s[12:13], s[14:15], 12
	v_mov_b32_e32 v0, s13
	v_add_co_u32_e32 v1, vcc, s12, v8
	v_addc_co_u32_e32 v0, vcc, v9, v0, vcc
	s_movk_i32 s12, 0xff1d
	v_and_or_b32 v2, v2, s12, 34
	s_mov_b32 s12, 0
	v_mov_b32_e32 v4, 10
	v_readfirstlane_b32 s16, v1
	v_readfirstlane_b32 s17, v0
	s_mov_b32 s13, s12
	s_mov_b32 s14, s12
	;; [unrolled: 1-line block ×3, first 2 shown]
	s_nop 1
	global_store_dwordx4 v31, v[2:5], s[16:17]
	v_mov_b32_e32 v0, s12
	v_mov_b32_e32 v1, s13
	;; [unrolled: 1-line block ×4, first 2 shown]
	global_store_dwordx4 v31, v[0:3], s[16:17] offset:16
	global_store_dwordx4 v31, v[0:3], s[16:17] offset:32
	;; [unrolled: 1-line block ×3, first 2 shown]
	s_and_saveexec_b64 s[12:13], s[4:5]
	s_cbranch_execz .LBB11_1345
; %bb.1338:
	v_mov_b32_e32 v8, 0
	global_load_dwordx2 v[14:15], v8, s[6:7] offset:32 glc
	global_load_dwordx2 v[0:1], v8, s[6:7] offset:40
	v_mov_b32_e32 v12, s10
	v_mov_b32_e32 v13, s11
	s_waitcnt vmcnt(0)
	v_readfirstlane_b32 s14, v0
	v_readfirstlane_b32 s15, v1
	s_and_b64 s[14:15], s[14:15], s[10:11]
	s_mul_i32 s15, s15, 24
	s_mul_hi_u32 s16, s14, 24
	s_mul_i32 s14, s14, 24
	s_add_i32 s15, s16, s15
	v_mov_b32_e32 v0, s15
	v_add_co_u32_e32 v4, vcc, s14, v6
	v_addc_co_u32_e32 v5, vcc, v7, v0, vcc
	global_store_dwordx2 v[4:5], v[14:15], off
	s_waitcnt vmcnt(0)
	global_atomic_cmpswap_x2 v[2:3], v8, v[12:15], s[6:7] offset:32 glc
	s_waitcnt vmcnt(0)
	v_cmp_ne_u64_e32 vcc, v[2:3], v[14:15]
	s_and_saveexec_b64 s[14:15], vcc
	s_cbranch_execz .LBB11_1341
; %bb.1339:
	s_mov_b64 s[16:17], 0
.LBB11_1340:                            ; =>This Inner Loop Header: Depth=1
	s_sleep 1
	global_store_dwordx2 v[4:5], v[2:3], off
	v_mov_b32_e32 v0, s10
	v_mov_b32_e32 v1, s11
	s_waitcnt vmcnt(0)
	global_atomic_cmpswap_x2 v[0:1], v8, v[0:3], s[6:7] offset:32 glc
	s_waitcnt vmcnt(0)
	v_cmp_eq_u64_e32 vcc, v[0:1], v[2:3]
	v_mov_b32_e32 v3, v1
	s_or_b64 s[16:17], vcc, s[16:17]
	v_mov_b32_e32 v2, v0
	s_andn2_b64 exec, exec, s[16:17]
	s_cbranch_execnz .LBB11_1340
.LBB11_1341:
	s_or_b64 exec, exec, s[14:15]
	v_mov_b32_e32 v3, 0
	global_load_dwordx2 v[0:1], v3, s[6:7] offset:16
	s_mov_b64 s[14:15], exec
	v_mbcnt_lo_u32_b32 v2, s14, 0
	v_mbcnt_hi_u32_b32 v2, s15, v2
	v_cmp_eq_u32_e32 vcc, 0, v2
	s_and_saveexec_b64 s[16:17], vcc
	s_cbranch_execz .LBB11_1343
; %bb.1342:
	s_bcnt1_i32_b64 s14, s[14:15]
	v_mov_b32_e32 v2, s14
	s_waitcnt vmcnt(0)
	global_atomic_add_x2 v[0:1], v[2:3], off offset:8
.LBB11_1343:
	s_or_b64 exec, exec, s[16:17]
	s_waitcnt vmcnt(0)
	global_load_dwordx2 v[2:3], v[0:1], off offset:16
	s_waitcnt vmcnt(0)
	v_cmp_eq_u64_e32 vcc, 0, v[2:3]
	s_cbranch_vccnz .LBB11_1345
; %bb.1344:
	global_load_dword v0, v[0:1], off offset:24
	v_mov_b32_e32 v1, 0
	s_waitcnt vmcnt(0)
	global_store_dwordx2 v[2:3], v[0:1], off
	v_and_b32_e32 v0, 0xffffff, v0
	v_readfirstlane_b32 m0, v0
	s_sendmsg sendmsg(MSG_INTERRUPT)
.LBB11_1345:
	s_or_b64 exec, exec, s[12:13]
	s_branch .LBB11_1349
.LBB11_1346:                            ;   in Loop: Header=BB11_1349 Depth=1
	s_or_b64 exec, exec, s[12:13]
	v_readfirstlane_b32 s12, v0
	s_cmp_eq_u32 s12, 0
	s_cbranch_scc1 .LBB11_1348
; %bb.1347:                             ;   in Loop: Header=BB11_1349 Depth=1
	s_sleep 1
	s_cbranch_execnz .LBB11_1349
	s_branch .LBB11_1351
.LBB11_1348:
	s_branch .LBB11_1351
.LBB11_1349:                            ; =>This Inner Loop Header: Depth=1
	v_mov_b32_e32 v0, 1
	s_and_saveexec_b64 s[12:13], s[4:5]
	s_cbranch_execz .LBB11_1346
; %bb.1350:                             ;   in Loop: Header=BB11_1349 Depth=1
	global_load_dword v0, v[10:11], off offset:20 glc
	s_waitcnt vmcnt(0)
	buffer_wbinvl1_vol
	v_and_b32_e32 v0, 1, v0
	s_branch .LBB11_1346
.LBB11_1351:
	s_and_saveexec_b64 s[12:13], s[4:5]
	s_cbranch_execz .LBB11_1354
; %bb.1352:
	v_mov_b32_e32 v6, 0
	global_load_dwordx2 v[2:3], v6, s[6:7] offset:40
	global_load_dwordx2 v[7:8], v6, s[6:7] offset:24 glc
	global_load_dwordx2 v[4:5], v6, s[6:7]
	v_mov_b32_e32 v1, s11
	s_mov_b64 s[4:5], 0
	s_waitcnt vmcnt(2)
	v_add_co_u32_e32 v9, vcc, 1, v2
	v_addc_co_u32_e32 v10, vcc, 0, v3, vcc
	v_add_co_u32_e32 v0, vcc, s10, v9
	v_addc_co_u32_e32 v1, vcc, v10, v1, vcc
	v_cmp_eq_u64_e32 vcc, 0, v[0:1]
	v_cndmask_b32_e32 v1, v1, v10, vcc
	v_cndmask_b32_e32 v0, v0, v9, vcc
	v_and_b32_e32 v3, v1, v3
	v_and_b32_e32 v2, v0, v2
	v_mul_lo_u32 v3, v3, 24
	v_mul_hi_u32 v9, v2, 24
	v_mul_lo_u32 v10, v2, 24
	s_waitcnt vmcnt(1)
	v_mov_b32_e32 v2, v7
	v_add_u32_e32 v3, v9, v3
	s_waitcnt vmcnt(0)
	v_add_co_u32_e32 v4, vcc, v4, v10
	v_addc_co_u32_e32 v5, vcc, v5, v3, vcc
	global_store_dwordx2 v[4:5], v[7:8], off
	v_mov_b32_e32 v3, v8
	s_waitcnt vmcnt(0)
	global_atomic_cmpswap_x2 v[2:3], v6, v[0:3], s[6:7] offset:24 glc
	s_waitcnt vmcnt(0)
	v_cmp_ne_u64_e32 vcc, v[2:3], v[7:8]
	s_and_b64 exec, exec, vcc
	s_cbranch_execz .LBB11_1354
.LBB11_1353:                            ; =>This Inner Loop Header: Depth=1
	s_sleep 1
	global_store_dwordx2 v[4:5], v[2:3], off
	s_waitcnt vmcnt(0)
	global_atomic_cmpswap_x2 v[7:8], v6, v[0:3], s[6:7] offset:24 glc
	s_waitcnt vmcnt(0)
	v_cmp_eq_u64_e32 vcc, v[7:8], v[2:3]
	v_mov_b32_e32 v2, v7
	s_or_b64 s[4:5], vcc, s[4:5]
	v_mov_b32_e32 v3, v8
	s_andn2_b64 exec, exec, s[4:5]
	s_cbranch_execnz .LBB11_1353
.LBB11_1354:
	s_or_b64 exec, exec, s[12:13]
	v_readfirstlane_b32 s4, v32
	v_mov_b32_e32 v5, 0
	v_mov_b32_e32 v6, 0
	v_cmp_eq_u32_e64 s[4:5], s4, v32
	s_and_saveexec_b64 s[10:11], s[4:5]
	s_cbranch_execz .LBB11_1360
; %bb.1355:
	v_mov_b32_e32 v0, 0
	global_load_dwordx2 v[3:4], v0, s[6:7] offset:24 glc
	s_waitcnt vmcnt(0)
	buffer_wbinvl1_vol
	global_load_dwordx2 v[1:2], v0, s[6:7] offset:40
	global_load_dwordx2 v[5:6], v0, s[6:7]
	s_waitcnt vmcnt(1)
	v_and_b32_e32 v1, v1, v3
	v_and_b32_e32 v2, v2, v4
	v_mul_lo_u32 v2, v2, 24
	v_mul_hi_u32 v7, v1, 24
	v_mul_lo_u32 v1, v1, 24
	v_add_u32_e32 v2, v7, v2
	s_waitcnt vmcnt(0)
	v_add_co_u32_e32 v1, vcc, v5, v1
	v_addc_co_u32_e32 v2, vcc, v6, v2, vcc
	global_load_dwordx2 v[1:2], v[1:2], off glc
	s_waitcnt vmcnt(0)
	global_atomic_cmpswap_x2 v[5:6], v0, v[1:4], s[6:7] offset:24 glc
	s_waitcnt vmcnt(0)
	buffer_wbinvl1_vol
	v_cmp_ne_u64_e32 vcc, v[5:6], v[3:4]
	s_and_saveexec_b64 s[12:13], vcc
	s_cbranch_execz .LBB11_1359
; %bb.1356:
	s_mov_b64 s[14:15], 0
.LBB11_1357:                            ; =>This Inner Loop Header: Depth=1
	s_sleep 1
	global_load_dwordx2 v[1:2], v0, s[6:7] offset:40
	global_load_dwordx2 v[7:8], v0, s[6:7]
	v_mov_b32_e32 v3, v5
	v_mov_b32_e32 v4, v6
	s_waitcnt vmcnt(1)
	v_and_b32_e32 v1, v1, v3
	s_waitcnt vmcnt(0)
	v_mad_u64_u32 v[5:6], s[16:17], v1, 24, v[7:8]
	v_and_b32_e32 v2, v2, v4
	v_mov_b32_e32 v1, v6
	v_mad_u64_u32 v[1:2], s[16:17], v2, 24, v[1:2]
	v_mov_b32_e32 v6, v1
	global_load_dwordx2 v[1:2], v[5:6], off glc
	s_waitcnt vmcnt(0)
	global_atomic_cmpswap_x2 v[5:6], v0, v[1:4], s[6:7] offset:24 glc
	s_waitcnt vmcnt(0)
	buffer_wbinvl1_vol
	v_cmp_eq_u64_e32 vcc, v[5:6], v[3:4]
	s_or_b64 s[14:15], vcc, s[14:15]
	s_andn2_b64 exec, exec, s[14:15]
	s_cbranch_execnz .LBB11_1357
; %bb.1358:
	s_or_b64 exec, exec, s[14:15]
.LBB11_1359:
	s_or_b64 exec, exec, s[12:13]
.LBB11_1360:
	s_or_b64 exec, exec, s[10:11]
	v_mov_b32_e32 v4, 0
	global_load_dwordx2 v[7:8], v4, s[6:7] offset:40
	global_load_dwordx4 v[0:3], v4, s[6:7]
	v_readfirstlane_b32 s10, v5
	v_readfirstlane_b32 s11, v6
	s_mov_b64 s[12:13], exec
	s_waitcnt vmcnt(1)
	v_readfirstlane_b32 s14, v7
	v_readfirstlane_b32 s15, v8
	s_and_b64 s[14:15], s[10:11], s[14:15]
	s_mul_i32 s16, s15, 24
	s_mul_hi_u32 s17, s14, 24
	s_mul_i32 s18, s14, 24
	s_add_i32 s16, s17, s16
	v_mov_b32_e32 v5, s16
	s_waitcnt vmcnt(0)
	v_add_co_u32_e32 v7, vcc, s18, v0
	v_addc_co_u32_e32 v8, vcc, v1, v5, vcc
	s_and_saveexec_b64 s[16:17], s[4:5]
	s_cbranch_execz .LBB11_1362
; %bb.1361:
	v_mov_b32_e32 v9, s12
	v_mov_b32_e32 v10, s13
	;; [unrolled: 1-line block ×4, first 2 shown]
	global_store_dwordx4 v[7:8], v[9:12], off offset:8
.LBB11_1362:
	s_or_b64 exec, exec, s[16:17]
	s_lshl_b64 s[12:13], s[14:15], 12
	v_mov_b32_e32 v5, s13
	v_add_co_u32_e32 v2, vcc, s12, v2
	v_addc_co_u32_e32 v11, vcc, v3, v5, vcc
	s_mov_b32 s12, 0
	v_mov_b32_e32 v3, 33
	v_mov_b32_e32 v5, v4
	;; [unrolled: 1-line block ×3, first 2 shown]
	v_readfirstlane_b32 s16, v2
	v_readfirstlane_b32 s17, v11
	v_add_co_u32_e32 v9, vcc, v2, v31
	s_mov_b32 s13, s12
	s_mov_b32 s14, s12
	;; [unrolled: 1-line block ×3, first 2 shown]
	s_nop 0
	global_store_dwordx4 v31, v[3:6], s[16:17]
	v_mov_b32_e32 v2, s12
	v_addc_co_u32_e32 v10, vcc, 0, v11, vcc
	v_mov_b32_e32 v3, s13
	v_mov_b32_e32 v4, s14
	;; [unrolled: 1-line block ×3, first 2 shown]
	global_store_dwordx4 v31, v[2:5], s[16:17] offset:16
	global_store_dwordx4 v31, v[2:5], s[16:17] offset:32
	;; [unrolled: 1-line block ×3, first 2 shown]
	s_and_saveexec_b64 s[12:13], s[4:5]
	s_cbranch_execz .LBB11_1370
; %bb.1363:
	v_mov_b32_e32 v6, 0
	global_load_dwordx2 v[13:14], v6, s[6:7] offset:32 glc
	global_load_dwordx2 v[2:3], v6, s[6:7] offset:40
	v_mov_b32_e32 v11, s10
	v_mov_b32_e32 v12, s11
	s_waitcnt vmcnt(0)
	v_readfirstlane_b32 s14, v2
	v_readfirstlane_b32 s15, v3
	s_and_b64 s[14:15], s[14:15], s[10:11]
	s_mul_i32 s15, s15, 24
	s_mul_hi_u32 s16, s14, 24
	s_mul_i32 s14, s14, 24
	s_add_i32 s15, s16, s15
	v_mov_b32_e32 v2, s15
	v_add_co_u32_e32 v4, vcc, s14, v0
	v_addc_co_u32_e32 v5, vcc, v1, v2, vcc
	global_store_dwordx2 v[4:5], v[13:14], off
	s_waitcnt vmcnt(0)
	global_atomic_cmpswap_x2 v[2:3], v6, v[11:14], s[6:7] offset:32 glc
	s_waitcnt vmcnt(0)
	v_cmp_ne_u64_e32 vcc, v[2:3], v[13:14]
	s_and_saveexec_b64 s[14:15], vcc
	s_cbranch_execz .LBB11_1366
; %bb.1364:
	s_mov_b64 s[16:17], 0
.LBB11_1365:                            ; =>This Inner Loop Header: Depth=1
	s_sleep 1
	global_store_dwordx2 v[4:5], v[2:3], off
	v_mov_b32_e32 v0, s10
	v_mov_b32_e32 v1, s11
	s_waitcnt vmcnt(0)
	global_atomic_cmpswap_x2 v[0:1], v6, v[0:3], s[6:7] offset:32 glc
	s_waitcnt vmcnt(0)
	v_cmp_eq_u64_e32 vcc, v[0:1], v[2:3]
	v_mov_b32_e32 v3, v1
	s_or_b64 s[16:17], vcc, s[16:17]
	v_mov_b32_e32 v2, v0
	s_andn2_b64 exec, exec, s[16:17]
	s_cbranch_execnz .LBB11_1365
.LBB11_1366:
	s_or_b64 exec, exec, s[14:15]
	v_mov_b32_e32 v3, 0
	global_load_dwordx2 v[0:1], v3, s[6:7] offset:16
	s_mov_b64 s[14:15], exec
	v_mbcnt_lo_u32_b32 v2, s14, 0
	v_mbcnt_hi_u32_b32 v2, s15, v2
	v_cmp_eq_u32_e32 vcc, 0, v2
	s_and_saveexec_b64 s[16:17], vcc
	s_cbranch_execz .LBB11_1368
; %bb.1367:
	s_bcnt1_i32_b64 s14, s[14:15]
	v_mov_b32_e32 v2, s14
	s_waitcnt vmcnt(0)
	global_atomic_add_x2 v[0:1], v[2:3], off offset:8
.LBB11_1368:
	s_or_b64 exec, exec, s[16:17]
	s_waitcnt vmcnt(0)
	global_load_dwordx2 v[2:3], v[0:1], off offset:16
	s_waitcnt vmcnt(0)
	v_cmp_eq_u64_e32 vcc, 0, v[2:3]
	s_cbranch_vccnz .LBB11_1370
; %bb.1369:
	global_load_dword v0, v[0:1], off offset:24
	v_mov_b32_e32 v1, 0
	s_waitcnt vmcnt(0)
	global_store_dwordx2 v[2:3], v[0:1], off
	v_and_b32_e32 v0, 0xffffff, v0
	v_readfirstlane_b32 m0, v0
	s_sendmsg sendmsg(MSG_INTERRUPT)
.LBB11_1370:
	s_or_b64 exec, exec, s[12:13]
	s_branch .LBB11_1374
.LBB11_1371:                            ;   in Loop: Header=BB11_1374 Depth=1
	s_or_b64 exec, exec, s[12:13]
	v_readfirstlane_b32 s12, v0
	s_cmp_eq_u32 s12, 0
	s_cbranch_scc1 .LBB11_1373
; %bb.1372:                             ;   in Loop: Header=BB11_1374 Depth=1
	s_sleep 1
	s_cbranch_execnz .LBB11_1374
	s_branch .LBB11_1376
.LBB11_1373:
	s_branch .LBB11_1376
.LBB11_1374:                            ; =>This Inner Loop Header: Depth=1
	v_mov_b32_e32 v0, 1
	s_and_saveexec_b64 s[12:13], s[4:5]
	s_cbranch_execz .LBB11_1371
; %bb.1375:                             ;   in Loop: Header=BB11_1374 Depth=1
	global_load_dword v0, v[7:8], off offset:20 glc
	s_waitcnt vmcnt(0)
	buffer_wbinvl1_vol
	v_and_b32_e32 v0, 1, v0
	s_branch .LBB11_1371
.LBB11_1376:
	global_load_dwordx2 v[4:5], v[9:10], off
	s_and_saveexec_b64 s[12:13], s[4:5]
	s_cbranch_execz .LBB11_1379
; %bb.1377:
	v_mov_b32_e32 v8, 0
	global_load_dwordx2 v[2:3], v8, s[6:7] offset:40
	global_load_dwordx2 v[9:10], v8, s[6:7] offset:24 glc
	global_load_dwordx2 v[6:7], v8, s[6:7]
	v_mov_b32_e32 v1, s11
	s_mov_b64 s[4:5], 0
	s_waitcnt vmcnt(2)
	v_add_co_u32_e32 v11, vcc, 1, v2
	v_addc_co_u32_e32 v12, vcc, 0, v3, vcc
	v_add_co_u32_e32 v0, vcc, s10, v11
	v_addc_co_u32_e32 v1, vcc, v12, v1, vcc
	v_cmp_eq_u64_e32 vcc, 0, v[0:1]
	v_cndmask_b32_e32 v1, v1, v12, vcc
	v_cndmask_b32_e32 v0, v0, v11, vcc
	v_and_b32_e32 v3, v1, v3
	v_and_b32_e32 v2, v0, v2
	v_mul_lo_u32 v3, v3, 24
	v_mul_hi_u32 v11, v2, 24
	v_mul_lo_u32 v12, v2, 24
	s_waitcnt vmcnt(1)
	v_mov_b32_e32 v2, v9
	v_add_u32_e32 v3, v11, v3
	s_waitcnt vmcnt(0)
	v_add_co_u32_e32 v6, vcc, v6, v12
	v_addc_co_u32_e32 v7, vcc, v7, v3, vcc
	global_store_dwordx2 v[6:7], v[9:10], off
	v_mov_b32_e32 v3, v10
	s_waitcnt vmcnt(0)
	global_atomic_cmpswap_x2 v[2:3], v8, v[0:3], s[6:7] offset:24 glc
	s_waitcnt vmcnt(0)
	v_cmp_ne_u64_e32 vcc, v[2:3], v[9:10]
	s_and_b64 exec, exec, vcc
	s_cbranch_execz .LBB11_1379
.LBB11_1378:                            ; =>This Inner Loop Header: Depth=1
	s_sleep 1
	global_store_dwordx2 v[6:7], v[2:3], off
	s_waitcnt vmcnt(0)
	global_atomic_cmpswap_x2 v[9:10], v8, v[0:3], s[6:7] offset:24 glc
	s_waitcnt vmcnt(0)
	v_cmp_eq_u64_e32 vcc, v[9:10], v[2:3]
	v_mov_b32_e32 v2, v9
	s_or_b64 s[4:5], vcc, s[4:5]
	v_mov_b32_e32 v3, v10
	s_andn2_b64 exec, exec, s[4:5]
	s_cbranch_execnz .LBB11_1378
.LBB11_1379:
	s_or_b64 exec, exec, s[12:13]
	s_and_b64 vcc, exec, s[8:9]
	s_cbranch_vccz .LBB11_1464
; %bb.1380:
	s_waitcnt vmcnt(0)
	v_and_b32_e32 v29, 2, v4
	v_mov_b32_e32 v26, 0
	v_and_b32_e32 v0, -3, v4
	v_mov_b32_e32 v1, v5
	s_mov_b64 s[10:11], 3
	v_mov_b32_e32 v8, 2
	v_mov_b32_e32 v9, 1
	s_getpc_b64 s[8:9]
	s_add_u32 s8, s8, .str.5@rel32@lo+4
	s_addc_u32 s9, s9, .str.5@rel32@hi+12
	s_branch .LBB11_1382
.LBB11_1381:                            ;   in Loop: Header=BB11_1382 Depth=1
	s_or_b64 exec, exec, s[16:17]
	s_sub_u32 s10, s10, s12
	s_subb_u32 s11, s11, s13
	s_add_u32 s8, s8, s12
	s_addc_u32 s9, s9, s13
	s_cmp_lg_u64 s[10:11], 0
	s_cbranch_scc0 .LBB11_1463
.LBB11_1382:                            ; =>This Loop Header: Depth=1
                                        ;     Child Loop BB11_1385 Depth 2
                                        ;     Child Loop BB11_1392 Depth 2
	;; [unrolled: 1-line block ×11, first 2 shown]
	v_cmp_lt_u64_e64 s[4:5], s[10:11], 56
	v_cmp_gt_u64_e64 s[14:15], s[10:11], 7
	s_and_b64 s[4:5], s[4:5], exec
	s_cselect_b32 s13, s11, 0
	s_cselect_b32 s12, s10, 56
	s_and_b64 vcc, exec, s[14:15]
	s_cbranch_vccnz .LBB11_1387
; %bb.1383:                             ;   in Loop: Header=BB11_1382 Depth=1
	s_waitcnt vmcnt(0)
	v_mov_b32_e32 v2, 0
	s_cmp_eq_u64 s[10:11], 0
	v_mov_b32_e32 v3, 0
	s_mov_b64 s[4:5], 0
	s_cbranch_scc1 .LBB11_1386
; %bb.1384:                             ;   in Loop: Header=BB11_1382 Depth=1
	v_mov_b32_e32 v2, 0
	s_lshl_b64 s[14:15], s[12:13], 3
	s_mov_b64 s[16:17], 0
	v_mov_b32_e32 v3, 0
	s_mov_b64 s[18:19], s[8:9]
.LBB11_1385:                            ;   Parent Loop BB11_1382 Depth=1
                                        ; =>  This Inner Loop Header: Depth=2
	global_load_ubyte v6, v26, s[18:19]
	s_waitcnt vmcnt(0)
	v_and_b32_e32 v25, 0xffff, v6
	v_lshlrev_b64 v[6:7], s16, v[25:26]
	s_add_u32 s16, s16, 8
	s_addc_u32 s17, s17, 0
	s_add_u32 s18, s18, 1
	s_addc_u32 s19, s19, 0
	v_or_b32_e32 v2, v6, v2
	s_cmp_lg_u32 s14, s16
	v_or_b32_e32 v3, v7, v3
	s_cbranch_scc1 .LBB11_1385
.LBB11_1386:                            ;   in Loop: Header=BB11_1382 Depth=1
	s_mov_b32 s18, 0
	s_andn2_b64 vcc, exec, s[4:5]
	s_mov_b64 s[4:5], s[8:9]
	s_cbranch_vccz .LBB11_1388
	s_branch .LBB11_1389
.LBB11_1387:                            ;   in Loop: Header=BB11_1382 Depth=1
                                        ; implicit-def: $vgpr2_vgpr3
                                        ; implicit-def: $sgpr18
	s_mov_b64 s[4:5], s[8:9]
.LBB11_1388:                            ;   in Loop: Header=BB11_1382 Depth=1
	global_load_dwordx2 v[2:3], v26, s[8:9]
	s_add_i32 s18, s12, -8
	s_add_u32 s4, s8, 8
	s_addc_u32 s5, s9, 0
.LBB11_1389:                            ;   in Loop: Header=BB11_1382 Depth=1
	s_cmp_gt_u32 s18, 7
	s_cbranch_scc1 .LBB11_1393
; %bb.1390:                             ;   in Loop: Header=BB11_1382 Depth=1
	s_cmp_eq_u32 s18, 0
	s_cbranch_scc1 .LBB11_1394
; %bb.1391:                             ;   in Loop: Header=BB11_1382 Depth=1
	v_mov_b32_e32 v10, 0
	s_mov_b64 s[14:15], 0
	v_mov_b32_e32 v11, 0
	s_mov_b64 s[16:17], 0
.LBB11_1392:                            ;   Parent Loop BB11_1382 Depth=1
                                        ; =>  This Inner Loop Header: Depth=2
	s_add_u32 s20, s4, s16
	s_addc_u32 s21, s5, s17
	global_load_ubyte v6, v26, s[20:21]
	s_add_u32 s16, s16, 1
	s_addc_u32 s17, s17, 0
	s_waitcnt vmcnt(0)
	v_and_b32_e32 v25, 0xffff, v6
	v_lshlrev_b64 v[6:7], s14, v[25:26]
	s_add_u32 s14, s14, 8
	s_addc_u32 s15, s15, 0
	v_or_b32_e32 v10, v6, v10
	s_cmp_lg_u32 s18, s16
	v_or_b32_e32 v11, v7, v11
	s_cbranch_scc1 .LBB11_1392
	s_branch .LBB11_1395
.LBB11_1393:                            ;   in Loop: Header=BB11_1382 Depth=1
                                        ; implicit-def: $vgpr10_vgpr11
                                        ; implicit-def: $sgpr19
	s_branch .LBB11_1396
.LBB11_1394:                            ;   in Loop: Header=BB11_1382 Depth=1
	v_mov_b32_e32 v10, 0
	v_mov_b32_e32 v11, 0
.LBB11_1395:                            ;   in Loop: Header=BB11_1382 Depth=1
	s_mov_b32 s19, 0
	s_cbranch_execnz .LBB11_1397
.LBB11_1396:                            ;   in Loop: Header=BB11_1382 Depth=1
	global_load_dwordx2 v[10:11], v26, s[4:5]
	s_add_i32 s19, s18, -8
	s_add_u32 s4, s4, 8
	s_addc_u32 s5, s5, 0
.LBB11_1397:                            ;   in Loop: Header=BB11_1382 Depth=1
	s_cmp_gt_u32 s19, 7
	s_cbranch_scc1 .LBB11_1401
; %bb.1398:                             ;   in Loop: Header=BB11_1382 Depth=1
	s_cmp_eq_u32 s19, 0
	s_cbranch_scc1 .LBB11_1402
; %bb.1399:                             ;   in Loop: Header=BB11_1382 Depth=1
	v_mov_b32_e32 v12, 0
	s_mov_b64 s[14:15], 0
	v_mov_b32_e32 v13, 0
	s_mov_b64 s[16:17], 0
.LBB11_1400:                            ;   Parent Loop BB11_1382 Depth=1
                                        ; =>  This Inner Loop Header: Depth=2
	s_add_u32 s20, s4, s16
	s_addc_u32 s21, s5, s17
	global_load_ubyte v6, v26, s[20:21]
	s_add_u32 s16, s16, 1
	s_addc_u32 s17, s17, 0
	s_waitcnt vmcnt(0)
	v_and_b32_e32 v25, 0xffff, v6
	v_lshlrev_b64 v[6:7], s14, v[25:26]
	s_add_u32 s14, s14, 8
	s_addc_u32 s15, s15, 0
	v_or_b32_e32 v12, v6, v12
	s_cmp_lg_u32 s19, s16
	v_or_b32_e32 v13, v7, v13
	s_cbranch_scc1 .LBB11_1400
	s_branch .LBB11_1403
.LBB11_1401:                            ;   in Loop: Header=BB11_1382 Depth=1
                                        ; implicit-def: $sgpr18
	s_branch .LBB11_1404
.LBB11_1402:                            ;   in Loop: Header=BB11_1382 Depth=1
	v_mov_b32_e32 v12, 0
	v_mov_b32_e32 v13, 0
.LBB11_1403:                            ;   in Loop: Header=BB11_1382 Depth=1
	s_mov_b32 s18, 0
	s_cbranch_execnz .LBB11_1405
.LBB11_1404:                            ;   in Loop: Header=BB11_1382 Depth=1
	global_load_dwordx2 v[12:13], v26, s[4:5]
	s_add_i32 s18, s19, -8
	s_add_u32 s4, s4, 8
	s_addc_u32 s5, s5, 0
.LBB11_1405:                            ;   in Loop: Header=BB11_1382 Depth=1
	s_cmp_gt_u32 s18, 7
	s_cbranch_scc1 .LBB11_1409
; %bb.1406:                             ;   in Loop: Header=BB11_1382 Depth=1
	s_cmp_eq_u32 s18, 0
	s_cbranch_scc1 .LBB11_1410
; %bb.1407:                             ;   in Loop: Header=BB11_1382 Depth=1
	v_mov_b32_e32 v14, 0
	s_mov_b64 s[14:15], 0
	v_mov_b32_e32 v15, 0
	s_mov_b64 s[16:17], 0
.LBB11_1408:                            ;   Parent Loop BB11_1382 Depth=1
                                        ; =>  This Inner Loop Header: Depth=2
	s_add_u32 s20, s4, s16
	s_addc_u32 s21, s5, s17
	global_load_ubyte v6, v26, s[20:21]
	s_add_u32 s16, s16, 1
	s_addc_u32 s17, s17, 0
	s_waitcnt vmcnt(0)
	v_and_b32_e32 v25, 0xffff, v6
	v_lshlrev_b64 v[6:7], s14, v[25:26]
	s_add_u32 s14, s14, 8
	s_addc_u32 s15, s15, 0
	v_or_b32_e32 v14, v6, v14
	s_cmp_lg_u32 s18, s16
	v_or_b32_e32 v15, v7, v15
	s_cbranch_scc1 .LBB11_1408
	s_branch .LBB11_1411
.LBB11_1409:                            ;   in Loop: Header=BB11_1382 Depth=1
                                        ; implicit-def: $vgpr14_vgpr15
                                        ; implicit-def: $sgpr19
	s_branch .LBB11_1412
.LBB11_1410:                            ;   in Loop: Header=BB11_1382 Depth=1
	v_mov_b32_e32 v14, 0
	v_mov_b32_e32 v15, 0
.LBB11_1411:                            ;   in Loop: Header=BB11_1382 Depth=1
	s_mov_b32 s19, 0
	s_cbranch_execnz .LBB11_1413
.LBB11_1412:                            ;   in Loop: Header=BB11_1382 Depth=1
	global_load_dwordx2 v[14:15], v26, s[4:5]
	s_add_i32 s19, s18, -8
	s_add_u32 s4, s4, 8
	s_addc_u32 s5, s5, 0
.LBB11_1413:                            ;   in Loop: Header=BB11_1382 Depth=1
	s_cmp_gt_u32 s19, 7
	s_cbranch_scc1 .LBB11_1417
; %bb.1414:                             ;   in Loop: Header=BB11_1382 Depth=1
	s_cmp_eq_u32 s19, 0
	s_cbranch_scc1 .LBB11_1418
; %bb.1415:                             ;   in Loop: Header=BB11_1382 Depth=1
	v_mov_b32_e32 v16, 0
	s_mov_b64 s[14:15], 0
	v_mov_b32_e32 v17, 0
	s_mov_b64 s[16:17], 0
.LBB11_1416:                            ;   Parent Loop BB11_1382 Depth=1
                                        ; =>  This Inner Loop Header: Depth=2
	s_add_u32 s20, s4, s16
	s_addc_u32 s21, s5, s17
	global_load_ubyte v6, v26, s[20:21]
	s_add_u32 s16, s16, 1
	s_addc_u32 s17, s17, 0
	s_waitcnt vmcnt(0)
	v_and_b32_e32 v25, 0xffff, v6
	v_lshlrev_b64 v[6:7], s14, v[25:26]
	s_add_u32 s14, s14, 8
	s_addc_u32 s15, s15, 0
	v_or_b32_e32 v16, v6, v16
	s_cmp_lg_u32 s19, s16
	v_or_b32_e32 v17, v7, v17
	s_cbranch_scc1 .LBB11_1416
	s_branch .LBB11_1419
.LBB11_1417:                            ;   in Loop: Header=BB11_1382 Depth=1
                                        ; implicit-def: $sgpr18
	s_branch .LBB11_1420
.LBB11_1418:                            ;   in Loop: Header=BB11_1382 Depth=1
	v_mov_b32_e32 v16, 0
	v_mov_b32_e32 v17, 0
.LBB11_1419:                            ;   in Loop: Header=BB11_1382 Depth=1
	s_mov_b32 s18, 0
	s_cbranch_execnz .LBB11_1421
.LBB11_1420:                            ;   in Loop: Header=BB11_1382 Depth=1
	global_load_dwordx2 v[16:17], v26, s[4:5]
	s_add_i32 s18, s19, -8
	s_add_u32 s4, s4, 8
	s_addc_u32 s5, s5, 0
.LBB11_1421:                            ;   in Loop: Header=BB11_1382 Depth=1
	s_cmp_gt_u32 s18, 7
	s_cbranch_scc1 .LBB11_1425
; %bb.1422:                             ;   in Loop: Header=BB11_1382 Depth=1
	s_cmp_eq_u32 s18, 0
	s_cbranch_scc1 .LBB11_1426
; %bb.1423:                             ;   in Loop: Header=BB11_1382 Depth=1
	v_mov_b32_e32 v18, 0
	s_mov_b64 s[14:15], 0
	v_mov_b32_e32 v19, 0
	s_mov_b64 s[16:17], 0
.LBB11_1424:                            ;   Parent Loop BB11_1382 Depth=1
                                        ; =>  This Inner Loop Header: Depth=2
	s_add_u32 s20, s4, s16
	s_addc_u32 s21, s5, s17
	global_load_ubyte v6, v26, s[20:21]
	s_add_u32 s16, s16, 1
	s_addc_u32 s17, s17, 0
	s_waitcnt vmcnt(0)
	v_and_b32_e32 v25, 0xffff, v6
	v_lshlrev_b64 v[6:7], s14, v[25:26]
	s_add_u32 s14, s14, 8
	s_addc_u32 s15, s15, 0
	v_or_b32_e32 v18, v6, v18
	s_cmp_lg_u32 s18, s16
	v_or_b32_e32 v19, v7, v19
	s_cbranch_scc1 .LBB11_1424
	s_branch .LBB11_1427
.LBB11_1425:                            ;   in Loop: Header=BB11_1382 Depth=1
                                        ; implicit-def: $vgpr18_vgpr19
                                        ; implicit-def: $sgpr19
	s_branch .LBB11_1428
.LBB11_1426:                            ;   in Loop: Header=BB11_1382 Depth=1
	v_mov_b32_e32 v18, 0
	v_mov_b32_e32 v19, 0
.LBB11_1427:                            ;   in Loop: Header=BB11_1382 Depth=1
	s_mov_b32 s19, 0
	s_cbranch_execnz .LBB11_1429
.LBB11_1428:                            ;   in Loop: Header=BB11_1382 Depth=1
	global_load_dwordx2 v[18:19], v26, s[4:5]
	s_add_i32 s19, s18, -8
	s_add_u32 s4, s4, 8
	s_addc_u32 s5, s5, 0
.LBB11_1429:                            ;   in Loop: Header=BB11_1382 Depth=1
	s_cmp_gt_u32 s19, 7
	s_cbranch_scc1 .LBB11_1433
; %bb.1430:                             ;   in Loop: Header=BB11_1382 Depth=1
	s_cmp_eq_u32 s19, 0
	s_cbranch_scc1 .LBB11_1434
; %bb.1431:                             ;   in Loop: Header=BB11_1382 Depth=1
	v_mov_b32_e32 v20, 0
	s_mov_b64 s[14:15], 0
	v_mov_b32_e32 v21, 0
	s_mov_b64 s[16:17], s[4:5]
.LBB11_1432:                            ;   Parent Loop BB11_1382 Depth=1
                                        ; =>  This Inner Loop Header: Depth=2
	global_load_ubyte v6, v26, s[16:17]
	s_add_i32 s19, s19, -1
	s_waitcnt vmcnt(0)
	v_and_b32_e32 v25, 0xffff, v6
	v_lshlrev_b64 v[6:7], s14, v[25:26]
	s_add_u32 s14, s14, 8
	s_addc_u32 s15, s15, 0
	s_add_u32 s16, s16, 1
	s_addc_u32 s17, s17, 0
	v_or_b32_e32 v20, v6, v20
	s_cmp_lg_u32 s19, 0
	v_or_b32_e32 v21, v7, v21
	s_cbranch_scc1 .LBB11_1432
	s_branch .LBB11_1435
.LBB11_1433:                            ;   in Loop: Header=BB11_1382 Depth=1
	s_branch .LBB11_1436
.LBB11_1434:                            ;   in Loop: Header=BB11_1382 Depth=1
	v_mov_b32_e32 v20, 0
	v_mov_b32_e32 v21, 0
.LBB11_1435:                            ;   in Loop: Header=BB11_1382 Depth=1
	s_cbranch_execnz .LBB11_1437
.LBB11_1436:                            ;   in Loop: Header=BB11_1382 Depth=1
	global_load_dwordx2 v[20:21], v26, s[4:5]
.LBB11_1437:                            ;   in Loop: Header=BB11_1382 Depth=1
	v_readfirstlane_b32 s4, v32
	v_mov_b32_e32 v6, 0
	v_mov_b32_e32 v7, 0
	v_cmp_eq_u32_e64 s[4:5], s4, v32
	s_and_saveexec_b64 s[14:15], s[4:5]
	s_cbranch_execz .LBB11_1443
; %bb.1438:                             ;   in Loop: Header=BB11_1382 Depth=1
	global_load_dwordx2 v[24:25], v26, s[6:7] offset:24 glc
	s_waitcnt vmcnt(0)
	buffer_wbinvl1_vol
	global_load_dwordx2 v[6:7], v26, s[6:7] offset:40
	global_load_dwordx2 v[22:23], v26, s[6:7]
	s_waitcnt vmcnt(1)
	v_and_b32_e32 v6, v6, v24
	v_and_b32_e32 v7, v7, v25
	v_mul_lo_u32 v7, v7, 24
	v_mul_hi_u32 v27, v6, 24
	v_mul_lo_u32 v6, v6, 24
	v_add_u32_e32 v7, v27, v7
	s_waitcnt vmcnt(0)
	v_add_co_u32_e32 v6, vcc, v22, v6
	v_addc_co_u32_e32 v7, vcc, v23, v7, vcc
	global_load_dwordx2 v[22:23], v[6:7], off glc
	s_waitcnt vmcnt(0)
	global_atomic_cmpswap_x2 v[6:7], v26, v[22:25], s[6:7] offset:24 glc
	s_waitcnt vmcnt(0)
	buffer_wbinvl1_vol
	v_cmp_ne_u64_e32 vcc, v[6:7], v[24:25]
	s_and_saveexec_b64 s[16:17], vcc
	s_cbranch_execz .LBB11_1442
; %bb.1439:                             ;   in Loop: Header=BB11_1382 Depth=1
	s_mov_b64 s[18:19], 0
.LBB11_1440:                            ;   Parent Loop BB11_1382 Depth=1
                                        ; =>  This Inner Loop Header: Depth=2
	s_sleep 1
	global_load_dwordx2 v[22:23], v26, s[6:7] offset:40
	global_load_dwordx2 v[27:28], v26, s[6:7]
	v_mov_b32_e32 v25, v7
	v_mov_b32_e32 v24, v6
	s_waitcnt vmcnt(1)
	v_and_b32_e32 v6, v22, v24
	s_waitcnt vmcnt(0)
	v_mad_u64_u32 v[6:7], s[20:21], v6, 24, v[27:28]
	v_and_b32_e32 v22, v23, v25
	v_mad_u64_u32 v[22:23], s[20:21], v22, 24, v[7:8]
	v_mov_b32_e32 v7, v22
	global_load_dwordx2 v[22:23], v[6:7], off glc
	s_waitcnt vmcnt(0)
	global_atomic_cmpswap_x2 v[6:7], v26, v[22:25], s[6:7] offset:24 glc
	s_waitcnt vmcnt(0)
	buffer_wbinvl1_vol
	v_cmp_eq_u64_e32 vcc, v[6:7], v[24:25]
	s_or_b64 s[18:19], vcc, s[18:19]
	s_andn2_b64 exec, exec, s[18:19]
	s_cbranch_execnz .LBB11_1440
; %bb.1441:                             ;   in Loop: Header=BB11_1382 Depth=1
	s_or_b64 exec, exec, s[18:19]
.LBB11_1442:                            ;   in Loop: Header=BB11_1382 Depth=1
	s_or_b64 exec, exec, s[16:17]
.LBB11_1443:                            ;   in Loop: Header=BB11_1382 Depth=1
	s_or_b64 exec, exec, s[14:15]
	global_load_dwordx2 v[27:28], v26, s[6:7] offset:40
	global_load_dwordx4 v[22:25], v26, s[6:7]
	v_readfirstlane_b32 s14, v6
	v_readfirstlane_b32 s15, v7
	s_mov_b64 s[16:17], exec
	s_waitcnt vmcnt(1)
	v_readfirstlane_b32 s18, v27
	v_readfirstlane_b32 s19, v28
	s_and_b64 s[18:19], s[14:15], s[18:19]
	s_mul_i32 s20, s19, 24
	s_mul_hi_u32 s21, s18, 24
	s_mul_i32 s22, s18, 24
	s_add_i32 s20, s21, s20
	v_mov_b32_e32 v6, s20
	s_waitcnt vmcnt(0)
	v_add_co_u32_e32 v27, vcc, s22, v22
	v_addc_co_u32_e32 v28, vcc, v23, v6, vcc
	s_and_saveexec_b64 s[20:21], s[4:5]
	s_cbranch_execz .LBB11_1445
; %bb.1444:                             ;   in Loop: Header=BB11_1382 Depth=1
	v_mov_b32_e32 v6, s16
	v_mov_b32_e32 v7, s17
	global_store_dwordx4 v[27:28], v[6:9], off offset:8
.LBB11_1445:                            ;   in Loop: Header=BB11_1382 Depth=1
	s_or_b64 exec, exec, s[20:21]
	s_lshl_b64 s[16:17], s[18:19], 12
	v_mov_b32_e32 v6, s17
	v_add_co_u32_e32 v24, vcc, s16, v24
	v_addc_co_u32_e32 v30, vcc, v25, v6, vcc
	v_cmp_gt_u64_e64 vcc, s[10:11], 56
	v_or_b32_e32 v7, v0, v29
	s_lshl_b32 s16, s12, 2
	v_cndmask_b32_e32 v0, v7, v0, vcc
	s_add_i32 s16, s16, 28
	v_or_b32_e32 v6, 0, v1
	s_and_b32 s16, s16, 0x1e0
	v_and_b32_e32 v0, 0xffffff1f, v0
	v_cndmask_b32_e32 v1, v6, v1, vcc
	v_or_b32_e32 v0, s16, v0
	v_readfirstlane_b32 s16, v24
	v_readfirstlane_b32 s17, v30
	s_nop 4
	global_store_dwordx4 v31, v[0:3], s[16:17]
	global_store_dwordx4 v31, v[10:13], s[16:17] offset:16
	global_store_dwordx4 v31, v[14:17], s[16:17] offset:32
	;; [unrolled: 1-line block ×3, first 2 shown]
	s_and_saveexec_b64 s[16:17], s[4:5]
	s_cbranch_execz .LBB11_1453
; %bb.1446:                             ;   in Loop: Header=BB11_1382 Depth=1
	global_load_dwordx2 v[12:13], v26, s[6:7] offset:32 glc
	global_load_dwordx2 v[0:1], v26, s[6:7] offset:40
	v_mov_b32_e32 v10, s14
	v_mov_b32_e32 v11, s15
	s_waitcnt vmcnt(0)
	v_readfirstlane_b32 s18, v0
	v_readfirstlane_b32 s19, v1
	s_and_b64 s[18:19], s[18:19], s[14:15]
	s_mul_i32 s19, s19, 24
	s_mul_hi_u32 s20, s18, 24
	s_mul_i32 s18, s18, 24
	s_add_i32 s19, s20, s19
	v_mov_b32_e32 v0, s19
	v_add_co_u32_e32 v6, vcc, s18, v22
	v_addc_co_u32_e32 v7, vcc, v23, v0, vcc
	global_store_dwordx2 v[6:7], v[12:13], off
	s_waitcnt vmcnt(0)
	global_atomic_cmpswap_x2 v[2:3], v26, v[10:13], s[6:7] offset:32 glc
	s_waitcnt vmcnt(0)
	v_cmp_ne_u64_e32 vcc, v[2:3], v[12:13]
	s_and_saveexec_b64 s[18:19], vcc
	s_cbranch_execz .LBB11_1449
; %bb.1447:                             ;   in Loop: Header=BB11_1382 Depth=1
	s_mov_b64 s[20:21], 0
.LBB11_1448:                            ;   Parent Loop BB11_1382 Depth=1
                                        ; =>  This Inner Loop Header: Depth=2
	s_sleep 1
	global_store_dwordx2 v[6:7], v[2:3], off
	v_mov_b32_e32 v0, s14
	v_mov_b32_e32 v1, s15
	s_waitcnt vmcnt(0)
	global_atomic_cmpswap_x2 v[0:1], v26, v[0:3], s[6:7] offset:32 glc
	s_waitcnt vmcnt(0)
	v_cmp_eq_u64_e32 vcc, v[0:1], v[2:3]
	v_mov_b32_e32 v3, v1
	s_or_b64 s[20:21], vcc, s[20:21]
	v_mov_b32_e32 v2, v0
	s_andn2_b64 exec, exec, s[20:21]
	s_cbranch_execnz .LBB11_1448
.LBB11_1449:                            ;   in Loop: Header=BB11_1382 Depth=1
	s_or_b64 exec, exec, s[18:19]
	global_load_dwordx2 v[0:1], v26, s[6:7] offset:16
	s_mov_b64 s[20:21], exec
	v_mbcnt_lo_u32_b32 v2, s20, 0
	v_mbcnt_hi_u32_b32 v2, s21, v2
	v_cmp_eq_u32_e32 vcc, 0, v2
	s_and_saveexec_b64 s[18:19], vcc
	s_cbranch_execz .LBB11_1451
; %bb.1450:                             ;   in Loop: Header=BB11_1382 Depth=1
	s_bcnt1_i32_b64 s20, s[20:21]
	v_mov_b32_e32 v25, s20
	s_waitcnt vmcnt(0)
	global_atomic_add_x2 v[0:1], v[25:26], off offset:8
.LBB11_1451:                            ;   in Loop: Header=BB11_1382 Depth=1
	s_or_b64 exec, exec, s[18:19]
	s_waitcnt vmcnt(0)
	global_load_dwordx2 v[2:3], v[0:1], off offset:16
	s_waitcnt vmcnt(0)
	v_cmp_eq_u64_e32 vcc, 0, v[2:3]
	s_cbranch_vccnz .LBB11_1453
; %bb.1452:                             ;   in Loop: Header=BB11_1382 Depth=1
	global_load_dword v25, v[0:1], off offset:24
	s_waitcnt vmcnt(0)
	v_and_b32_e32 v0, 0xffffff, v25
	v_readfirstlane_b32 m0, v0
	global_store_dwordx2 v[2:3], v[25:26], off
	s_sendmsg sendmsg(MSG_INTERRUPT)
.LBB11_1453:                            ;   in Loop: Header=BB11_1382 Depth=1
	s_or_b64 exec, exec, s[16:17]
	v_add_co_u32_e32 v0, vcc, v24, v31
	v_addc_co_u32_e32 v1, vcc, 0, v30, vcc
	s_branch .LBB11_1457
.LBB11_1454:                            ;   in Loop: Header=BB11_1457 Depth=2
	s_or_b64 exec, exec, s[16:17]
	v_readfirstlane_b32 s16, v2
	s_cmp_eq_u32 s16, 0
	s_cbranch_scc1 .LBB11_1456
; %bb.1455:                             ;   in Loop: Header=BB11_1457 Depth=2
	s_sleep 1
	s_cbranch_execnz .LBB11_1457
	s_branch .LBB11_1459
.LBB11_1456:                            ;   in Loop: Header=BB11_1382 Depth=1
	s_branch .LBB11_1459
.LBB11_1457:                            ;   Parent Loop BB11_1382 Depth=1
                                        ; =>  This Inner Loop Header: Depth=2
	v_mov_b32_e32 v2, 1
	s_and_saveexec_b64 s[16:17], s[4:5]
	s_cbranch_execz .LBB11_1454
; %bb.1458:                             ;   in Loop: Header=BB11_1457 Depth=2
	global_load_dword v2, v[27:28], off offset:20 glc
	s_waitcnt vmcnt(0)
	buffer_wbinvl1_vol
	v_and_b32_e32 v2, 1, v2
	s_branch .LBB11_1454
.LBB11_1459:                            ;   in Loop: Header=BB11_1382 Depth=1
	global_load_dwordx4 v[0:3], v[0:1], off
	s_and_saveexec_b64 s[16:17], s[4:5]
	s_cbranch_execz .LBB11_1381
; %bb.1460:                             ;   in Loop: Header=BB11_1382 Depth=1
	global_load_dwordx2 v[2:3], v26, s[6:7] offset:40
	global_load_dwordx2 v[6:7], v26, s[6:7] offset:24 glc
	global_load_dwordx2 v[13:14], v26, s[6:7]
	v_mov_b32_e32 v11, s15
	s_waitcnt vmcnt(2)
	v_add_co_u32_e32 v12, vcc, 1, v2
	v_addc_co_u32_e32 v15, vcc, 0, v3, vcc
	v_add_co_u32_e32 v10, vcc, s14, v12
	v_addc_co_u32_e32 v11, vcc, v15, v11, vcc
	v_cmp_eq_u64_e32 vcc, 0, v[10:11]
	v_cndmask_b32_e32 v11, v11, v15, vcc
	v_cndmask_b32_e32 v10, v10, v12, vcc
	v_and_b32_e32 v3, v11, v3
	v_and_b32_e32 v2, v10, v2
	v_mul_lo_u32 v3, v3, 24
	v_mul_hi_u32 v15, v2, 24
	v_mul_lo_u32 v2, v2, 24
	s_waitcnt vmcnt(1)
	v_mov_b32_e32 v12, v6
	v_add_u32_e32 v3, v15, v3
	s_waitcnt vmcnt(0)
	v_add_co_u32_e32 v2, vcc, v13, v2
	v_addc_co_u32_e32 v3, vcc, v14, v3, vcc
	global_store_dwordx2 v[2:3], v[6:7], off
	v_mov_b32_e32 v13, v7
	s_waitcnt vmcnt(0)
	global_atomic_cmpswap_x2 v[12:13], v26, v[10:13], s[6:7] offset:24 glc
	s_waitcnt vmcnt(0)
	v_cmp_ne_u64_e32 vcc, v[12:13], v[6:7]
	s_and_b64 exec, exec, vcc
	s_cbranch_execz .LBB11_1381
; %bb.1461:                             ;   in Loop: Header=BB11_1382 Depth=1
	s_mov_b64 s[4:5], 0
.LBB11_1462:                            ;   Parent Loop BB11_1382 Depth=1
                                        ; =>  This Inner Loop Header: Depth=2
	s_sleep 1
	global_store_dwordx2 v[2:3], v[12:13], off
	s_waitcnt vmcnt(0)
	global_atomic_cmpswap_x2 v[6:7], v26, v[10:13], s[6:7] offset:24 glc
	s_waitcnt vmcnt(0)
	v_cmp_eq_u64_e32 vcc, v[6:7], v[12:13]
	v_mov_b32_e32 v13, v7
	s_or_b64 s[4:5], vcc, s[4:5]
	v_mov_b32_e32 v12, v6
	s_andn2_b64 exec, exec, s[4:5]
	s_cbranch_execnz .LBB11_1462
	s_branch .LBB11_1381
.LBB11_1463:
	s_mov_b64 s[4:5], 0
	s_branch .LBB11_1465
.LBB11_1464:
	s_mov_b64 s[4:5], -1
                                        ; implicit-def: $vgpr0_vgpr1
.LBB11_1465:
	s_and_b64 vcc, exec, s[4:5]
	s_cbranch_vccz .LBB11_1492
; %bb.1466:
	v_readfirstlane_b32 s4, v32
	v_mov_b32_e32 v7, 0
	v_mov_b32_e32 v8, 0
	v_cmp_eq_u32_e64 s[4:5], s4, v32
	s_and_saveexec_b64 s[8:9], s[4:5]
	s_cbranch_execz .LBB11_1472
; %bb.1467:
	s_waitcnt vmcnt(0)
	v_mov_b32_e32 v0, 0
	global_load_dwordx2 v[9:10], v0, s[6:7] offset:24 glc
	s_waitcnt vmcnt(0)
	buffer_wbinvl1_vol
	global_load_dwordx2 v[1:2], v0, s[6:7] offset:40
	global_load_dwordx2 v[6:7], v0, s[6:7]
	s_waitcnt vmcnt(1)
	v_and_b32_e32 v1, v1, v9
	v_and_b32_e32 v2, v2, v10
	v_mul_lo_u32 v2, v2, 24
	v_mul_hi_u32 v3, v1, 24
	v_mul_lo_u32 v1, v1, 24
	v_add_u32_e32 v2, v3, v2
	s_waitcnt vmcnt(0)
	v_add_co_u32_e32 v1, vcc, v6, v1
	v_addc_co_u32_e32 v2, vcc, v7, v2, vcc
	global_load_dwordx2 v[7:8], v[1:2], off glc
	s_waitcnt vmcnt(0)
	global_atomic_cmpswap_x2 v[7:8], v0, v[7:10], s[6:7] offset:24 glc
	s_waitcnt vmcnt(0)
	buffer_wbinvl1_vol
	v_cmp_ne_u64_e32 vcc, v[7:8], v[9:10]
	s_and_saveexec_b64 s[10:11], vcc
	s_cbranch_execz .LBB11_1471
; %bb.1468:
	s_mov_b64 s[12:13], 0
.LBB11_1469:                            ; =>This Inner Loop Header: Depth=1
	s_sleep 1
	global_load_dwordx2 v[1:2], v0, s[6:7] offset:40
	global_load_dwordx2 v[11:12], v0, s[6:7]
	v_mov_b32_e32 v10, v8
	v_mov_b32_e32 v9, v7
	s_waitcnt vmcnt(1)
	v_and_b32_e32 v1, v1, v9
	s_waitcnt vmcnt(0)
	v_mad_u64_u32 v[6:7], s[14:15], v1, 24, v[11:12]
	v_and_b32_e32 v2, v2, v10
	v_mov_b32_e32 v1, v7
	v_mad_u64_u32 v[1:2], s[14:15], v2, 24, v[1:2]
	v_mov_b32_e32 v7, v1
	global_load_dwordx2 v[7:8], v[6:7], off glc
	s_waitcnt vmcnt(0)
	global_atomic_cmpswap_x2 v[7:8], v0, v[7:10], s[6:7] offset:24 glc
	s_waitcnt vmcnt(0)
	buffer_wbinvl1_vol
	v_cmp_eq_u64_e32 vcc, v[7:8], v[9:10]
	s_or_b64 s[12:13], vcc, s[12:13]
	s_andn2_b64 exec, exec, s[12:13]
	s_cbranch_execnz .LBB11_1469
; %bb.1470:
	s_or_b64 exec, exec, s[12:13]
.LBB11_1471:
	s_or_b64 exec, exec, s[10:11]
.LBB11_1472:
	s_or_b64 exec, exec, s[8:9]
	v_mov_b32_e32 v6, 0
	global_load_dwordx2 v[9:10], v6, s[6:7] offset:40
	global_load_dwordx4 v[0:3], v6, s[6:7]
	v_readfirstlane_b32 s8, v7
	v_readfirstlane_b32 s9, v8
	s_mov_b64 s[10:11], exec
	s_waitcnt vmcnt(1)
	v_readfirstlane_b32 s12, v9
	v_readfirstlane_b32 s13, v10
	s_and_b64 s[12:13], s[8:9], s[12:13]
	s_mul_i32 s14, s13, 24
	s_mul_hi_u32 s15, s12, 24
	s_mul_i32 s16, s12, 24
	s_add_i32 s14, s15, s14
	v_mov_b32_e32 v7, s14
	s_waitcnt vmcnt(0)
	v_add_co_u32_e32 v8, vcc, s16, v0
	v_addc_co_u32_e32 v9, vcc, v1, v7, vcc
	s_and_saveexec_b64 s[14:15], s[4:5]
	s_cbranch_execz .LBB11_1474
; %bb.1473:
	v_mov_b32_e32 v10, s10
	v_mov_b32_e32 v11, s11
	;; [unrolled: 1-line block ×4, first 2 shown]
	global_store_dwordx4 v[8:9], v[10:13], off offset:8
.LBB11_1474:
	s_or_b64 exec, exec, s[14:15]
	s_lshl_b64 s[10:11], s[12:13], 12
	v_mov_b32_e32 v7, s11
	v_add_co_u32_e32 v2, vcc, s10, v2
	v_addc_co_u32_e32 v3, vcc, v3, v7, vcc
	s_movk_i32 s10, 0xff1f
	v_and_or_b32 v4, v4, s10, 32
	v_add_co_u32_e32 v10, vcc, v2, v31
	s_mov_b32 s12, 0
	v_mov_b32_e32 v7, v6
	v_readfirstlane_b32 s10, v2
	v_readfirstlane_b32 s11, v3
	v_addc_co_u32_e32 v11, vcc, 0, v3, vcc
	s_mov_b32 s13, s12
	s_mov_b32 s14, s12
	;; [unrolled: 1-line block ×3, first 2 shown]
	s_nop 0
	global_store_dwordx4 v31, v[4:7], s[10:11]
	v_mov_b32_e32 v2, s12
	v_mov_b32_e32 v3, s13
	;; [unrolled: 1-line block ×4, first 2 shown]
	global_store_dwordx4 v31, v[2:5], s[10:11] offset:16
	global_store_dwordx4 v31, v[2:5], s[10:11] offset:32
	;; [unrolled: 1-line block ×3, first 2 shown]
	s_and_saveexec_b64 s[10:11], s[4:5]
	s_cbranch_execz .LBB11_1482
; %bb.1475:
	v_mov_b32_e32 v6, 0
	global_load_dwordx2 v[14:15], v6, s[6:7] offset:32 glc
	global_load_dwordx2 v[2:3], v6, s[6:7] offset:40
	v_mov_b32_e32 v12, s8
	v_mov_b32_e32 v13, s9
	s_waitcnt vmcnt(0)
	v_readfirstlane_b32 s12, v2
	v_readfirstlane_b32 s13, v3
	s_and_b64 s[12:13], s[12:13], s[8:9]
	s_mul_i32 s13, s13, 24
	s_mul_hi_u32 s14, s12, 24
	s_mul_i32 s12, s12, 24
	s_add_i32 s13, s14, s13
	v_mov_b32_e32 v2, s13
	v_add_co_u32_e32 v4, vcc, s12, v0
	v_addc_co_u32_e32 v5, vcc, v1, v2, vcc
	global_store_dwordx2 v[4:5], v[14:15], off
	s_waitcnt vmcnt(0)
	global_atomic_cmpswap_x2 v[2:3], v6, v[12:15], s[6:7] offset:32 glc
	s_waitcnt vmcnt(0)
	v_cmp_ne_u64_e32 vcc, v[2:3], v[14:15]
	s_and_saveexec_b64 s[12:13], vcc
	s_cbranch_execz .LBB11_1478
; %bb.1476:
	s_mov_b64 s[14:15], 0
.LBB11_1477:                            ; =>This Inner Loop Header: Depth=1
	s_sleep 1
	global_store_dwordx2 v[4:5], v[2:3], off
	v_mov_b32_e32 v0, s8
	v_mov_b32_e32 v1, s9
	s_waitcnt vmcnt(0)
	global_atomic_cmpswap_x2 v[0:1], v6, v[0:3], s[6:7] offset:32 glc
	s_waitcnt vmcnt(0)
	v_cmp_eq_u64_e32 vcc, v[0:1], v[2:3]
	v_mov_b32_e32 v3, v1
	s_or_b64 s[14:15], vcc, s[14:15]
	v_mov_b32_e32 v2, v0
	s_andn2_b64 exec, exec, s[14:15]
	s_cbranch_execnz .LBB11_1477
.LBB11_1478:
	s_or_b64 exec, exec, s[12:13]
	v_mov_b32_e32 v3, 0
	global_load_dwordx2 v[0:1], v3, s[6:7] offset:16
	s_mov_b64 s[12:13], exec
	v_mbcnt_lo_u32_b32 v2, s12, 0
	v_mbcnt_hi_u32_b32 v2, s13, v2
	v_cmp_eq_u32_e32 vcc, 0, v2
	s_and_saveexec_b64 s[14:15], vcc
	s_cbranch_execz .LBB11_1480
; %bb.1479:
	s_bcnt1_i32_b64 s12, s[12:13]
	v_mov_b32_e32 v2, s12
	s_waitcnt vmcnt(0)
	global_atomic_add_x2 v[0:1], v[2:3], off offset:8
.LBB11_1480:
	s_or_b64 exec, exec, s[14:15]
	s_waitcnt vmcnt(0)
	global_load_dwordx2 v[2:3], v[0:1], off offset:16
	s_waitcnt vmcnt(0)
	v_cmp_eq_u64_e32 vcc, 0, v[2:3]
	s_cbranch_vccnz .LBB11_1482
; %bb.1481:
	global_load_dword v0, v[0:1], off offset:24
	v_mov_b32_e32 v1, 0
	s_waitcnt vmcnt(0)
	global_store_dwordx2 v[2:3], v[0:1], off
	v_and_b32_e32 v0, 0xffffff, v0
	v_readfirstlane_b32 m0, v0
	s_sendmsg sendmsg(MSG_INTERRUPT)
.LBB11_1482:
	s_or_b64 exec, exec, s[10:11]
	s_branch .LBB11_1486
.LBB11_1483:                            ;   in Loop: Header=BB11_1486 Depth=1
	s_or_b64 exec, exec, s[10:11]
	v_readfirstlane_b32 s10, v0
	s_cmp_eq_u32 s10, 0
	s_cbranch_scc1 .LBB11_1485
; %bb.1484:                             ;   in Loop: Header=BB11_1486 Depth=1
	s_sleep 1
	s_cbranch_execnz .LBB11_1486
	s_branch .LBB11_1488
.LBB11_1485:
	s_branch .LBB11_1488
.LBB11_1486:                            ; =>This Inner Loop Header: Depth=1
	v_mov_b32_e32 v0, 1
	s_and_saveexec_b64 s[10:11], s[4:5]
	s_cbranch_execz .LBB11_1483
; %bb.1487:                             ;   in Loop: Header=BB11_1486 Depth=1
	global_load_dword v0, v[8:9], off offset:20 glc
	s_waitcnt vmcnt(0)
	buffer_wbinvl1_vol
	v_and_b32_e32 v0, 1, v0
	s_branch .LBB11_1483
.LBB11_1488:
	global_load_dwordx2 v[0:1], v[10:11], off
	s_and_saveexec_b64 s[10:11], s[4:5]
	s_cbranch_execz .LBB11_1491
; %bb.1489:
	v_mov_b32_e32 v8, 0
	global_load_dwordx2 v[4:5], v8, s[6:7] offset:40
	global_load_dwordx2 v[9:10], v8, s[6:7] offset:24 glc
	global_load_dwordx2 v[6:7], v8, s[6:7]
	v_mov_b32_e32 v3, s9
	s_mov_b64 s[4:5], 0
	s_waitcnt vmcnt(2)
	v_add_co_u32_e32 v11, vcc, 1, v4
	v_addc_co_u32_e32 v12, vcc, 0, v5, vcc
	v_add_co_u32_e32 v2, vcc, s8, v11
	v_addc_co_u32_e32 v3, vcc, v12, v3, vcc
	v_cmp_eq_u64_e32 vcc, 0, v[2:3]
	v_cndmask_b32_e32 v3, v3, v12, vcc
	v_cndmask_b32_e32 v2, v2, v11, vcc
	v_and_b32_e32 v5, v3, v5
	v_and_b32_e32 v4, v2, v4
	v_mul_lo_u32 v5, v5, 24
	v_mul_hi_u32 v11, v4, 24
	v_mul_lo_u32 v12, v4, 24
	s_waitcnt vmcnt(1)
	v_mov_b32_e32 v4, v9
	v_add_u32_e32 v5, v11, v5
	s_waitcnt vmcnt(0)
	v_add_co_u32_e32 v6, vcc, v6, v12
	v_addc_co_u32_e32 v7, vcc, v7, v5, vcc
	global_store_dwordx2 v[6:7], v[9:10], off
	v_mov_b32_e32 v5, v10
	s_waitcnt vmcnt(0)
	global_atomic_cmpswap_x2 v[4:5], v8, v[2:5], s[6:7] offset:24 glc
	s_waitcnt vmcnt(0)
	v_cmp_ne_u64_e32 vcc, v[4:5], v[9:10]
	s_and_b64 exec, exec, vcc
	s_cbranch_execz .LBB11_1491
.LBB11_1490:                            ; =>This Inner Loop Header: Depth=1
	s_sleep 1
	global_store_dwordx2 v[6:7], v[4:5], off
	s_waitcnt vmcnt(0)
	global_atomic_cmpswap_x2 v[9:10], v8, v[2:5], s[6:7] offset:24 glc
	s_waitcnt vmcnt(0)
	v_cmp_eq_u64_e32 vcc, v[9:10], v[4:5]
	v_mov_b32_e32 v4, v9
	s_or_b64 s[4:5], vcc, s[4:5]
	v_mov_b32_e32 v5, v10
	s_andn2_b64 exec, exec, s[4:5]
	s_cbranch_execnz .LBB11_1490
.LBB11_1491:
	s_or_b64 exec, exec, s[10:11]
.LBB11_1492:
	s_getpc_b64 s[8:9]
	s_add_u32 s8, s8, .str.2@rel32@lo+4
	s_addc_u32 s9, s9, .str.2@rel32@hi+12
	s_cmp_lg_u64 s[8:9], 0
	s_cbranch_scc0 .LBB11_1577
; %bb.1493:
	s_waitcnt vmcnt(0)
	v_and_b32_e32 v6, -3, v0
	v_mov_b32_e32 v7, v1
	s_mov_b64 s[10:11], 13
	v_mov_b32_e32 v26, 0
	v_mov_b32_e32 v4, 2
	;; [unrolled: 1-line block ×3, first 2 shown]
	s_branch .LBB11_1495
.LBB11_1494:                            ;   in Loop: Header=BB11_1495 Depth=1
	s_or_b64 exec, exec, s[16:17]
	s_sub_u32 s10, s10, s12
	s_subb_u32 s11, s11, s13
	s_add_u32 s8, s8, s12
	s_addc_u32 s9, s9, s13
	s_cmp_lg_u64 s[10:11], 0
	s_cbranch_scc0 .LBB11_1576
.LBB11_1495:                            ; =>This Loop Header: Depth=1
                                        ;     Child Loop BB11_1498 Depth 2
                                        ;     Child Loop BB11_1505 Depth 2
                                        ;     Child Loop BB11_1513 Depth 2
                                        ;     Child Loop BB11_1521 Depth 2
                                        ;     Child Loop BB11_1529 Depth 2
                                        ;     Child Loop BB11_1537 Depth 2
                                        ;     Child Loop BB11_1545 Depth 2
                                        ;     Child Loop BB11_1553 Depth 2
                                        ;     Child Loop BB11_1561 Depth 2
                                        ;     Child Loop BB11_1570 Depth 2
                                        ;     Child Loop BB11_1575 Depth 2
	v_cmp_lt_u64_e64 s[4:5], s[10:11], 56
	v_cmp_gt_u64_e64 s[14:15], s[10:11], 7
	s_and_b64 s[4:5], s[4:5], exec
	s_cselect_b32 s13, s11, 0
	s_cselect_b32 s12, s10, 56
	s_and_b64 vcc, exec, s[14:15]
	s_cbranch_vccnz .LBB11_1500
; %bb.1496:                             ;   in Loop: Header=BB11_1495 Depth=1
	s_waitcnt vmcnt(0)
	v_mov_b32_e32 v8, 0
	s_cmp_eq_u64 s[10:11], 0
	v_mov_b32_e32 v9, 0
	s_mov_b64 s[4:5], 0
	s_cbranch_scc1 .LBB11_1499
; %bb.1497:                             ;   in Loop: Header=BB11_1495 Depth=1
	v_mov_b32_e32 v8, 0
	s_lshl_b64 s[14:15], s[12:13], 3
	s_mov_b64 s[16:17], 0
	v_mov_b32_e32 v9, 0
	s_mov_b64 s[18:19], s[8:9]
.LBB11_1498:                            ;   Parent Loop BB11_1495 Depth=1
                                        ; =>  This Inner Loop Header: Depth=2
	global_load_ubyte v2, v26, s[18:19]
	s_waitcnt vmcnt(0)
	v_and_b32_e32 v25, 0xffff, v2
	v_lshlrev_b64 v[2:3], s16, v[25:26]
	s_add_u32 s16, s16, 8
	s_addc_u32 s17, s17, 0
	s_add_u32 s18, s18, 1
	s_addc_u32 s19, s19, 0
	v_or_b32_e32 v8, v2, v8
	s_cmp_lg_u32 s14, s16
	v_or_b32_e32 v9, v3, v9
	s_cbranch_scc1 .LBB11_1498
.LBB11_1499:                            ;   in Loop: Header=BB11_1495 Depth=1
	s_mov_b32 s18, 0
	s_andn2_b64 vcc, exec, s[4:5]
	s_mov_b64 s[4:5], s[8:9]
	s_cbranch_vccz .LBB11_1501
	s_branch .LBB11_1502
.LBB11_1500:                            ;   in Loop: Header=BB11_1495 Depth=1
                                        ; implicit-def: $sgpr18
	s_mov_b64 s[4:5], s[8:9]
.LBB11_1501:                            ;   in Loop: Header=BB11_1495 Depth=1
	global_load_dwordx2 v[8:9], v26, s[8:9]
	s_add_i32 s18, s12, -8
	s_add_u32 s4, s8, 8
	s_addc_u32 s5, s9, 0
.LBB11_1502:                            ;   in Loop: Header=BB11_1495 Depth=1
	s_cmp_gt_u32 s18, 7
	s_cbranch_scc1 .LBB11_1506
; %bb.1503:                             ;   in Loop: Header=BB11_1495 Depth=1
	s_cmp_eq_u32 s18, 0
	s_cbranch_scc1 .LBB11_1507
; %bb.1504:                             ;   in Loop: Header=BB11_1495 Depth=1
	v_mov_b32_e32 v10, 0
	s_mov_b64 s[14:15], 0
	v_mov_b32_e32 v11, 0
	s_mov_b64 s[16:17], 0
.LBB11_1505:                            ;   Parent Loop BB11_1495 Depth=1
                                        ; =>  This Inner Loop Header: Depth=2
	s_add_u32 s20, s4, s16
	s_addc_u32 s21, s5, s17
	global_load_ubyte v2, v26, s[20:21]
	s_add_u32 s16, s16, 1
	s_addc_u32 s17, s17, 0
	s_waitcnt vmcnt(0)
	v_and_b32_e32 v25, 0xffff, v2
	v_lshlrev_b64 v[2:3], s14, v[25:26]
	s_add_u32 s14, s14, 8
	s_addc_u32 s15, s15, 0
	v_or_b32_e32 v10, v2, v10
	s_cmp_lg_u32 s18, s16
	v_or_b32_e32 v11, v3, v11
	s_cbranch_scc1 .LBB11_1505
	s_branch .LBB11_1508
.LBB11_1506:                            ;   in Loop: Header=BB11_1495 Depth=1
                                        ; implicit-def: $vgpr10_vgpr11
                                        ; implicit-def: $sgpr19
	s_branch .LBB11_1509
.LBB11_1507:                            ;   in Loop: Header=BB11_1495 Depth=1
	v_mov_b32_e32 v10, 0
	v_mov_b32_e32 v11, 0
.LBB11_1508:                            ;   in Loop: Header=BB11_1495 Depth=1
	s_mov_b32 s19, 0
	s_cbranch_execnz .LBB11_1510
.LBB11_1509:                            ;   in Loop: Header=BB11_1495 Depth=1
	global_load_dwordx2 v[10:11], v26, s[4:5]
	s_add_i32 s19, s18, -8
	s_add_u32 s4, s4, 8
	s_addc_u32 s5, s5, 0
.LBB11_1510:                            ;   in Loop: Header=BB11_1495 Depth=1
	s_cmp_gt_u32 s19, 7
	s_cbranch_scc1 .LBB11_1514
; %bb.1511:                             ;   in Loop: Header=BB11_1495 Depth=1
	s_cmp_eq_u32 s19, 0
	s_cbranch_scc1 .LBB11_1515
; %bb.1512:                             ;   in Loop: Header=BB11_1495 Depth=1
	v_mov_b32_e32 v12, 0
	s_mov_b64 s[14:15], 0
	v_mov_b32_e32 v13, 0
	s_mov_b64 s[16:17], 0
.LBB11_1513:                            ;   Parent Loop BB11_1495 Depth=1
                                        ; =>  This Inner Loop Header: Depth=2
	s_add_u32 s20, s4, s16
	s_addc_u32 s21, s5, s17
	global_load_ubyte v2, v26, s[20:21]
	s_add_u32 s16, s16, 1
	s_addc_u32 s17, s17, 0
	s_waitcnt vmcnt(0)
	v_and_b32_e32 v25, 0xffff, v2
	v_lshlrev_b64 v[2:3], s14, v[25:26]
	s_add_u32 s14, s14, 8
	s_addc_u32 s15, s15, 0
	v_or_b32_e32 v12, v2, v12
	s_cmp_lg_u32 s19, s16
	v_or_b32_e32 v13, v3, v13
	s_cbranch_scc1 .LBB11_1513
	s_branch .LBB11_1516
.LBB11_1514:                            ;   in Loop: Header=BB11_1495 Depth=1
                                        ; implicit-def: $sgpr18
	s_branch .LBB11_1517
.LBB11_1515:                            ;   in Loop: Header=BB11_1495 Depth=1
	v_mov_b32_e32 v12, 0
	v_mov_b32_e32 v13, 0
.LBB11_1516:                            ;   in Loop: Header=BB11_1495 Depth=1
	s_mov_b32 s18, 0
	s_cbranch_execnz .LBB11_1518
.LBB11_1517:                            ;   in Loop: Header=BB11_1495 Depth=1
	global_load_dwordx2 v[12:13], v26, s[4:5]
	s_add_i32 s18, s19, -8
	s_add_u32 s4, s4, 8
	s_addc_u32 s5, s5, 0
.LBB11_1518:                            ;   in Loop: Header=BB11_1495 Depth=1
	s_cmp_gt_u32 s18, 7
	s_cbranch_scc1 .LBB11_1522
; %bb.1519:                             ;   in Loop: Header=BB11_1495 Depth=1
	s_cmp_eq_u32 s18, 0
	s_cbranch_scc1 .LBB11_1523
; %bb.1520:                             ;   in Loop: Header=BB11_1495 Depth=1
	v_mov_b32_e32 v14, 0
	s_mov_b64 s[14:15], 0
	v_mov_b32_e32 v15, 0
	s_mov_b64 s[16:17], 0
.LBB11_1521:                            ;   Parent Loop BB11_1495 Depth=1
                                        ; =>  This Inner Loop Header: Depth=2
	s_add_u32 s20, s4, s16
	s_addc_u32 s21, s5, s17
	global_load_ubyte v2, v26, s[20:21]
	s_add_u32 s16, s16, 1
	s_addc_u32 s17, s17, 0
	s_waitcnt vmcnt(0)
	v_and_b32_e32 v25, 0xffff, v2
	v_lshlrev_b64 v[2:3], s14, v[25:26]
	s_add_u32 s14, s14, 8
	s_addc_u32 s15, s15, 0
	v_or_b32_e32 v14, v2, v14
	s_cmp_lg_u32 s18, s16
	v_or_b32_e32 v15, v3, v15
	s_cbranch_scc1 .LBB11_1521
	s_branch .LBB11_1524
.LBB11_1522:                            ;   in Loop: Header=BB11_1495 Depth=1
                                        ; implicit-def: $vgpr14_vgpr15
                                        ; implicit-def: $sgpr19
	s_branch .LBB11_1525
.LBB11_1523:                            ;   in Loop: Header=BB11_1495 Depth=1
	v_mov_b32_e32 v14, 0
	v_mov_b32_e32 v15, 0
.LBB11_1524:                            ;   in Loop: Header=BB11_1495 Depth=1
	s_mov_b32 s19, 0
	s_cbranch_execnz .LBB11_1526
.LBB11_1525:                            ;   in Loop: Header=BB11_1495 Depth=1
	global_load_dwordx2 v[14:15], v26, s[4:5]
	s_add_i32 s19, s18, -8
	s_add_u32 s4, s4, 8
	s_addc_u32 s5, s5, 0
.LBB11_1526:                            ;   in Loop: Header=BB11_1495 Depth=1
	s_cmp_gt_u32 s19, 7
	s_cbranch_scc1 .LBB11_1530
; %bb.1527:                             ;   in Loop: Header=BB11_1495 Depth=1
	s_cmp_eq_u32 s19, 0
	s_cbranch_scc1 .LBB11_1531
; %bb.1528:                             ;   in Loop: Header=BB11_1495 Depth=1
	v_mov_b32_e32 v16, 0
	s_mov_b64 s[14:15], 0
	v_mov_b32_e32 v17, 0
	s_mov_b64 s[16:17], 0
.LBB11_1529:                            ;   Parent Loop BB11_1495 Depth=1
                                        ; =>  This Inner Loop Header: Depth=2
	s_add_u32 s20, s4, s16
	s_addc_u32 s21, s5, s17
	global_load_ubyte v2, v26, s[20:21]
	s_add_u32 s16, s16, 1
	s_addc_u32 s17, s17, 0
	s_waitcnt vmcnt(0)
	v_and_b32_e32 v25, 0xffff, v2
	v_lshlrev_b64 v[2:3], s14, v[25:26]
	s_add_u32 s14, s14, 8
	s_addc_u32 s15, s15, 0
	v_or_b32_e32 v16, v2, v16
	s_cmp_lg_u32 s19, s16
	v_or_b32_e32 v17, v3, v17
	s_cbranch_scc1 .LBB11_1529
	s_branch .LBB11_1532
.LBB11_1530:                            ;   in Loop: Header=BB11_1495 Depth=1
                                        ; implicit-def: $sgpr18
	s_branch .LBB11_1533
.LBB11_1531:                            ;   in Loop: Header=BB11_1495 Depth=1
	v_mov_b32_e32 v16, 0
	v_mov_b32_e32 v17, 0
.LBB11_1532:                            ;   in Loop: Header=BB11_1495 Depth=1
	s_mov_b32 s18, 0
	s_cbranch_execnz .LBB11_1534
.LBB11_1533:                            ;   in Loop: Header=BB11_1495 Depth=1
	global_load_dwordx2 v[16:17], v26, s[4:5]
	s_add_i32 s18, s19, -8
	s_add_u32 s4, s4, 8
	s_addc_u32 s5, s5, 0
.LBB11_1534:                            ;   in Loop: Header=BB11_1495 Depth=1
	s_cmp_gt_u32 s18, 7
	s_cbranch_scc1 .LBB11_1538
; %bb.1535:                             ;   in Loop: Header=BB11_1495 Depth=1
	s_cmp_eq_u32 s18, 0
	s_cbranch_scc1 .LBB11_1539
; %bb.1536:                             ;   in Loop: Header=BB11_1495 Depth=1
	v_mov_b32_e32 v18, 0
	s_mov_b64 s[14:15], 0
	v_mov_b32_e32 v19, 0
	s_mov_b64 s[16:17], 0
.LBB11_1537:                            ;   Parent Loop BB11_1495 Depth=1
                                        ; =>  This Inner Loop Header: Depth=2
	s_add_u32 s20, s4, s16
	s_addc_u32 s21, s5, s17
	global_load_ubyte v2, v26, s[20:21]
	s_add_u32 s16, s16, 1
	s_addc_u32 s17, s17, 0
	s_waitcnt vmcnt(0)
	v_and_b32_e32 v25, 0xffff, v2
	v_lshlrev_b64 v[2:3], s14, v[25:26]
	s_add_u32 s14, s14, 8
	s_addc_u32 s15, s15, 0
	v_or_b32_e32 v18, v2, v18
	s_cmp_lg_u32 s18, s16
	v_or_b32_e32 v19, v3, v19
	s_cbranch_scc1 .LBB11_1537
	s_branch .LBB11_1540
.LBB11_1538:                            ;   in Loop: Header=BB11_1495 Depth=1
                                        ; implicit-def: $vgpr18_vgpr19
                                        ; implicit-def: $sgpr19
	s_branch .LBB11_1541
.LBB11_1539:                            ;   in Loop: Header=BB11_1495 Depth=1
	v_mov_b32_e32 v18, 0
	v_mov_b32_e32 v19, 0
.LBB11_1540:                            ;   in Loop: Header=BB11_1495 Depth=1
	s_mov_b32 s19, 0
	s_cbranch_execnz .LBB11_1542
.LBB11_1541:                            ;   in Loop: Header=BB11_1495 Depth=1
	global_load_dwordx2 v[18:19], v26, s[4:5]
	s_add_i32 s19, s18, -8
	s_add_u32 s4, s4, 8
	s_addc_u32 s5, s5, 0
.LBB11_1542:                            ;   in Loop: Header=BB11_1495 Depth=1
	s_cmp_gt_u32 s19, 7
	s_cbranch_scc1 .LBB11_1546
; %bb.1543:                             ;   in Loop: Header=BB11_1495 Depth=1
	s_cmp_eq_u32 s19, 0
	s_cbranch_scc1 .LBB11_1547
; %bb.1544:                             ;   in Loop: Header=BB11_1495 Depth=1
	v_mov_b32_e32 v20, 0
	s_mov_b64 s[14:15], 0
	v_mov_b32_e32 v21, 0
	s_mov_b64 s[16:17], s[4:5]
.LBB11_1545:                            ;   Parent Loop BB11_1495 Depth=1
                                        ; =>  This Inner Loop Header: Depth=2
	global_load_ubyte v2, v26, s[16:17]
	s_add_i32 s19, s19, -1
	s_waitcnt vmcnt(0)
	v_and_b32_e32 v25, 0xffff, v2
	v_lshlrev_b64 v[2:3], s14, v[25:26]
	s_add_u32 s14, s14, 8
	s_addc_u32 s15, s15, 0
	s_add_u32 s16, s16, 1
	s_addc_u32 s17, s17, 0
	v_or_b32_e32 v20, v2, v20
	s_cmp_lg_u32 s19, 0
	v_or_b32_e32 v21, v3, v21
	s_cbranch_scc1 .LBB11_1545
	s_branch .LBB11_1548
.LBB11_1546:                            ;   in Loop: Header=BB11_1495 Depth=1
	s_branch .LBB11_1549
.LBB11_1547:                            ;   in Loop: Header=BB11_1495 Depth=1
	v_mov_b32_e32 v20, 0
	v_mov_b32_e32 v21, 0
.LBB11_1548:                            ;   in Loop: Header=BB11_1495 Depth=1
	s_cbranch_execnz .LBB11_1550
.LBB11_1549:                            ;   in Loop: Header=BB11_1495 Depth=1
	global_load_dwordx2 v[20:21], v26, s[4:5]
.LBB11_1550:                            ;   in Loop: Header=BB11_1495 Depth=1
	v_readfirstlane_b32 s4, v32
	v_mov_b32_e32 v2, 0
	v_mov_b32_e32 v3, 0
	v_cmp_eq_u32_e64 s[4:5], s4, v32
	s_and_saveexec_b64 s[14:15], s[4:5]
	s_cbranch_execz .LBB11_1556
; %bb.1551:                             ;   in Loop: Header=BB11_1495 Depth=1
	global_load_dwordx2 v[24:25], v26, s[6:7] offset:24 glc
	s_waitcnt vmcnt(0)
	buffer_wbinvl1_vol
	global_load_dwordx2 v[2:3], v26, s[6:7] offset:40
	global_load_dwordx2 v[22:23], v26, s[6:7]
	s_waitcnt vmcnt(1)
	v_and_b32_e32 v2, v2, v24
	v_and_b32_e32 v3, v3, v25
	v_mul_lo_u32 v3, v3, 24
	v_mul_hi_u32 v27, v2, 24
	v_mul_lo_u32 v2, v2, 24
	v_add_u32_e32 v3, v27, v3
	s_waitcnt vmcnt(0)
	v_add_co_u32_e32 v2, vcc, v22, v2
	v_addc_co_u32_e32 v3, vcc, v23, v3, vcc
	global_load_dwordx2 v[22:23], v[2:3], off glc
	s_waitcnt vmcnt(0)
	global_atomic_cmpswap_x2 v[2:3], v26, v[22:25], s[6:7] offset:24 glc
	s_waitcnt vmcnt(0)
	buffer_wbinvl1_vol
	v_cmp_ne_u64_e32 vcc, v[2:3], v[24:25]
	s_and_saveexec_b64 s[16:17], vcc
	s_cbranch_execz .LBB11_1555
; %bb.1552:                             ;   in Loop: Header=BB11_1495 Depth=1
	s_mov_b64 s[18:19], 0
.LBB11_1553:                            ;   Parent Loop BB11_1495 Depth=1
                                        ; =>  This Inner Loop Header: Depth=2
	s_sleep 1
	global_load_dwordx2 v[22:23], v26, s[6:7] offset:40
	global_load_dwordx2 v[27:28], v26, s[6:7]
	v_mov_b32_e32 v25, v3
	v_mov_b32_e32 v24, v2
	s_waitcnt vmcnt(1)
	v_and_b32_e32 v2, v22, v24
	s_waitcnt vmcnt(0)
	v_mad_u64_u32 v[2:3], s[20:21], v2, 24, v[27:28]
	v_and_b32_e32 v22, v23, v25
	v_mad_u64_u32 v[22:23], s[20:21], v22, 24, v[3:4]
	v_mov_b32_e32 v3, v22
	global_load_dwordx2 v[22:23], v[2:3], off glc
	s_waitcnt vmcnt(0)
	global_atomic_cmpswap_x2 v[2:3], v26, v[22:25], s[6:7] offset:24 glc
	s_waitcnt vmcnt(0)
	buffer_wbinvl1_vol
	v_cmp_eq_u64_e32 vcc, v[2:3], v[24:25]
	s_or_b64 s[18:19], vcc, s[18:19]
	s_andn2_b64 exec, exec, s[18:19]
	s_cbranch_execnz .LBB11_1553
; %bb.1554:                             ;   in Loop: Header=BB11_1495 Depth=1
	s_or_b64 exec, exec, s[18:19]
.LBB11_1555:                            ;   in Loop: Header=BB11_1495 Depth=1
	s_or_b64 exec, exec, s[16:17]
.LBB11_1556:                            ;   in Loop: Header=BB11_1495 Depth=1
	s_or_b64 exec, exec, s[14:15]
	global_load_dwordx2 v[27:28], v26, s[6:7] offset:40
	global_load_dwordx4 v[22:25], v26, s[6:7]
	v_readfirstlane_b32 s14, v2
	v_readfirstlane_b32 s15, v3
	s_mov_b64 s[16:17], exec
	s_waitcnt vmcnt(1)
	v_readfirstlane_b32 s18, v27
	v_readfirstlane_b32 s19, v28
	s_and_b64 s[18:19], s[14:15], s[18:19]
	s_mul_i32 s20, s19, 24
	s_mul_hi_u32 s21, s18, 24
	s_mul_i32 s22, s18, 24
	s_add_i32 s20, s21, s20
	v_mov_b32_e32 v2, s20
	s_waitcnt vmcnt(0)
	v_add_co_u32_e32 v27, vcc, s22, v22
	v_addc_co_u32_e32 v28, vcc, v23, v2, vcc
	s_and_saveexec_b64 s[20:21], s[4:5]
	s_cbranch_execz .LBB11_1558
; %bb.1557:                             ;   in Loop: Header=BB11_1495 Depth=1
	v_mov_b32_e32 v2, s16
	v_mov_b32_e32 v3, s17
	global_store_dwordx4 v[27:28], v[2:5], off offset:8
.LBB11_1558:                            ;   in Loop: Header=BB11_1495 Depth=1
	s_or_b64 exec, exec, s[20:21]
	s_lshl_b64 s[16:17], s[18:19], 12
	v_mov_b32_e32 v2, s17
	v_add_co_u32_e32 v24, vcc, s16, v24
	v_addc_co_u32_e32 v29, vcc, v25, v2, vcc
	v_cmp_gt_u64_e64 vcc, s[10:11], 56
	v_or_b32_e32 v2, 2, v6
	s_lshl_b32 s16, s12, 2
	v_cndmask_b32_e32 v2, v2, v6, vcc
	s_add_i32 s16, s16, 28
	s_and_b32 s16, s16, 0x1e0
	v_and_b32_e32 v2, 0xffffff1f, v2
	v_or_b32_e32 v6, s16, v2
	v_readfirstlane_b32 s16, v24
	v_readfirstlane_b32 s17, v29
	s_nop 4
	global_store_dwordx4 v31, v[6:9], s[16:17]
	global_store_dwordx4 v31, v[10:13], s[16:17] offset:16
	global_store_dwordx4 v31, v[14:17], s[16:17] offset:32
	;; [unrolled: 1-line block ×3, first 2 shown]
	s_and_saveexec_b64 s[16:17], s[4:5]
	s_cbranch_execz .LBB11_1566
; %bb.1559:                             ;   in Loop: Header=BB11_1495 Depth=1
	global_load_dwordx2 v[10:11], v26, s[6:7] offset:32 glc
	global_load_dwordx2 v[2:3], v26, s[6:7] offset:40
	v_mov_b32_e32 v8, s14
	v_mov_b32_e32 v9, s15
	s_waitcnt vmcnt(0)
	v_readfirstlane_b32 s18, v2
	v_readfirstlane_b32 s19, v3
	s_and_b64 s[18:19], s[18:19], s[14:15]
	s_mul_i32 s19, s19, 24
	s_mul_hi_u32 s20, s18, 24
	s_mul_i32 s18, s18, 24
	s_add_i32 s19, s20, s19
	v_mov_b32_e32 v3, s19
	v_add_co_u32_e32 v2, vcc, s18, v22
	v_addc_co_u32_e32 v3, vcc, v23, v3, vcc
	global_store_dwordx2 v[2:3], v[10:11], off
	s_waitcnt vmcnt(0)
	global_atomic_cmpswap_x2 v[8:9], v26, v[8:11], s[6:7] offset:32 glc
	s_waitcnt vmcnt(0)
	v_cmp_ne_u64_e32 vcc, v[8:9], v[10:11]
	s_and_saveexec_b64 s[18:19], vcc
	s_cbranch_execz .LBB11_1562
; %bb.1560:                             ;   in Loop: Header=BB11_1495 Depth=1
	s_mov_b64 s[20:21], 0
.LBB11_1561:                            ;   Parent Loop BB11_1495 Depth=1
                                        ; =>  This Inner Loop Header: Depth=2
	s_sleep 1
	global_store_dwordx2 v[2:3], v[8:9], off
	v_mov_b32_e32 v6, s14
	v_mov_b32_e32 v7, s15
	s_waitcnt vmcnt(0)
	global_atomic_cmpswap_x2 v[6:7], v26, v[6:9], s[6:7] offset:32 glc
	s_waitcnt vmcnt(0)
	v_cmp_eq_u64_e32 vcc, v[6:7], v[8:9]
	v_mov_b32_e32 v9, v7
	s_or_b64 s[20:21], vcc, s[20:21]
	v_mov_b32_e32 v8, v6
	s_andn2_b64 exec, exec, s[20:21]
	s_cbranch_execnz .LBB11_1561
.LBB11_1562:                            ;   in Loop: Header=BB11_1495 Depth=1
	s_or_b64 exec, exec, s[18:19]
	global_load_dwordx2 v[2:3], v26, s[6:7] offset:16
	s_mov_b64 s[20:21], exec
	v_mbcnt_lo_u32_b32 v6, s20, 0
	v_mbcnt_hi_u32_b32 v6, s21, v6
	v_cmp_eq_u32_e32 vcc, 0, v6
	s_and_saveexec_b64 s[18:19], vcc
	s_cbranch_execz .LBB11_1564
; %bb.1563:                             ;   in Loop: Header=BB11_1495 Depth=1
	s_bcnt1_i32_b64 s20, s[20:21]
	v_mov_b32_e32 v25, s20
	s_waitcnt vmcnt(0)
	global_atomic_add_x2 v[2:3], v[25:26], off offset:8
.LBB11_1564:                            ;   in Loop: Header=BB11_1495 Depth=1
	s_or_b64 exec, exec, s[18:19]
	s_waitcnt vmcnt(0)
	global_load_dwordx2 v[6:7], v[2:3], off offset:16
	s_waitcnt vmcnt(0)
	v_cmp_eq_u64_e32 vcc, 0, v[6:7]
	s_cbranch_vccnz .LBB11_1566
; %bb.1565:                             ;   in Loop: Header=BB11_1495 Depth=1
	global_load_dword v25, v[2:3], off offset:24
	s_waitcnt vmcnt(0)
	v_and_b32_e32 v2, 0xffffff, v25
	v_readfirstlane_b32 m0, v2
	global_store_dwordx2 v[6:7], v[25:26], off
	s_sendmsg sendmsg(MSG_INTERRUPT)
.LBB11_1566:                            ;   in Loop: Header=BB11_1495 Depth=1
	s_or_b64 exec, exec, s[16:17]
	v_add_co_u32_e32 v2, vcc, v24, v31
	v_addc_co_u32_e32 v3, vcc, 0, v29, vcc
	s_branch .LBB11_1570
.LBB11_1567:                            ;   in Loop: Header=BB11_1570 Depth=2
	s_or_b64 exec, exec, s[16:17]
	v_readfirstlane_b32 s16, v6
	s_cmp_eq_u32 s16, 0
	s_cbranch_scc1 .LBB11_1569
; %bb.1568:                             ;   in Loop: Header=BB11_1570 Depth=2
	s_sleep 1
	s_cbranch_execnz .LBB11_1570
	s_branch .LBB11_1572
.LBB11_1569:                            ;   in Loop: Header=BB11_1495 Depth=1
	s_branch .LBB11_1572
.LBB11_1570:                            ;   Parent Loop BB11_1495 Depth=1
                                        ; =>  This Inner Loop Header: Depth=2
	v_mov_b32_e32 v6, 1
	s_and_saveexec_b64 s[16:17], s[4:5]
	s_cbranch_execz .LBB11_1567
; %bb.1571:                             ;   in Loop: Header=BB11_1570 Depth=2
	global_load_dword v6, v[27:28], off offset:20 glc
	s_waitcnt vmcnt(0)
	buffer_wbinvl1_vol
	v_and_b32_e32 v6, 1, v6
	s_branch .LBB11_1567
.LBB11_1572:                            ;   in Loop: Header=BB11_1495 Depth=1
	global_load_dwordx4 v[6:9], v[2:3], off
	s_and_saveexec_b64 s[16:17], s[4:5]
	s_cbranch_execz .LBB11_1494
; %bb.1573:                             ;   in Loop: Header=BB11_1495 Depth=1
	global_load_dwordx2 v[2:3], v26, s[6:7] offset:40
	global_load_dwordx2 v[12:13], v26, s[6:7] offset:24 glc
	global_load_dwordx2 v[14:15], v26, s[6:7]
	s_waitcnt vmcnt(3)
	v_mov_b32_e32 v9, s15
	s_waitcnt vmcnt(2)
	v_add_co_u32_e32 v10, vcc, 1, v2
	v_addc_co_u32_e32 v11, vcc, 0, v3, vcc
	v_add_co_u32_e32 v8, vcc, s14, v10
	v_addc_co_u32_e32 v9, vcc, v11, v9, vcc
	v_cmp_eq_u64_e32 vcc, 0, v[8:9]
	v_cndmask_b32_e32 v9, v9, v11, vcc
	v_cndmask_b32_e32 v8, v8, v10, vcc
	v_and_b32_e32 v3, v9, v3
	v_and_b32_e32 v2, v8, v2
	v_mul_lo_u32 v3, v3, 24
	v_mul_hi_u32 v11, v2, 24
	v_mul_lo_u32 v2, v2, 24
	s_waitcnt vmcnt(1)
	v_mov_b32_e32 v10, v12
	v_add_u32_e32 v3, v11, v3
	s_waitcnt vmcnt(0)
	v_add_co_u32_e32 v2, vcc, v14, v2
	v_addc_co_u32_e32 v3, vcc, v15, v3, vcc
	global_store_dwordx2 v[2:3], v[12:13], off
	v_mov_b32_e32 v11, v13
	s_waitcnt vmcnt(0)
	global_atomic_cmpswap_x2 v[10:11], v26, v[8:11], s[6:7] offset:24 glc
	s_waitcnt vmcnt(0)
	v_cmp_ne_u64_e32 vcc, v[10:11], v[12:13]
	s_and_b64 exec, exec, vcc
	s_cbranch_execz .LBB11_1494
; %bb.1574:                             ;   in Loop: Header=BB11_1495 Depth=1
	s_mov_b64 s[4:5], 0
.LBB11_1575:                            ;   Parent Loop BB11_1495 Depth=1
                                        ; =>  This Inner Loop Header: Depth=2
	s_sleep 1
	global_store_dwordx2 v[2:3], v[10:11], off
	s_waitcnt vmcnt(0)
	global_atomic_cmpswap_x2 v[12:13], v26, v[8:11], s[6:7] offset:24 glc
	s_waitcnt vmcnt(0)
	v_cmp_eq_u64_e32 vcc, v[12:13], v[10:11]
	v_mov_b32_e32 v10, v12
	s_or_b64 s[4:5], vcc, s[4:5]
	v_mov_b32_e32 v11, v13
	s_andn2_b64 exec, exec, s[4:5]
	s_cbranch_execnz .LBB11_1575
	s_branch .LBB11_1494
.LBB11_1576:
	s_mov_b64 s[4:5], 0
	s_branch .LBB11_1578
.LBB11_1577:
	s_mov_b64 s[4:5], -1
.LBB11_1578:
	s_and_b64 vcc, exec, s[4:5]
	s_cbranch_vccz .LBB11_1605
; %bb.1579:
	v_readfirstlane_b32 s4, v32
	s_waitcnt vmcnt(0)
	v_mov_b32_e32 v8, 0
	v_mov_b32_e32 v9, 0
	v_cmp_eq_u32_e64 s[4:5], s4, v32
	s_and_saveexec_b64 s[8:9], s[4:5]
	s_cbranch_execz .LBB11_1585
; %bb.1580:
	v_mov_b32_e32 v2, 0
	global_load_dwordx2 v[5:6], v2, s[6:7] offset:24 glc
	s_waitcnt vmcnt(0)
	buffer_wbinvl1_vol
	global_load_dwordx2 v[3:4], v2, s[6:7] offset:40
	global_load_dwordx2 v[7:8], v2, s[6:7]
	s_waitcnt vmcnt(1)
	v_and_b32_e32 v3, v3, v5
	v_and_b32_e32 v4, v4, v6
	v_mul_lo_u32 v4, v4, 24
	v_mul_hi_u32 v9, v3, 24
	v_mul_lo_u32 v3, v3, 24
	v_add_u32_e32 v4, v9, v4
	s_waitcnt vmcnt(0)
	v_add_co_u32_e32 v3, vcc, v7, v3
	v_addc_co_u32_e32 v4, vcc, v8, v4, vcc
	global_load_dwordx2 v[3:4], v[3:4], off glc
	s_waitcnt vmcnt(0)
	global_atomic_cmpswap_x2 v[8:9], v2, v[3:6], s[6:7] offset:24 glc
	s_waitcnt vmcnt(0)
	buffer_wbinvl1_vol
	v_cmp_ne_u64_e32 vcc, v[8:9], v[5:6]
	s_and_saveexec_b64 s[10:11], vcc
	s_cbranch_execz .LBB11_1584
; %bb.1581:
	s_mov_b64 s[12:13], 0
.LBB11_1582:                            ; =>This Inner Loop Header: Depth=1
	s_sleep 1
	global_load_dwordx2 v[3:4], v2, s[6:7] offset:40
	global_load_dwordx2 v[10:11], v2, s[6:7]
	v_mov_b32_e32 v5, v8
	v_mov_b32_e32 v6, v9
	s_waitcnt vmcnt(1)
	v_and_b32_e32 v3, v3, v5
	s_waitcnt vmcnt(0)
	v_mad_u64_u32 v[7:8], s[14:15], v3, 24, v[10:11]
	v_and_b32_e32 v4, v4, v6
	v_mov_b32_e32 v3, v8
	v_mad_u64_u32 v[3:4], s[14:15], v4, 24, v[3:4]
	v_mov_b32_e32 v8, v3
	global_load_dwordx2 v[3:4], v[7:8], off glc
	s_waitcnt vmcnt(0)
	global_atomic_cmpswap_x2 v[8:9], v2, v[3:6], s[6:7] offset:24 glc
	s_waitcnt vmcnt(0)
	buffer_wbinvl1_vol
	v_cmp_eq_u64_e32 vcc, v[8:9], v[5:6]
	s_or_b64 s[12:13], vcc, s[12:13]
	s_andn2_b64 exec, exec, s[12:13]
	s_cbranch_execnz .LBB11_1582
; %bb.1583:
	s_or_b64 exec, exec, s[12:13]
.LBB11_1584:
	s_or_b64 exec, exec, s[10:11]
.LBB11_1585:
	s_or_b64 exec, exec, s[8:9]
	v_mov_b32_e32 v2, 0
	global_load_dwordx2 v[10:11], v2, s[6:7] offset:40
	global_load_dwordx4 v[4:7], v2, s[6:7]
	v_readfirstlane_b32 s8, v8
	v_readfirstlane_b32 s9, v9
	s_mov_b64 s[10:11], exec
	s_waitcnt vmcnt(1)
	v_readfirstlane_b32 s12, v10
	v_readfirstlane_b32 s13, v11
	s_and_b64 s[12:13], s[8:9], s[12:13]
	s_mul_i32 s14, s13, 24
	s_mul_hi_u32 s15, s12, 24
	s_mul_i32 s16, s12, 24
	s_add_i32 s14, s15, s14
	v_mov_b32_e32 v3, s14
	s_waitcnt vmcnt(0)
	v_add_co_u32_e32 v8, vcc, s16, v4
	v_addc_co_u32_e32 v9, vcc, v5, v3, vcc
	s_and_saveexec_b64 s[14:15], s[4:5]
	s_cbranch_execz .LBB11_1587
; %bb.1586:
	v_mov_b32_e32 v10, s10
	v_mov_b32_e32 v11, s11
	;; [unrolled: 1-line block ×4, first 2 shown]
	global_store_dwordx4 v[8:9], v[10:13], off offset:8
.LBB11_1587:
	s_or_b64 exec, exec, s[14:15]
	s_lshl_b64 s[10:11], s[12:13], 12
	v_mov_b32_e32 v3, s11
	v_add_co_u32_e32 v6, vcc, s10, v6
	v_addc_co_u32_e32 v7, vcc, v7, v3, vcc
	s_movk_i32 s10, 0xff1d
	v_and_or_b32 v0, v0, s10, 34
	s_mov_b32 s12, 0
	v_mov_b32_e32 v3, v2
	v_readfirstlane_b32 s10, v6
	v_readfirstlane_b32 s11, v7
	s_mov_b32 s13, s12
	s_mov_b32 s14, s12
	s_mov_b32 s15, s12
	s_nop 1
	global_store_dwordx4 v31, v[0:3], s[10:11]
	s_nop 0
	v_mov_b32_e32 v0, s12
	v_mov_b32_e32 v1, s13
	;; [unrolled: 1-line block ×4, first 2 shown]
	global_store_dwordx4 v31, v[0:3], s[10:11] offset:16
	global_store_dwordx4 v31, v[0:3], s[10:11] offset:32
	;; [unrolled: 1-line block ×3, first 2 shown]
	s_and_saveexec_b64 s[10:11], s[4:5]
	s_cbranch_execz .LBB11_1595
; %bb.1588:
	v_mov_b32_e32 v6, 0
	global_load_dwordx2 v[12:13], v6, s[6:7] offset:32 glc
	global_load_dwordx2 v[0:1], v6, s[6:7] offset:40
	v_mov_b32_e32 v10, s8
	v_mov_b32_e32 v11, s9
	s_waitcnt vmcnt(0)
	v_readfirstlane_b32 s12, v0
	v_readfirstlane_b32 s13, v1
	s_and_b64 s[12:13], s[12:13], s[8:9]
	s_mul_i32 s13, s13, 24
	s_mul_hi_u32 s14, s12, 24
	s_mul_i32 s12, s12, 24
	s_add_i32 s13, s14, s13
	v_mov_b32_e32 v0, s13
	v_add_co_u32_e32 v4, vcc, s12, v4
	v_addc_co_u32_e32 v5, vcc, v5, v0, vcc
	global_store_dwordx2 v[4:5], v[12:13], off
	s_waitcnt vmcnt(0)
	global_atomic_cmpswap_x2 v[2:3], v6, v[10:13], s[6:7] offset:32 glc
	s_waitcnt vmcnt(0)
	v_cmp_ne_u64_e32 vcc, v[2:3], v[12:13]
	s_and_saveexec_b64 s[12:13], vcc
	s_cbranch_execz .LBB11_1591
; %bb.1589:
	s_mov_b64 s[14:15], 0
.LBB11_1590:                            ; =>This Inner Loop Header: Depth=1
	s_sleep 1
	global_store_dwordx2 v[4:5], v[2:3], off
	v_mov_b32_e32 v0, s8
	v_mov_b32_e32 v1, s9
	s_waitcnt vmcnt(0)
	global_atomic_cmpswap_x2 v[0:1], v6, v[0:3], s[6:7] offset:32 glc
	s_waitcnt vmcnt(0)
	v_cmp_eq_u64_e32 vcc, v[0:1], v[2:3]
	v_mov_b32_e32 v3, v1
	s_or_b64 s[14:15], vcc, s[14:15]
	v_mov_b32_e32 v2, v0
	s_andn2_b64 exec, exec, s[14:15]
	s_cbranch_execnz .LBB11_1590
.LBB11_1591:
	s_or_b64 exec, exec, s[12:13]
	v_mov_b32_e32 v3, 0
	global_load_dwordx2 v[0:1], v3, s[6:7] offset:16
	s_mov_b64 s[12:13], exec
	v_mbcnt_lo_u32_b32 v2, s12, 0
	v_mbcnt_hi_u32_b32 v2, s13, v2
	v_cmp_eq_u32_e32 vcc, 0, v2
	s_and_saveexec_b64 s[14:15], vcc
	s_cbranch_execz .LBB11_1593
; %bb.1592:
	s_bcnt1_i32_b64 s12, s[12:13]
	v_mov_b32_e32 v2, s12
	s_waitcnt vmcnt(0)
	global_atomic_add_x2 v[0:1], v[2:3], off offset:8
.LBB11_1593:
	s_or_b64 exec, exec, s[14:15]
	s_waitcnt vmcnt(0)
	global_load_dwordx2 v[2:3], v[0:1], off offset:16
	s_waitcnt vmcnt(0)
	v_cmp_eq_u64_e32 vcc, 0, v[2:3]
	s_cbranch_vccnz .LBB11_1595
; %bb.1594:
	global_load_dword v0, v[0:1], off offset:24
	v_mov_b32_e32 v1, 0
	s_waitcnt vmcnt(0)
	global_store_dwordx2 v[2:3], v[0:1], off
	v_and_b32_e32 v0, 0xffffff, v0
	v_readfirstlane_b32 m0, v0
	s_sendmsg sendmsg(MSG_INTERRUPT)
.LBB11_1595:
	s_or_b64 exec, exec, s[10:11]
	s_branch .LBB11_1599
.LBB11_1596:                            ;   in Loop: Header=BB11_1599 Depth=1
	s_or_b64 exec, exec, s[10:11]
	v_readfirstlane_b32 s10, v0
	s_cmp_eq_u32 s10, 0
	s_cbranch_scc1 .LBB11_1598
; %bb.1597:                             ;   in Loop: Header=BB11_1599 Depth=1
	s_sleep 1
	s_cbranch_execnz .LBB11_1599
	s_branch .LBB11_1601
.LBB11_1598:
	s_branch .LBB11_1601
.LBB11_1599:                            ; =>This Inner Loop Header: Depth=1
	v_mov_b32_e32 v0, 1
	s_and_saveexec_b64 s[10:11], s[4:5]
	s_cbranch_execz .LBB11_1596
; %bb.1600:                             ;   in Loop: Header=BB11_1599 Depth=1
	global_load_dword v0, v[8:9], off offset:20 glc
	s_waitcnt vmcnt(0)
	buffer_wbinvl1_vol
	v_and_b32_e32 v0, 1, v0
	s_branch .LBB11_1596
.LBB11_1601:
	s_and_saveexec_b64 s[10:11], s[4:5]
	s_cbranch_execz .LBB11_1604
; %bb.1602:
	v_mov_b32_e32 v6, 0
	global_load_dwordx2 v[2:3], v6, s[6:7] offset:40
	global_load_dwordx2 v[7:8], v6, s[6:7] offset:24 glc
	global_load_dwordx2 v[4:5], v6, s[6:7]
	v_mov_b32_e32 v1, s9
	s_mov_b64 s[4:5], 0
	s_waitcnt vmcnt(2)
	v_add_co_u32_e32 v9, vcc, 1, v2
	v_addc_co_u32_e32 v10, vcc, 0, v3, vcc
	v_add_co_u32_e32 v0, vcc, s8, v9
	v_addc_co_u32_e32 v1, vcc, v10, v1, vcc
	v_cmp_eq_u64_e32 vcc, 0, v[0:1]
	v_cndmask_b32_e32 v1, v1, v10, vcc
	v_cndmask_b32_e32 v0, v0, v9, vcc
	v_and_b32_e32 v3, v1, v3
	v_and_b32_e32 v2, v0, v2
	v_mul_lo_u32 v3, v3, 24
	v_mul_hi_u32 v9, v2, 24
	v_mul_lo_u32 v10, v2, 24
	s_waitcnt vmcnt(1)
	v_mov_b32_e32 v2, v7
	v_add_u32_e32 v3, v9, v3
	s_waitcnt vmcnt(0)
	v_add_co_u32_e32 v4, vcc, v4, v10
	v_addc_co_u32_e32 v5, vcc, v5, v3, vcc
	global_store_dwordx2 v[4:5], v[7:8], off
	v_mov_b32_e32 v3, v8
	s_waitcnt vmcnt(0)
	global_atomic_cmpswap_x2 v[2:3], v6, v[0:3], s[6:7] offset:24 glc
	s_waitcnt vmcnt(0)
	v_cmp_ne_u64_e32 vcc, v[2:3], v[7:8]
	s_and_b64 exec, exec, vcc
	s_cbranch_execz .LBB11_1604
.LBB11_1603:                            ; =>This Inner Loop Header: Depth=1
	s_sleep 1
	global_store_dwordx2 v[4:5], v[2:3], off
	s_waitcnt vmcnt(0)
	global_atomic_cmpswap_x2 v[7:8], v6, v[0:3], s[6:7] offset:24 glc
	s_waitcnt vmcnt(0)
	v_cmp_eq_u64_e32 vcc, v[7:8], v[2:3]
	v_mov_b32_e32 v2, v7
	s_or_b64 s[4:5], vcc, s[4:5]
	v_mov_b32_e32 v3, v8
	s_andn2_b64 exec, exec, s[4:5]
	s_cbranch_execnz .LBB11_1603
.LBB11_1604:
	s_or_b64 exec, exec, s[10:11]
.LBB11_1605:
	s_add_u32 s42, s52, 16
	s_addc_u32 s43, s53, 0
	s_getpc_b64 s[4:5]
	s_add_u32 s4, s4, .str@rel32@lo+4
	s_addc_u32 s5, s5, .str@rel32@hi+12
	s_mov_b64 s[8:9], s[42:43]
	s_waitcnt vmcnt(0)
	v_mov_b32_e32 v0, s4
	v_mov_b32_e32 v1, s5
	s_mov_b64 s[24:25], src_private_base
	s_getpc_b64 s[48:49]
	s_add_u32 s48, s48, _ZNK8migraphx13basic_printerIZNS_4coutEvEUlT_E_ElsEPKc@rel32@lo+4
	s_addc_u32 s49, s49, _ZNK8migraphx13basic_printerIZNS_4coutEvEUlT_E_ElsEPKc@rel32@hi+12
	s_swappc_b64 s[30:31], s[48:49]
	s_getpc_b64 s[4:5]
	s_add_u32 s4, s4, .str.3@rel32@lo+4
	s_addc_u32 s5, s5, .str.3@rel32@hi+12
	s_mov_b64 s[8:9], s[42:43]
	v_mov_b32_e32 v0, s4
	v_mov_b32_e32 v1, s5
	s_swappc_b64 s[30:31], s[48:49]
	s_mov_b64 s[8:9], s[42:43]
	v_mov_b32_e32 v0, 48
	v_mov_b32_e32 v1, s25
	s_getpc_b64 s[4:5]
	s_add_u32 s4, s4, _ZN8migraphx4testlsIKNS_13basic_printerIZNS_4coutEvEUlT_E_EEEERS3_S7_RKNS0_10expressionINS0_14lhs_expressionIRNS_5arrayIiLj5EEENS0_3nopEEESC_NS0_5equalEEE@rel32@lo+4
	s_addc_u32 s5, s5, _ZN8migraphx4testlsIKNS_13basic_printerIZNS_4coutEvEUlT_E_EEEERS3_S7_RKNS0_10expressionINS0_14lhs_expressionIRNS_5arrayIiLj5EEENS0_3nopEEESC_NS0_5equalEEE@rel32@hi+12
	s_swappc_b64 s[30:31], s[4:5]
	s_getpc_b64 s[4:5]
	s_add_u32 s4, s4, .str.4@rel32@lo+4
	s_addc_u32 s5, s5, .str.4@rel32@hi+12
	s_mov_b64 s[8:9], s[42:43]
	v_mov_b32_e32 v0, s4
	v_mov_b32_e32 v1, s5
	s_swappc_b64 s[30:31], s[48:49]
	s_mov_b64 s[8:9], s[42:43]
	v_mov_b32_e32 v0, 10
	s_getpc_b64 s[4:5]
	s_add_u32 s4, s4, _ZNK8migraphx13basic_printerIZNS_4coutEvEUlT_E_ElsEc@rel32@lo+4
	s_addc_u32 s5, s5, _ZNK8migraphx13basic_printerIZNS_4coutEvEUlT_E_ElsEc@rel32@hi+12
	s_swappc_b64 s[30:31], s[4:5]
	ds_read_b64 v[0:1], v45
	s_waitcnt lgkmcnt(0)
	flat_load_dword v2, v[0:1]
	s_waitcnt vmcnt(0) lgkmcnt(0)
	v_add_u32_e32 v2, 1, v2
	flat_store_dword v[0:1], v2
.LBB11_1606:
	s_or_b64 exec, exec, s[46:47]
	s_add_u32 s8, s52, 16
	s_addc_u32 s9, s53, 0
	s_mov_b32 s12, s56
	s_mov_b32 s13, s55
	;; [unrolled: 1-line block ×3, first 2 shown]
	s_getpc_b64 s[4:5]
	s_add_u32 s4, s4, _ZN8migraphx4test4failEv@rel32@lo+4
	s_addc_u32 s5, s5, _ZN8migraphx4test4failEv@rel32@hi+12
	s_swappc_b64 s[30:31], s[4:5]
	; divergent unreachable
.LBB11_1607:
	s_andn2_saveexec_b64 s[4:5], s[44:45]
	s_endpgm
	.section	.rodata,"a",@progbits
	.p2align	6, 0x0
	.amdhsa_kernel gpu_test_kernel
		.amdhsa_group_segment_fixed_size 24576
		.amdhsa_private_segment_fixed_size 224
		.amdhsa_kernarg_size 272
		.amdhsa_user_sgpr_count 10
		.amdhsa_user_sgpr_private_segment_buffer 1
		.amdhsa_user_sgpr_dispatch_ptr 1
		.amdhsa_user_sgpr_queue_ptr 0
		.amdhsa_user_sgpr_kernarg_segment_ptr 1
		.amdhsa_user_sgpr_dispatch_id 0
		.amdhsa_user_sgpr_flat_scratch_init 1
		.amdhsa_user_sgpr_private_segment_size 0
		.amdhsa_uses_dynamic_stack 0
		.amdhsa_system_sgpr_private_segment_wavefront_offset 1
		.amdhsa_system_sgpr_workgroup_id_x 1
		.amdhsa_system_sgpr_workgroup_id_y 1
		.amdhsa_system_sgpr_workgroup_id_z 1
		.amdhsa_system_sgpr_workgroup_info 0
		.amdhsa_system_vgpr_workitem_id 2
		.amdhsa_next_free_vgpr 56
		.amdhsa_next_free_sgpr 60
		.amdhsa_reserve_vcc 1
		.amdhsa_reserve_flat_scratch 1
		.amdhsa_float_round_mode_32 0
		.amdhsa_float_round_mode_16_64 0
		.amdhsa_float_denorm_mode_32 3
		.amdhsa_float_denorm_mode_16_64 3
		.amdhsa_dx10_clamp 1
		.amdhsa_ieee_mode 1
		.amdhsa_fp16_overflow 0
		.amdhsa_exception_fp_ieee_invalid_op 0
		.amdhsa_exception_fp_denorm_src 0
		.amdhsa_exception_fp_ieee_div_zero 0
		.amdhsa_exception_fp_ieee_overflow 0
		.amdhsa_exception_fp_ieee_underflow 0
		.amdhsa_exception_fp_ieee_inexact 0
		.amdhsa_exception_int_div_zero 0
	.end_amdhsa_kernel
	.text
.Lfunc_end11:
	.size	gpu_test_kernel, .Lfunc_end11-gpu_test_kernel
                                        ; -- End function
	.section	.AMDGPU.csdata,"",@progbits
; Kernel info:
; codeLenInByte = 54372
; NumSgprs: 66
; NumVgprs: 56
; ScratchSize: 224
; MemoryBound: 0
; FloatMode: 240
; IeeeMode: 1
; LDSByteSize: 24576 bytes/workgroup (compile time only)
; SGPRBlocks: 8
; VGPRBlocks: 13
; NumSGPRsForWavesPerEU: 66
; NumVGPRsForWavesPerEU: 56
; Occupancy: 4
; WaveLimiterHint : 1
; COMPUTE_PGM_RSRC2:SCRATCH_EN: 1
; COMPUTE_PGM_RSRC2:USER_SGPR: 10
; COMPUTE_PGM_RSRC2:TRAP_HANDLER: 0
; COMPUTE_PGM_RSRC2:TGID_X_EN: 1
; COMPUTE_PGM_RSRC2:TGID_Y_EN: 1
; COMPUTE_PGM_RSRC2:TGID_Z_EN: 1
; COMPUTE_PGM_RSRC2:TIDIG_COMP_CNT: 2
	.type	.str,@object                    ; @.str
	.section	.rodata.str1.1,"aMS",@progbits,1
.str:
	.asciz	"result == expected"
	.size	.str, 19

	.type	__PRETTY_FUNCTION__._ZL24merge_one_single_elementRN8migraphx4test12test_managerE,@object ; @__PRETTY_FUNCTION__._ZL24merge_one_single_elementRN8migraphx4test12test_managerE
__PRETTY_FUNCTION__._ZL24merge_one_single_elementRN8migraphx4test12test_managerE:
	.asciz	"void merge_one_single_element(migraphx::test::test_manager &)"
	.size	__PRETTY_FUNCTION__._ZL24merge_one_single_elementRN8migraphx4test12test_managerE, 62

	.type	.str.1,@object                  ; @.str.1
.str.1:
	.asciz	"/root/src/amdgpu-assembly/repos/ROCm__AMDMIGraphX/_shim/test_algorithm_25_shim.cpp"
	.size	.str.1, 83

	.type	.str.2,@object                  ; @.str.2
.str.2:
	.asciz	"    FAILED: "
	.size	.str.2, 13

	.type	.str.3,@object                  ; @.str.3
.str.3:
	.asciz	" [ "
	.size	.str.3, 4

	.type	.str.4,@object                  ; @.str.4
.str.4:
	.asciz	" ]"
	.size	.str.4, 3

	.type	.str.5,@object                  ; @.str.5
.str.5:
	.asciz	"%s"
	.size	.str.5, 3

	.type	.str.6,@object                  ; @.str.6
.str.6:
	.asciz	"%c"
	.size	.str.6, 3

	.type	.str.7,@object                  ; @.str.7
.str.7:
	.asciz	"%li"
	.size	.str.7, 4

	.type	.str.8,@object                  ; @.str.8
.str.8:
	.asciz	" "
	.size	.str.8, 2

	.type	.str.10,@object                 ; @.str.10
.str.10:
	.asciz	"=="
	.size	.str.10, 3

	.type	.str.11,@object                 ; @.str.11
.str.11:
	.asciz	", "
	.size	.str.11, 3

	.type	__PRETTY_FUNCTION__._ZL19merge_reverse_orderRN8migraphx4test12test_managerE,@object ; @__PRETTY_FUNCTION__._ZL19merge_reverse_orderRN8migraphx4test12test_managerE
__PRETTY_FUNCTION__._ZL19merge_reverse_orderRN8migraphx4test12test_managerE:
	.asciz	"void merge_reverse_order(migraphx::test::test_manager &)"
	.size	__PRETTY_FUNCTION__._ZL19merge_reverse_orderRN8migraphx4test12test_managerE, 57

	.type	__PRETTY_FUNCTION__._ZL22merge_negative_numbersRN8migraphx4test12test_managerE,@object ; @__PRETTY_FUNCTION__._ZL22merge_negative_numbersRN8migraphx4test12test_managerE
__PRETTY_FUNCTION__._ZL22merge_negative_numbersRN8migraphx4test12test_managerE:
	.asciz	"void merge_negative_numbers(migraphx::test::test_manager &)"
	.size	__PRETTY_FUNCTION__._ZL22merge_negative_numbersRN8migraphx4test12test_managerE, 60

	.type	__PRETTY_FUNCTION__._ZL22merge_large_differenceRN8migraphx4test12test_managerE,@object ; @__PRETTY_FUNCTION__._ZL22merge_large_differenceRN8migraphx4test12test_managerE
__PRETTY_FUNCTION__._ZL22merge_large_differenceRN8migraphx4test12test_managerE:
	.asciz	"void merge_large_difference(migraphx::test::test_manager &)"
	.size	__PRETTY_FUNCTION__._ZL22merge_large_differenceRN8migraphx4test12test_managerE, 60

	.type	__PRETTY_FUNCTION__._ZL20merge_partial_rangesRN8migraphx4test12test_managerE,@object ; @__PRETTY_FUNCTION__._ZL20merge_partial_rangesRN8migraphx4test12test_managerE
__PRETTY_FUNCTION__._ZL20merge_partial_rangesRN8migraphx4test12test_managerE:
	.asciz	"void merge_partial_ranges(migraphx::test::test_manager &)"
	.size	__PRETTY_FUNCTION__._ZL20merge_partial_rangesRN8migraphx4test12test_managerE, 58

	.type	__PRETTY_FUNCTION__._ZL20merge_stability_testRN8migraphx4test12test_managerE,@object ; @__PRETTY_FUNCTION__._ZL20merge_stability_testRN8migraphx4test12test_managerE
__PRETTY_FUNCTION__._ZL20merge_stability_testRN8migraphx4test12test_managerE:
	.asciz	"void merge_stability_test(migraphx::test::test_manager &)"
	.size	__PRETTY_FUNCTION__._ZL20merge_stability_testRN8migraphx4test12test_managerE, 58

	.type	__hip_cuid_ca99c1e54ca34040,@object ; @__hip_cuid_ca99c1e54ca34040
	.section	.bss,"aw",@nobits
	.globl	__hip_cuid_ca99c1e54ca34040
__hip_cuid_ca99c1e54ca34040:
	.byte	0                               ; 0x0
	.size	__hip_cuid_ca99c1e54ca34040, 1

	.ident	"AMD clang version 19.0.0git (https://github.com/RadeonOpenCompute/llvm-project roc-6.4.0 25133 c7fe45cf4b819c5991fe208aaa96edf142730f1d)"
	.section	".note.GNU-stack","",@progbits
	.addrsig
	.addrsig_sym __hip_cuid_ca99c1e54ca34040
	.amdgpu_metadata
---
amdhsa.kernels:
  - .args:
      - .offset:         0
        .size:           4
        .value_kind:     by_value
      - .address_space:  global
        .offset:         8
        .size:           8
        .value_kind:     global_buffer
      - .offset:         16
        .size:           4
        .value_kind:     hidden_block_count_x
      - .offset:         20
        .size:           4
        .value_kind:     hidden_block_count_y
      - .offset:         24
        .size:           4
        .value_kind:     hidden_block_count_z
      - .offset:         28
        .size:           2
        .value_kind:     hidden_group_size_x
      - .offset:         30
        .size:           2
        .value_kind:     hidden_group_size_y
      - .offset:         32
        .size:           2
        .value_kind:     hidden_group_size_z
      - .offset:         34
        .size:           2
        .value_kind:     hidden_remainder_x
      - .offset:         36
        .size:           2
        .value_kind:     hidden_remainder_y
      - .offset:         38
        .size:           2
        .value_kind:     hidden_remainder_z
      - .offset:         56
        .size:           8
        .value_kind:     hidden_global_offset_x
      - .offset:         64
        .size:           8
        .value_kind:     hidden_global_offset_y
      - .offset:         72
        .size:           8
        .value_kind:     hidden_global_offset_z
      - .offset:         80
        .size:           2
        .value_kind:     hidden_grid_dims
      - .offset:         96
        .size:           8
        .value_kind:     hidden_hostcall_buffer
    .group_segment_fixed_size: 24576
    .kernarg_segment_align: 8
    .kernarg_segment_size: 272
    .language:       OpenCL C
    .language_version:
      - 2
      - 0
    .max_flat_workgroup_size: 1024
    .name:           gpu_test_kernel
    .private_segment_fixed_size: 224
    .sgpr_count:     66
    .sgpr_spill_count: 0
    .symbol:         gpu_test_kernel.kd
    .uniform_work_group_size: 1
    .uses_dynamic_stack: false
    .vgpr_count:     56
    .vgpr_spill_count: 0
    .wavefront_size: 64
amdhsa.target:   amdgcn-amd-amdhsa--gfx906
amdhsa.version:
  - 1
  - 2
...

	.end_amdgpu_metadata
